;; amdgpu-corpus repo=ROCm/rocBLAS kind=compiled arch=gfx1100 opt=O3
	.text
	.amdgcn_target "amdgcn-amd-amdhsa--gfx1100"
	.amdhsa_code_object_version 6
	.section	.text._ZL30rocblas_trmm_outofplace_kernelIfLi32ELi2ELb1ELb0ELb0ELb0EPKfS0_fEv17rocblas_diagonal_iiT6_lPT7_lllS5_lllPT8_llli,"axG",@progbits,_ZL30rocblas_trmm_outofplace_kernelIfLi32ELi2ELb1ELb0ELb0ELb0EPKfS0_fEv17rocblas_diagonal_iiT6_lPT7_lllS5_lllPT8_llli,comdat
	.globl	_ZL30rocblas_trmm_outofplace_kernelIfLi32ELi2ELb1ELb0ELb0ELb0EPKfS0_fEv17rocblas_diagonal_iiT6_lPT7_lllS5_lllPT8_llli ; -- Begin function _ZL30rocblas_trmm_outofplace_kernelIfLi32ELi2ELb1ELb0ELb0ELb0EPKfS0_fEv17rocblas_diagonal_iiT6_lPT7_lllS5_lllPT8_llli
	.p2align	8
	.type	_ZL30rocblas_trmm_outofplace_kernelIfLi32ELi2ELb1ELb0ELb0ELb0EPKfS0_fEv17rocblas_diagonal_iiT6_lPT7_lllS5_lllPT8_llli,@function
_ZL30rocblas_trmm_outofplace_kernelIfLi32ELi2ELb1ELb0ELb0ELb0EPKfS0_fEv17rocblas_diagonal_iiT6_lPT7_lllS5_lllPT8_llli: ; @_ZL30rocblas_trmm_outofplace_kernelIfLi32ELi2ELb1ELb0ELb0ELb0EPKfS0_fEv17rocblas_diagonal_iiT6_lPT7_lllS5_lllPT8_llli
; %bb.0:
	s_load_b512 s[16:31], s[0:1], 0x10
	s_waitcnt lgkmcnt(0)
	s_mul_i32 s2, s15, s19
	s_mul_hi_u32 s3, s15, s18
	s_delay_alu instid0(SALU_CYCLE_1) | instskip(SKIP_1) | instid1(SALU_CYCLE_1)
	s_add_i32 s3, s3, s2
	s_mul_i32 s2, s15, s18
	s_lshl_b64 s[2:3], s[2:3], 2
	s_delay_alu instid0(SALU_CYCLE_1) | instskip(SKIP_4) | instid1(VALU_DEP_1)
	s_add_u32 s2, s16, s2
	s_addc_u32 s3, s17, s3
	s_load_b32 s33, s[2:3], 0x0
	s_waitcnt lgkmcnt(0)
	v_cmp_eq_f32_e64 s2, s33, 0
	s_and_b32 vcc_lo, exec_lo, s2
	s_cbranch_vccnz .LBB0_63
; %bb.1:
	s_load_b128 s[8:11], s[0:1], 0x0
	s_waitcnt lgkmcnt(0)
	s_add_i32 s2, s10, -1
	s_delay_alu instid0(SALU_CYCLE_1) | instskip(NEXT) | instid1(SALU_CYCLE_1)
	s_ashr_i32 s3, s2, 31
	s_lshr_b32 s3, s3, 27
	s_delay_alu instid0(SALU_CYCLE_1) | instskip(NEXT) | instid1(SALU_CYCLE_1)
	s_add_i32 s2, s2, s3
	s_ashr_i32 s11, s2, 5
	s_delay_alu instid0(SALU_CYCLE_1)
	s_cmp_gt_i32 s14, s11
	s_cbranch_scc1 .LBB0_63
; %bb.2:
	v_bfe_u32 v34, v0, 10, 10
	s_clause 0x1
	s_load_b128 s[16:19], s[0:1], 0x70
	s_load_b256 s[36:43], s[0:1], 0x50
	s_mul_i32 s3, s15, s27
	s_mul_hi_u32 s4, s15, s26
	s_mul_i32 s2, s15, s26
	v_mad_u64_u32 v[1:2], null, v34, s24, 0
	s_add_i32 s3, s4, s3
	s_load_b32 s34, s[0:1], 0x8c
	s_lshl_b64 s[4:5], s[2:3], 2
	v_dual_mov_b32 v41, 1.0 :: v_dual_lshlrev_b32 v6, 7, v34
	s_add_u32 s2, s20, s4
	s_delay_alu instid0(VALU_DEP_2)
	v_mad_u64_u32 v[3:4], null, v34, s25, v[2:3]
	s_addc_u32 s3, s21, s5
	s_lshl_b64 s[6:7], s[22:23], 2
	v_and_b32_e32 v35, 0x3ff, v0
	s_add_u32 s2, s2, s6
	s_addc_u32 s3, s3, s7
	s_waitcnt lgkmcnt(0)
	s_mul_i32 s1, s15, s19
	v_mov_b32_e32 v2, v3
	s_mul_hi_u32 s12, s15, s18
	s_mul_i32 s0, s15, s18
	s_add_i32 s1, s12, s1
	v_dual_mov_b32 v36, 0 :: v_dual_lshlrev_b32 v37, 2, v35
	s_lshl_b64 s[0:1], s[0:1], 2
	v_lshlrev_b64 v[2:3], 2, v[1:2]
	s_add_u32 s12, s40, s0
	s_addc_u32 s18, s41, s1
	s_lshl_b64 s[0:1], s[42:43], 2
	v_add_nc_u32_e32 v38, 0x1000, v6
	s_add_u32 s35, s12, s0
	s_addc_u32 s40, s18, s1
	s_lshl_b32 s41, s13, 5
	s_cmp_gt_i32 s13, -1
	v_add_nc_u32_e32 v0, s41, v35
	s_cselect_b32 s42, -1, 0
	s_cmpk_eq_i32 s8, 0x84
	v_add_co_u32 v2, vcc_lo, s2, v2
	v_add_co_ci_u32_e32 v3, vcc_lo, s3, v3, vcc_lo
	s_cselect_b32 s43, -1, 0
	s_ashr_i32 s13, s9, 31
	s_ashr_i32 s44, s10, 31
	s_lshl_b64 s[18:19], s[24:25], 7
	s_mul_i32 s2, s39, s15
	s_mul_hi_u32 s3, s38, s15
	s_add_u32 s22, s9, -16
	v_add_nc_u32_e32 v39, v37, v6
	s_addc_u32 s23, s13, -1
	v_add_nc_u32_e32 v6, 16, v0
	s_add_i32 s27, s3, s2
	s_mul_i32 s26, s38, s15
	s_lshl_b64 s[30:31], s[30:31], 2
	s_lshl_b64 s[26:27], s[26:27], 2
	s_mov_b32 s12, s9
	s_add_u32 s8, s26, s30
	v_cmp_le_i32_e64 s0, s9, v0
	v_cmp_gt_i32_e64 s2, s9, v0
	v_cmp_gt_i32_e64 s3, s9, v6
	s_addc_u32 s9, s27, s31
	s_add_u32 s8, s28, s8
	s_addc_u32 s15, s29, s9
	s_lshl_b64 s[26:27], s[36:37], 2
	s_lshl_b32 s9, s34, 5
	v_lshl_add_u32 v14, v34, 2, 64
	s_add_u32 s6, s20, s6
	s_addc_u32 s7, s21, s7
	v_ashrrev_i32_e32 v1, 31, v0
	s_add_u32 s4, s6, s4
	s_addc_u32 s5, s7, s5
	v_add_co_u32 v4, vcc_lo, v0, 16
	v_mad_u64_u32 v[8:9], null, s24, v14, s[4:5]
	v_add_co_ci_u32_e32 v5, vcc_lo, 0, v1, vcc_lo
	v_sub_co_u32 v10, vcc_lo, v0, v34
	v_subrev_co_ci_u32_e32 v11, vcc_lo, 0, v1, vcc_lo
	v_add_co_u32 v16, s4, s8, v37
	s_delay_alu instid0(VALU_DEP_3) | instskip(SKIP_1) | instid1(VALU_DEP_4)
	v_mad_u64_u32 v[19:20], null, s25, v14, v[9:10]
	v_add_co_u32 v12, vcc_lo, v10, 16
	v_add_co_ci_u32_e32 v13, vcc_lo, 0, v11, vcc_lo
	v_add_co_ci_u32_e64 v17, null, s15, 0, s4
	s_delay_alu instid0(VALU_DEP_4)
	v_mov_b32_e32 v9, v19
	v_add_co_u32 v14, vcc_lo, v10, -16
	v_add_co_ci_u32_e32 v15, vcc_lo, -1, v11, vcc_lo
	v_add_co_u32 v16, vcc_lo, v16, 64
	v_cmp_le_i64_e64 s1, s[12:13], v[4:5]
	v_lshlrev_b64 v[20:21], 2, v[0:1]
	v_add_nc_u32_e32 v40, v38, v37
	v_ashrrev_i32_e32 v7, 31, v6
	v_add_co_ci_u32_e32 v17, vcc_lo, 0, v17, vcc_lo
	v_lshl_add_u32 v18, s14, 5, v34
	s_branch .LBB0_4
.LBB0_3:                                ;   in Loop: Header=BB0_4 Depth=1
	s_or_b32 exec_lo, exec_lo, s4
	v_add_nc_u32_e32 v18, s9, v18
	s_add_i32 s14, s34, s14
	s_delay_alu instid0(SALU_CYCLE_1)
	s_cmp_le_i32 s14, s11
	s_cbranch_scc0 .LBB0_63
.LBB0_4:                                ; =>This Loop Header: Depth=1
                                        ;     Child Loop BB0_7 Depth 2
	v_lshl_add_u32 v42, s14, 5, v34
	v_dual_mov_b32 v46, 0 :: v_dual_mov_b32 v45, 0
	v_mov_b32_e32 v43, 0
	v_mov_b32_e32 v19, 0
	s_delay_alu instid0(VALU_DEP_4)
	v_ashrrev_i32_e32 v44, 31, v42
	s_and_not1_b32 vcc_lo, exec_lo, s42
	s_cbranch_vccnz .LBB0_55
; %bb.5:                                ;   in Loop: Header=BB0_4 Depth=1
	v_ashrrev_i32_e32 v19, 31, v18
	v_mad_u64_u32 v[22:23], null, s26, v18, v[16:17]
	v_mul_lo_u32 v32, s27, v18
	v_dual_mov_b32 v29, v3 :: v_dual_mov_b32 v46, 0
	s_delay_alu instid0(VALU_DEP_4) | instskip(SKIP_4) | instid1(VALU_DEP_4)
	v_lshlrev_b64 v[24:25], 2, v[18:19]
	v_mul_lo_u32 v33, s26, v19
	v_mov_b32_e32 v19, 0
	s_mov_b64 s[20:21], 0
	v_mov_b32_e32 v28, v2
	v_add_co_u32 v26, vcc_lo, v24, 64
	v_add_co_ci_u32_e32 v24, vcc_lo, 0, v25, vcc_lo
	v_sub_co_u32 v30, vcc_lo, s10, v42
	s_delay_alu instid0(VALU_DEP_3) | instskip(NEXT) | instid1(VALU_DEP_3)
	v_mul_lo_u32 v45, s37, v26
	v_mul_lo_u32 v43, s36, v24
	v_mad_u64_u32 v[24:25], null, s36, v26, v[16:17]
	v_sub_co_ci_u32_e32 v31, vcc_lo, s44, v44, vcc_lo
	v_dual_mov_b32 v27, v9 :: v_dual_mov_b32 v26, v8
	v_add3_u32 v23, v32, v23, v33
	s_delay_alu instid0(VALU_DEP_3)
	v_cmp_lt_i64_e32 vcc_lo, 0, v[30:31]
	v_cmp_lt_i64_e64 s4, 16, v[30:31]
	v_add3_u32 v25, v45, v25, v43
	v_mov_b32_e32 v43, 0
	v_mov_b32_e32 v45, 0
	s_branch .LBB0_7
.LBB0_6:                                ;   in Loop: Header=BB0_7 Depth=2
	s_or_b32 exec_lo, exec_lo, s5
	s_waitcnt lgkmcnt(0)
	s_waitcnt_vscnt null, 0x0
	s_barrier
	buffer_gl0_inv
	ds_load_2addr_b32 v[74:75], v37 offset1:16
	ds_load_b128 v[30:33], v38
	ds_load_b128 v[47:50], v38 offset:2048
	ds_load_2addr_b32 v[76:77], v37 offset0:32 offset1:48
	ds_load_b128 v[51:54], v38 offset:16
	ds_load_2addr_b32 v[82:83], v37 offset0:64 offset1:80
	ds_load_b128 v[55:58], v38 offset:32
	ds_load_b128 v[59:62], v38 offset:48
	ds_load_2addr_b32 v[84:85], v37 offset0:96 offset1:112
	ds_load_2addr_b32 v[86:87], v37 offset0:128 offset1:144
	ds_load_b128 v[63:66], v38 offset:2064
	ds_load_2addr_b32 v[88:89], v37 offset0:160 offset1:176
	ds_load_2addr_b32 v[90:91], v37 offset0:192 offset1:208
	;; [unrolled: 1-line block ×3, first 2 shown]
	v_add_nc_u32_e32 v94, 0x400, v37
	v_add_co_u32 v22, s5, 0x80, v22
	s_delay_alu instid0(VALU_DEP_1)
	v_add_co_ci_u32_e64 v23, s5, 0, v23, s5
	v_add_co_u32 v28, s5, v28, s18
	s_waitcnt lgkmcnt(12)
	v_fmac_f32_e32 v45, v75, v30
	s_waitcnt lgkmcnt(11)
	v_dual_fmac_f32 v46, v74, v30 :: v_dual_fmac_f32 v19, v75, v47
	v_add_nc_u32_e32 v95, 0x800, v37
	v_add_co_ci_u32_e64 v29, s5, s19, v29, s5
	s_waitcnt lgkmcnt(10)
	s_delay_alu instid0(VALU_DEP_3) | instskip(SKIP_2) | instid1(VALU_DEP_1)
	v_fmac_f32_e32 v46, v76, v31
	v_fmac_f32_e32 v45, v77, v31
	v_add_co_u32 v26, s5, v26, s18
	v_add_co_ci_u32_e64 v27, s5, s19, v27, s5
	s_waitcnt lgkmcnt(8)
	v_fmac_f32_e32 v46, v82, v32
	v_fmac_f32_e32 v43, v74, v47
	ds_load_b128 v[67:70], v38 offset:2080
	ds_load_b128 v[71:74], v38 offset:2096
	v_add_co_u32 v24, s5, 0x80, v24
	s_waitcnt lgkmcnt(7)
	v_fmac_f32_e32 v46, v84, v33
	v_fmac_f32_e32 v43, v76, v48
	s_add_u32 s20, s20, 32
	v_add_co_ci_u32_e64 v25, s5, 0, v25, s5
	s_waitcnt lgkmcnt(6)
	v_fmac_f32_e32 v46, v86, v51
	v_fmac_f32_e32 v43, v82, v49
	s_addc_u32 s21, s21, 0
	s_sub_i32 s6, s20, 32
	s_waitcnt lgkmcnt(4)
	v_fmac_f32_e32 v46, v88, v52
	v_fmac_f32_e32 v19, v77, v48
	ds_load_b128 v[75:78], v38 offset:64
	ds_load_b128 v[79:82], v38 offset:80
	ds_load_2addr_b32 v[30:31], v94 offset1:16
	ds_load_2addr_b32 v[47:48], v94 offset0:64 offset1:80
	s_waitcnt lgkmcnt(7)
	v_dual_fmac_f32 v46, v90, v53 :: v_dual_fmac_f32 v45, v83, v32
	s_cmp_ge_i32 s6, s41
	s_waitcnt lgkmcnt(6)
	s_delay_alu instid0(VALU_DEP_1) | instskip(SKIP_1) | instid1(VALU_DEP_1)
	v_dual_fmac_f32 v46, v92, v54 :: v_dual_fmac_f32 v19, v83, v49
	s_waitcnt lgkmcnt(1)
	v_dual_fmac_f32 v46, v30, v55 :: v_dual_fmac_f32 v45, v85, v33
	ds_load_2addr_b32 v[32:33], v94 offset0:32 offset1:48
	s_waitcnt lgkmcnt(0)
	v_fmac_f32_e32 v46, v32, v56
	s_delay_alu instid0(VALU_DEP_1) | instskip(SKIP_1) | instid1(VALU_DEP_1)
	v_dual_fmac_f32 v43, v84, v50 :: v_dual_fmac_f32 v46, v47, v57
	v_fmac_f32_e32 v45, v87, v51
	v_fmac_f32_e32 v45, v89, v52
	ds_load_2addr_b32 v[51:52], v94 offset0:128 offset1:144
	v_fmac_f32_e32 v19, v85, v50
	ds_load_2addr_b32 v[49:50], v94 offset0:96 offset1:112
	v_fmac_f32_e32 v45, v91, v53
	s_delay_alu instid0(VALU_DEP_1) | instskip(SKIP_2) | instid1(VALU_DEP_1)
	v_fmac_f32_e32 v45, v93, v54
	ds_load_2addr_b32 v[53:54], v94 offset0:160 offset1:176
	v_fmac_f32_e32 v45, v31, v55
	v_fmac_f32_e32 v45, v33, v56
	ds_load_2addr_b32 v[55:56], v94 offset0:192 offset1:208
	s_waitcnt lgkmcnt(2)
	v_dual_fmac_f32 v46, v49, v58 :: v_dual_fmac_f32 v45, v48, v57
	s_delay_alu instid0(VALU_DEP_1) | instskip(SKIP_2) | instid1(VALU_DEP_4)
	v_fmac_f32_e32 v46, v51, v59
	v_fmac_f32_e32 v43, v86, v63
	;; [unrolled: 1-line block ×4, first 2 shown]
	ds_load_2addr_b32 v[57:58], v95 offset1:16
	s_waitcnt lgkmcnt(2)
	v_fmac_f32_e32 v46, v53, v60
	v_fmac_f32_e32 v19, v89, v64
	;; [unrolled: 1-line block ×3, first 2 shown]
	s_delay_alu instid0(VALU_DEP_2)
	v_fmac_f32_e32 v19, v91, v65
	s_waitcnt lgkmcnt(1)
	v_dual_fmac_f32 v46, v55, v61 :: v_dual_fmac_f32 v43, v88, v64
	ds_load_2addr_b32 v[63:64], v94 offset0:224 offset1:240
	v_fmac_f32_e32 v45, v54, v60
	v_fmac_f32_e32 v19, v93, v66
	ds_load_2addr_b32 v[59:60], v95 offset0:128 offset1:144
	v_fmac_f32_e32 v45, v56, v61
	v_fmac_f32_e32 v19, v31, v67
	s_delay_alu instid0(VALU_DEP_1) | instskip(SKIP_1) | instid1(VALU_DEP_1)
	v_fmac_f32_e32 v19, v33, v68
	s_waitcnt lgkmcnt(1)
	v_dual_fmac_f32 v19, v48, v69 :: v_dual_fmac_f32 v46, v63, v62
	v_fmac_f32_e32 v45, v64, v62
	ds_load_2addr_b32 v[61:62], v95 offset0:192 offset1:208
	v_dual_fmac_f32 v19, v50, v70 :: v_dual_fmac_f32 v46, v57, v75
	v_fmac_f32_e32 v43, v90, v65
	v_fmac_f32_e32 v45, v58, v75
	s_delay_alu instid0(VALU_DEP_3) | instskip(NEXT) | instid1(VALU_DEP_3)
	v_fmac_f32_e32 v19, v52, v71
	v_fmac_f32_e32 v43, v92, v66
	s_delay_alu instid0(VALU_DEP_2) | instskip(NEXT) | instid1(VALU_DEP_2)
	v_fmac_f32_e32 v19, v54, v72
	v_fmac_f32_e32 v43, v30, v67
	s_delay_alu instid0(VALU_DEP_2) | instskip(NEXT) | instid1(VALU_DEP_2)
	v_fmac_f32_e32 v19, v56, v73
	v_fmac_f32_e32 v43, v32, v68
	ds_load_b128 v[30:33], v38 offset:2112
	v_fmac_f32_e32 v19, v64, v74
	v_fmac_f32_e32 v43, v47, v69
	v_add_nc_u32_e32 v69, 0xc00, v37
	s_delay_alu instid0(VALU_DEP_2)
	v_fmac_f32_e32 v43, v49, v70
	ds_load_b128 v[47:50], v38 offset:2128
	v_fmac_f32_e32 v43, v51, v71
	ds_load_2addr_b32 v[51:52], v95 offset0:32 offset1:48
	v_fmac_f32_e32 v43, v53, v72
	ds_load_2addr_b32 v[53:54], v95 offset0:64 offset1:80
	s_waitcnt lgkmcnt(3)
	v_fmac_f32_e32 v19, v58, v30
	v_fmac_f32_e32 v43, v55, v73
	ds_load_2addr_b32 v[55:56], v95 offset0:96 offset1:112
	v_fmac_f32_e32 v43, v63, v74
	ds_load_2addr_b32 v[63:64], v95 offset0:224 offset1:240
	s_waitcnt lgkmcnt(3)
	v_dual_fmac_f32 v43, v57, v30 :: v_dual_fmac_f32 v46, v51, v76
	v_fmac_f32_e32 v45, v52, v76
	ds_load_2addr_b32 v[57:58], v95 offset0:160 offset1:176
	v_fmac_f32_e32 v19, v52, v31
	s_waitcnt lgkmcnt(3)
	v_dual_fmac_f32 v43, v51, v31 :: v_dual_fmac_f32 v46, v53, v77
	v_fmac_f32_e32 v45, v54, v77
	s_delay_alu instid0(VALU_DEP_3) | instskip(SKIP_1) | instid1(VALU_DEP_3)
	v_fmac_f32_e32 v19, v54, v32
	s_waitcnt lgkmcnt(2)
	v_dual_fmac_f32 v43, v53, v32 :: v_dual_fmac_f32 v46, v55, v78
	s_delay_alu instid0(VALU_DEP_3) | instskip(NEXT) | instid1(VALU_DEP_3)
	v_fmac_f32_e32 v45, v56, v78
	v_fmac_f32_e32 v19, v56, v33
	s_delay_alu instid0(VALU_DEP_3) | instskip(NEXT) | instid1(VALU_DEP_4)
	v_fmac_f32_e32 v43, v55, v33
	v_fmac_f32_e32 v46, v59, v79
	s_delay_alu instid0(VALU_DEP_4)
	v_fmac_f32_e32 v45, v60, v79
	ds_load_2addr_b32 v[65:66], v69 offset1:16
	ds_load_b128 v[30:33], v38 offset:96
	v_fmac_f32_e32 v19, v60, v47
	v_fmac_f32_e32 v43, v59, v47
	ds_load_b128 v[51:54], v38 offset:2144
	ds_load_2addr_b32 v[59:60], v69 offset0:32 offset1:48
	s_waitcnt lgkmcnt(4)
	v_fmac_f32_e32 v46, v57, v80
	v_fmac_f32_e32 v45, v58, v80
	;; [unrolled: 1-line block ×4, first 2 shown]
	ds_load_2addr_b32 v[67:68], v69 offset0:64 offset1:80
	v_fmac_f32_e32 v46, v61, v81
	v_fmac_f32_e32 v45, v62, v81
	;; [unrolled: 1-line block ×4, first 2 shown]
	ds_load_2addr_b32 v[61:62], v69 offset0:96 offset1:112
	v_fmac_f32_e32 v46, v63, v82
	v_fmac_f32_e32 v45, v64, v82
	;; [unrolled: 1-line block ×4, first 2 shown]
	ds_load_b128 v[47:50], v38 offset:112
	s_waitcnt lgkmcnt(5)
	v_fmac_f32_e32 v46, v65, v30
	v_fmac_f32_e32 v45, v66, v30
	ds_load_2addr_b32 v[63:64], v69 offset0:128 offset1:144
	ds_load_b128 v[55:58], v38 offset:2160
	s_waitcnt lgkmcnt(6)
	v_fmac_f32_e32 v43, v65, v51
	v_fmac_f32_e32 v19, v66, v51
	s_waitcnt lgkmcnt(5)
	v_fmac_f32_e32 v46, v59, v31
	ds_load_2addr_b32 v[65:66], v69 offset0:160 offset1:176
	v_fmac_f32_e32 v45, v60, v31
	v_fmac_f32_e32 v43, v59, v52
	v_fmac_f32_e32 v19, v60, v52
	s_waitcnt lgkmcnt(5)
	v_fmac_f32_e32 v46, v67, v32
	ds_load_2addr_b32 v[30:31], v69 offset0:192 offset1:208
	v_fmac_f32_e32 v45, v68, v32
	;; [unrolled: 6-line block ×3, first 2 shown]
	v_fmac_f32_e32 v43, v61, v54
	v_fmac_f32_e32 v19, v62, v54
	s_waitcnt lgkmcnt(0)
	v_fmac_f32_e32 v46, v63, v47
	v_fmac_f32_e32 v45, v64, v47
	;; [unrolled: 1-line block ×4, first 2 shown]
	s_barrier
	v_fmac_f32_e32 v46, v65, v48
	v_fmac_f32_e32 v45, v66, v48
	;; [unrolled: 1-line block ×4, first 2 shown]
	buffer_gl0_inv
	v_fmac_f32_e32 v46, v30, v49
	v_fmac_f32_e32 v45, v31, v49
	;; [unrolled: 1-line block ×4, first 2 shown]
	s_delay_alu instid0(VALU_DEP_4) | instskip(NEXT) | instid1(VALU_DEP_4)
	v_fmac_f32_e32 v46, v51, v50
	v_fmac_f32_e32 v45, v52, v50
	s_delay_alu instid0(VALU_DEP_4) | instskip(NEXT) | instid1(VALU_DEP_4)
	v_fmac_f32_e32 v43, v51, v58
	v_fmac_f32_e32 v19, v52, v58
	s_cbranch_scc1 .LBB0_55
.LBB0_7:                                ;   Parent Loop BB0_4 Depth=1
                                        ; =>  This Inner Loop Header: Depth=2
	v_add_co_u32 v30, s5, v34, s20
	s_delay_alu instid0(VALU_DEP_1) | instskip(SKIP_1) | instid1(VALU_DEP_2)
	v_add_co_ci_u32_e64 v31, null, 0, s21, s5
	v_cmp_eq_u64_e64 s7, s[20:21], v[10:11]
	v_cmp_le_i64_e64 s6, s[12:13], v[30:31]
	v_cmp_gt_i64_e64 s5, v[30:31], v[0:1]
	s_delay_alu instid0(VALU_DEP_3) | instskip(NEXT) | instid1(VALU_DEP_1)
	s_and_b32 s24, s43, s7
	s_or_b32 s7, s6, s5
	s_delay_alu instid0(SALU_CYCLE_1) | instskip(SKIP_1) | instid1(VALU_DEP_1)
	s_or_b32 s8, s7, s24
	v_add_co_u32 v32, s7, v28, v20
	v_add_co_ci_u32_e64 v33, s7, v29, v21, s7
	s_or_b32 s7, s0, s8
	s_delay_alu instid0(SALU_CYCLE_1) | instskip(NEXT) | instid1(SALU_CYCLE_1)
	s_xor_b32 s7, s7, -1
	s_and_saveexec_b32 s8, s7
	s_delay_alu instid0(SALU_CYCLE_1)
	s_xor_b32 s7, exec_lo, s8
	s_cbranch_execz .LBB0_9
; %bb.8:                                ;   in Loop: Header=BB0_7 Depth=2
	global_load_b32 v47, v[32:33], off
	s_waitcnt vmcnt(0)
	ds_store_b32 v39, v47
.LBB0_9:                                ;   in Loop: Header=BB0_7 Depth=2
	s_or_saveexec_b32 s7, s7
	s_xor_b32 s15, s24, -1
	s_xor_b32 exec_lo, exec_lo, s7
	s_cbranch_execz .LBB0_15
; %bb.10:                               ;   in Loop: Header=BB0_7 Depth=2
	s_and_saveexec_b32 s8, s15
	s_delay_alu instid0(SALU_CYCLE_1)
	s_xor_b32 s8, exec_lo, s8
	s_cbranch_execz .LBB0_12
; %bb.11:                               ;   in Loop: Header=BB0_7 Depth=2
	ds_store_b32 v39, v36
.LBB0_12:                               ;   in Loop: Header=BB0_7 Depth=2
	s_and_not1_saveexec_b32 s8, s8
	s_cbranch_execz .LBB0_14
; %bb.13:                               ;   in Loop: Header=BB0_7 Depth=2
	ds_store_b32 v39, v41
.LBB0_14:                               ;   in Loop: Header=BB0_7 Depth=2
	s_or_b32 exec_lo, exec_lo, s8
.LBB0_15:                               ;   in Loop: Header=BB0_7 Depth=2
	s_delay_alu instid0(SALU_CYCLE_1) | instskip(SKIP_2) | instid1(VALU_DEP_2)
	s_or_b32 exec_lo, exec_lo, s7
	v_cmp_eq_u64_e64 s7, s[20:21], v[12:13]
	v_cmp_lt_i64_e64 s8, v[4:5], v[30:31]
	s_and_b32 s7, s43, s7
	s_delay_alu instid0(VALU_DEP_1) | instskip(NEXT) | instid1(SALU_CYCLE_1)
	s_or_b32 s6, s6, s8
	s_or_b32 s6, s6, s7
	s_delay_alu instid0(SALU_CYCLE_1) | instskip(NEXT) | instid1(SALU_CYCLE_1)
	s_or_b32 s6, s1, s6
	s_xor_b32 s6, s6, -1
	s_delay_alu instid0(SALU_CYCLE_1) | instskip(NEXT) | instid1(SALU_CYCLE_1)
	s_and_saveexec_b32 s8, s6
	s_xor_b32 s6, exec_lo, s8
	s_cbranch_execz .LBB0_17
; %bb.16:                               ;   in Loop: Header=BB0_7 Depth=2
	global_load_b32 v32, v[32:33], off offset:64
	s_waitcnt vmcnt(0)
	ds_store_b32 v39, v32 offset:64
.LBB0_17:                               ;   in Loop: Header=BB0_7 Depth=2
	s_and_not1_saveexec_b32 s6, s6
	s_cbranch_execz .LBB0_23
; %bb.18:                               ;   in Loop: Header=BB0_7 Depth=2
	s_xor_b32 s7, s7, -1
	s_delay_alu instid0(SALU_CYCLE_1) | instskip(NEXT) | instid1(SALU_CYCLE_1)
	s_and_saveexec_b32 s8, s7
	s_xor_b32 s7, exec_lo, s8
	s_cbranch_execz .LBB0_20
; %bb.19:                               ;   in Loop: Header=BB0_7 Depth=2
	ds_store_b32 v39, v36 offset:64
.LBB0_20:                               ;   in Loop: Header=BB0_7 Depth=2
	s_and_not1_saveexec_b32 s7, s7
	s_cbranch_execz .LBB0_22
; %bb.21:                               ;   in Loop: Header=BB0_7 Depth=2
	ds_store_b32 v39, v41 offset:64
.LBB0_22:                               ;   in Loop: Header=BB0_7 Depth=2
	s_or_b32 exec_lo, exec_lo, s7
.LBB0_23:                               ;   in Loop: Header=BB0_7 Depth=2
	s_delay_alu instid0(SALU_CYCLE_1) | instskip(SKIP_1) | instid1(VALU_DEP_1)
	s_or_b32 exec_lo, exec_lo, s6
	v_add_co_u32 v30, s6, v30, 16
	v_add_co_ci_u32_e64 v31, s6, 0, v31, s6
	v_cmp_eq_u64_e64 s7, s[20:21], v[14:15]
	s_delay_alu instid0(VALU_DEP_2) | instskip(SKIP_1) | instid1(VALU_DEP_3)
	v_cmp_le_i64_e64 s6, s[12:13], v[30:31]
	v_cmp_gt_i64_e64 s8, v[30:31], v[0:1]
	s_and_b32 s25, s43, s7
	s_delay_alu instid0(VALU_DEP_1) | instskip(NEXT) | instid1(SALU_CYCLE_1)
	s_or_b32 s7, s6, s8
	s_or_b32 s7, s7, s25
	s_delay_alu instid0(SALU_CYCLE_1) | instskip(NEXT) | instid1(SALU_CYCLE_1)
	s_or_b32 s7, s0, s7
	s_xor_b32 s7, s7, -1
	s_delay_alu instid0(SALU_CYCLE_1) | instskip(NEXT) | instid1(SALU_CYCLE_1)
	s_and_saveexec_b32 s8, s7
	s_xor_b32 s8, exec_lo, s8
	s_cbranch_execz .LBB0_25
; %bb.24:                               ;   in Loop: Header=BB0_7 Depth=2
	v_add_co_u32 v30, s7, v26, v20
	s_delay_alu instid0(VALU_DEP_1)
	v_add_co_ci_u32_e64 v31, s7, v27, v21, s7
	global_load_b32 v30, v[30:31], off
	s_waitcnt vmcnt(0)
	ds_store_b32 v39, v30 offset:2048
.LBB0_25:                               ;   in Loop: Header=BB0_7 Depth=2
	s_and_not1_saveexec_b32 s7, s8
	s_cbranch_execz .LBB0_31
; %bb.26:                               ;   in Loop: Header=BB0_7 Depth=2
	s_xor_b32 s8, s25, -1
	s_delay_alu instid0(SALU_CYCLE_1) | instskip(NEXT) | instid1(SALU_CYCLE_1)
	s_and_saveexec_b32 s25, s8
	s_xor_b32 s8, exec_lo, s25
	s_cbranch_execz .LBB0_28
; %bb.27:                               ;   in Loop: Header=BB0_7 Depth=2
	ds_store_b32 v39, v36 offset:2048
.LBB0_28:                               ;   in Loop: Header=BB0_7 Depth=2
	s_and_not1_saveexec_b32 s8, s8
	s_cbranch_execz .LBB0_30
; %bb.29:                               ;   in Loop: Header=BB0_7 Depth=2
	ds_store_b32 v39, v41 offset:2048
.LBB0_30:                               ;   in Loop: Header=BB0_7 Depth=2
	s_or_b32 exec_lo, exec_lo, s8
.LBB0_31:                               ;   in Loop: Header=BB0_7 Depth=2
	s_delay_alu instid0(SALU_CYCLE_1) | instskip(SKIP_1) | instid1(SALU_CYCLE_1)
	s_or_b32 exec_lo, exec_lo, s7
	s_or_b32 s5, s6, s5
	s_or_b32 s5, s5, s24
	s_delay_alu instid0(SALU_CYCLE_1) | instskip(NEXT) | instid1(SALU_CYCLE_1)
	s_or_b32 s5, s1, s5
	s_xor_b32 s5, s5, -1
	s_delay_alu instid0(SALU_CYCLE_1) | instskip(NEXT) | instid1(SALU_CYCLE_1)
	s_and_saveexec_b32 s6, s5
	s_xor_b32 s6, exec_lo, s6
	s_cbranch_execz .LBB0_33
; %bb.32:                               ;   in Loop: Header=BB0_7 Depth=2
	v_add_co_u32 v30, s5, v26, v20
	s_delay_alu instid0(VALU_DEP_1)
	v_add_co_ci_u32_e64 v31, s5, v27, v21, s5
	global_load_b32 v30, v[30:31], off offset:64
	s_waitcnt vmcnt(0)
	ds_store_b32 v39, v30 offset:2112
.LBB0_33:                               ;   in Loop: Header=BB0_7 Depth=2
	s_and_not1_saveexec_b32 s5, s6
	s_cbranch_execz .LBB0_39
; %bb.34:                               ;   in Loop: Header=BB0_7 Depth=2
	s_and_saveexec_b32 s6, s15
	s_delay_alu instid0(SALU_CYCLE_1)
	s_xor_b32 s6, exec_lo, s6
	s_cbranch_execz .LBB0_36
; %bb.35:                               ;   in Loop: Header=BB0_7 Depth=2
	ds_store_b32 v39, v36 offset:2112
.LBB0_36:                               ;   in Loop: Header=BB0_7 Depth=2
	s_and_not1_saveexec_b32 s6, s6
	s_cbranch_execz .LBB0_38
; %bb.37:                               ;   in Loop: Header=BB0_7 Depth=2
	ds_store_b32 v39, v41 offset:2112
.LBB0_38:                               ;   in Loop: Header=BB0_7 Depth=2
	s_or_b32 exec_lo, exec_lo, s6
.LBB0_39:                               ;   in Loop: Header=BB0_7 Depth=2
	s_delay_alu instid0(SALU_CYCLE_1) | instskip(SKIP_1) | instid1(VALU_DEP_1)
	s_or_b32 exec_lo, exec_lo, s5
	v_add_co_u32 v30, s5, v35, s20
	v_add_co_ci_u32_e64 v31, null, 0, s21, s5
	s_delay_alu instid0(VALU_DEP_1) | instskip(NEXT) | instid1(VALU_DEP_1)
	v_cmp_gt_i64_e64 s5, s[12:13], v[30:31]
	s_and_b32 s6, vcc_lo, s5
	s_delay_alu instid0(SALU_CYCLE_1) | instskip(NEXT) | instid1(SALU_CYCLE_1)
	s_xor_b32 s6, s6, -1
	s_and_saveexec_b32 s7, s6
	s_delay_alu instid0(SALU_CYCLE_1)
	s_xor_b32 s6, exec_lo, s7
	s_cbranch_execz .LBB0_41
; %bb.40:                               ;   in Loop: Header=BB0_7 Depth=2
	ds_store_b32 v40, v36
.LBB0_41:                               ;   in Loop: Header=BB0_7 Depth=2
	s_and_not1_saveexec_b32 s6, s6
	s_cbranch_execz .LBB0_43
; %bb.42:                               ;   in Loop: Header=BB0_7 Depth=2
	global_load_b32 v32, v[22:23], off offset:-64
	s_waitcnt vmcnt(0)
	ds_store_b32 v40, v32
.LBB0_43:                               ;   in Loop: Header=BB0_7 Depth=2
	s_or_b32 exec_lo, exec_lo, s6
	v_cmp_gt_i64_e64 s6, s[22:23], v[30:31]
	s_delay_alu instid0(VALU_DEP_1) | instskip(NEXT) | instid1(SALU_CYCLE_1)
	s_and_b32 s7, vcc_lo, s6
	s_xor_b32 s7, s7, -1
	s_delay_alu instid0(SALU_CYCLE_1) | instskip(NEXT) | instid1(SALU_CYCLE_1)
	s_and_saveexec_b32 s8, s7
	s_xor_b32 s7, exec_lo, s8
	s_cbranch_execz .LBB0_45
; %bb.44:                               ;   in Loop: Header=BB0_7 Depth=2
	ds_store_b32 v40, v36 offset:64
.LBB0_45:                               ;   in Loop: Header=BB0_7 Depth=2
	s_and_not1_saveexec_b32 s7, s7
	s_cbranch_execz .LBB0_47
; %bb.46:                               ;   in Loop: Header=BB0_7 Depth=2
	global_load_b32 v30, v[22:23], off
	s_waitcnt vmcnt(0)
	ds_store_b32 v40, v30 offset:64
.LBB0_47:                               ;   in Loop: Header=BB0_7 Depth=2
	s_or_b32 exec_lo, exec_lo, s7
	s_and_b32 s5, s4, s5
	s_delay_alu instid0(SALU_CYCLE_1) | instskip(NEXT) | instid1(SALU_CYCLE_1)
	s_xor_b32 s5, s5, -1
	s_and_saveexec_b32 s7, s5
	s_delay_alu instid0(SALU_CYCLE_1)
	s_xor_b32 s5, exec_lo, s7
	s_cbranch_execz .LBB0_49
; %bb.48:                               ;   in Loop: Header=BB0_7 Depth=2
	ds_store_b32 v40, v36 offset:2048
.LBB0_49:                               ;   in Loop: Header=BB0_7 Depth=2
	s_and_not1_saveexec_b32 s5, s5
	s_cbranch_execz .LBB0_51
; %bb.50:                               ;   in Loop: Header=BB0_7 Depth=2
	global_load_b32 v30, v[24:25], off offset:-64
	s_waitcnt vmcnt(0)
	ds_store_b32 v40, v30 offset:2048
.LBB0_51:                               ;   in Loop: Header=BB0_7 Depth=2
	s_or_b32 exec_lo, exec_lo, s5
	s_and_b32 s5, s4, s6
	s_delay_alu instid0(SALU_CYCLE_1) | instskip(NEXT) | instid1(SALU_CYCLE_1)
	s_xor_b32 s5, s5, -1
	s_and_saveexec_b32 s6, s5
	s_delay_alu instid0(SALU_CYCLE_1)
	s_xor_b32 s5, exec_lo, s6
	s_cbranch_execz .LBB0_53
; %bb.52:                               ;   in Loop: Header=BB0_7 Depth=2
	ds_store_b32 v40, v36 offset:2112
.LBB0_53:                               ;   in Loop: Header=BB0_7 Depth=2
	s_and_not1_saveexec_b32 s5, s5
	s_cbranch_execz .LBB0_6
; %bb.54:                               ;   in Loop: Header=BB0_7 Depth=2
	global_load_b32 v30, v[24:25], off
	s_waitcnt vmcnt(0)
	ds_store_b32 v40, v30 offset:2112
	s_branch .LBB0_6
.LBB0_55:                               ;   in Loop: Header=BB0_4 Depth=1
	s_delay_alu instid0(VALU_DEP_1) | instskip(SKIP_3) | instid1(VALU_DEP_2)
	v_mul_lo_u32 v24, v44, s16
	v_mul_lo_u32 v25, v42, s17
	v_mad_u64_u32 v[22:23], null, v42, s16, 0
	v_cmp_gt_i32_e32 vcc_lo, s10, v42
	v_add3_u32 v23, v23, v25, v24
	s_delay_alu instid0(VALU_DEP_1) | instskip(NEXT) | instid1(VALU_DEP_1)
	v_lshlrev_b64 v[22:23], 2, v[22:23]
	v_add_co_u32 v22, s4, s35, v22
	s_delay_alu instid0(VALU_DEP_1) | instskip(SKIP_1) | instid1(SALU_CYCLE_1)
	v_add_co_ci_u32_e64 v23, s4, s40, v23, s4
	s_and_b32 s4, s2, vcc_lo
	s_and_saveexec_b32 s5, s4
	s_cbranch_execz .LBB0_57
; %bb.56:                               ;   in Loop: Header=BB0_4 Depth=1
	v_add_co_u32 v24, s4, v22, v20
	s_delay_alu instid0(VALU_DEP_1)
	v_add_co_ci_u32_e64 v25, s4, v23, v21, s4
	global_load_b32 v26, v[24:25], off
	s_waitcnt vmcnt(0)
	v_fmac_f32_e32 v26, s33, v46
	global_store_b32 v[24:25], v26, off
.LBB0_57:                               ;   in Loop: Header=BB0_4 Depth=1
	s_or_b32 exec_lo, exec_lo, s5
	s_and_b32 s5, s3, vcc_lo
	s_delay_alu instid0(SALU_CYCLE_1)
	s_and_saveexec_b32 s4, s5
	s_cbranch_execz .LBB0_59
; %bb.58:                               ;   in Loop: Header=BB0_4 Depth=1
	v_lshlrev_b64 v[24:25], 2, v[6:7]
	s_delay_alu instid0(VALU_DEP_1) | instskip(NEXT) | instid1(VALU_DEP_2)
	v_add_co_u32 v22, vcc_lo, v22, v24
	v_add_co_ci_u32_e32 v23, vcc_lo, v23, v25, vcc_lo
	global_load_b32 v24, v[22:23], off
	s_waitcnt vmcnt(0)
	v_fmac_f32_e32 v24, s33, v45
	global_store_b32 v[22:23], v24, off
.LBB0_59:                               ;   in Loop: Header=BB0_4 Depth=1
	s_or_b32 exec_lo, exec_lo, s4
	v_add_nc_u32_e32 v24, 16, v42
	s_delay_alu instid0(VALU_DEP_1) | instskip(SKIP_3) | instid1(VALU_DEP_4)
	v_ashrrev_i32_e32 v25, 31, v24
	v_mul_lo_u32 v26, v24, s17
	v_mad_u64_u32 v[22:23], null, v24, s16, 0
	v_cmp_gt_i32_e32 vcc_lo, s10, v24
	v_mul_lo_u32 v25, v25, s16
	s_delay_alu instid0(VALU_DEP_1) | instskip(NEXT) | instid1(VALU_DEP_1)
	v_add3_u32 v23, v23, v26, v25
	v_lshlrev_b64 v[22:23], 2, v[22:23]
	s_delay_alu instid0(VALU_DEP_1) | instskip(NEXT) | instid1(VALU_DEP_1)
	v_add_co_u32 v22, s4, s35, v22
	v_add_co_ci_u32_e64 v23, s4, s40, v23, s4
	s_and_b32 s4, s2, vcc_lo
	s_delay_alu instid0(SALU_CYCLE_1)
	s_and_saveexec_b32 s5, s4
	s_cbranch_execz .LBB0_61
; %bb.60:                               ;   in Loop: Header=BB0_4 Depth=1
	v_add_co_u32 v24, s4, v22, v20
	s_delay_alu instid0(VALU_DEP_1)
	v_add_co_ci_u32_e64 v25, s4, v23, v21, s4
	global_load_b32 v26, v[24:25], off
	s_waitcnt vmcnt(0)
	v_fmac_f32_e32 v26, s33, v43
	global_store_b32 v[24:25], v26, off
.LBB0_61:                               ;   in Loop: Header=BB0_4 Depth=1
	s_or_b32 exec_lo, exec_lo, s5
	s_and_b32 s5, s3, vcc_lo
	s_delay_alu instid0(SALU_CYCLE_1)
	s_and_saveexec_b32 s4, s5
	s_cbranch_execz .LBB0_3
; %bb.62:                               ;   in Loop: Header=BB0_4 Depth=1
	v_lshlrev_b64 v[24:25], 2, v[6:7]
	s_delay_alu instid0(VALU_DEP_1) | instskip(NEXT) | instid1(VALU_DEP_2)
	v_add_co_u32 v22, vcc_lo, v22, v24
	v_add_co_ci_u32_e32 v23, vcc_lo, v23, v25, vcc_lo
	global_load_b32 v24, v[22:23], off
	s_waitcnt vmcnt(0)
	v_fmac_f32_e32 v24, s33, v19
	global_store_b32 v[22:23], v24, off
	s_branch .LBB0_3
.LBB0_63:
	s_nop 0
	s_sendmsg sendmsg(MSG_DEALLOC_VGPRS)
	s_endpgm
	.section	.rodata,"a",@progbits
	.p2align	6, 0x0
	.amdhsa_kernel _ZL30rocblas_trmm_outofplace_kernelIfLi32ELi2ELb1ELb0ELb0ELb0EPKfS0_fEv17rocblas_diagonal_iiT6_lPT7_lllS5_lllPT8_llli
		.amdhsa_group_segment_fixed_size 8192
		.amdhsa_private_segment_fixed_size 0
		.amdhsa_kernarg_size 392
		.amdhsa_user_sgpr_count 13
		.amdhsa_user_sgpr_dispatch_ptr 0
		.amdhsa_user_sgpr_queue_ptr 0
		.amdhsa_user_sgpr_kernarg_segment_ptr 1
		.amdhsa_user_sgpr_dispatch_id 0
		.amdhsa_user_sgpr_private_segment_size 0
		.amdhsa_wavefront_size32 1
		.amdhsa_uses_dynamic_stack 0
		.amdhsa_enable_private_segment 0
		.amdhsa_system_sgpr_workgroup_id_x 1
		.amdhsa_system_sgpr_workgroup_id_y 1
		.amdhsa_system_sgpr_workgroup_id_z 1
		.amdhsa_system_sgpr_workgroup_info 0
		.amdhsa_system_vgpr_workitem_id 1
		.amdhsa_next_free_vgpr 96
		.amdhsa_next_free_sgpr 45
		.amdhsa_reserve_vcc 1
		.amdhsa_float_round_mode_32 0
		.amdhsa_float_round_mode_16_64 0
		.amdhsa_float_denorm_mode_32 3
		.amdhsa_float_denorm_mode_16_64 3
		.amdhsa_dx10_clamp 1
		.amdhsa_ieee_mode 1
		.amdhsa_fp16_overflow 0
		.amdhsa_workgroup_processor_mode 1
		.amdhsa_memory_ordered 1
		.amdhsa_forward_progress 0
		.amdhsa_shared_vgpr_count 0
		.amdhsa_exception_fp_ieee_invalid_op 0
		.amdhsa_exception_fp_denorm_src 0
		.amdhsa_exception_fp_ieee_div_zero 0
		.amdhsa_exception_fp_ieee_overflow 0
		.amdhsa_exception_fp_ieee_underflow 0
		.amdhsa_exception_fp_ieee_inexact 0
		.amdhsa_exception_int_div_zero 0
	.end_amdhsa_kernel
	.section	.text._ZL30rocblas_trmm_outofplace_kernelIfLi32ELi2ELb1ELb0ELb0ELb0EPKfS0_fEv17rocblas_diagonal_iiT6_lPT7_lllS5_lllPT8_llli,"axG",@progbits,_ZL30rocblas_trmm_outofplace_kernelIfLi32ELi2ELb1ELb0ELb0ELb0EPKfS0_fEv17rocblas_diagonal_iiT6_lPT7_lllS5_lllPT8_llli,comdat
.Lfunc_end0:
	.size	_ZL30rocblas_trmm_outofplace_kernelIfLi32ELi2ELb1ELb0ELb0ELb0EPKfS0_fEv17rocblas_diagonal_iiT6_lPT7_lllS5_lllPT8_llli, .Lfunc_end0-_ZL30rocblas_trmm_outofplace_kernelIfLi32ELi2ELb1ELb0ELb0ELb0EPKfS0_fEv17rocblas_diagonal_iiT6_lPT7_lllS5_lllPT8_llli
                                        ; -- End function
	.section	.AMDGPU.csdata,"",@progbits
; Kernel info:
; codeLenInByte = 3472
; NumSgprs: 47
; NumVgprs: 96
; ScratchSize: 0
; MemoryBound: 0
; FloatMode: 240
; IeeeMode: 1
; LDSByteSize: 8192 bytes/workgroup (compile time only)
; SGPRBlocks: 5
; VGPRBlocks: 11
; NumSGPRsForWavesPerEU: 47
; NumVGPRsForWavesPerEU: 96
; Occupancy: 16
; WaveLimiterHint : 0
; COMPUTE_PGM_RSRC2:SCRATCH_EN: 0
; COMPUTE_PGM_RSRC2:USER_SGPR: 13
; COMPUTE_PGM_RSRC2:TRAP_HANDLER: 0
; COMPUTE_PGM_RSRC2:TGID_X_EN: 1
; COMPUTE_PGM_RSRC2:TGID_Y_EN: 1
; COMPUTE_PGM_RSRC2:TGID_Z_EN: 1
; COMPUTE_PGM_RSRC2:TIDIG_COMP_CNT: 1
	.section	.text._ZL30rocblas_trmm_outofplace_kernelIfLi32ELi2ELb1ELb0ELb0ELb0EfKffEv17rocblas_diagonal_iiT6_lPT7_lllS4_lllPT8_llli,"axG",@progbits,_ZL30rocblas_trmm_outofplace_kernelIfLi32ELi2ELb1ELb0ELb0ELb0EfKffEv17rocblas_diagonal_iiT6_lPT7_lllS4_lllPT8_llli,comdat
	.globl	_ZL30rocblas_trmm_outofplace_kernelIfLi32ELi2ELb1ELb0ELb0ELb0EfKffEv17rocblas_diagonal_iiT6_lPT7_lllS4_lllPT8_llli ; -- Begin function _ZL30rocblas_trmm_outofplace_kernelIfLi32ELi2ELb1ELb0ELb0ELb0EfKffEv17rocblas_diagonal_iiT6_lPT7_lllS4_lllPT8_llli
	.p2align	8
	.type	_ZL30rocblas_trmm_outofplace_kernelIfLi32ELi2ELb1ELb0ELb0ELb0EfKffEv17rocblas_diagonal_iiT6_lPT7_lllS4_lllPT8_llli,@function
_ZL30rocblas_trmm_outofplace_kernelIfLi32ELi2ELb1ELb0ELb0ELb0EfKffEv17rocblas_diagonal_iiT6_lPT7_lllS4_lllPT8_llli: ; @_ZL30rocblas_trmm_outofplace_kernelIfLi32ELi2ELb1ELb0ELb0ELb0EfKffEv17rocblas_diagonal_iiT6_lPT7_lllS4_lllPT8_llli
; %bb.0:
	s_load_b128 s[8:11], s[0:1], 0x0
	s_waitcnt lgkmcnt(0)
	v_cmp_eq_f32_e64 s2, s11, 0
	s_delay_alu instid0(VALU_DEP_1)
	s_and_b32 vcc_lo, exec_lo, s2
	s_cbranch_vccnz .LBB1_63
; %bb.1:
	s_add_i32 s2, s10, -1
	s_delay_alu instid0(SALU_CYCLE_1) | instskip(NEXT) | instid1(SALU_CYCLE_1)
	s_ashr_i32 s3, s2, 31
	s_lshr_b32 s3, s3, 27
	s_delay_alu instid0(SALU_CYCLE_1) | instskip(NEXT) | instid1(SALU_CYCLE_1)
	s_add_i32 s2, s2, s3
	s_ashr_i32 s33, s2, 5
	s_delay_alu instid0(SALU_CYCLE_1)
	s_cmp_gt_i32 s14, s33
	s_cbranch_scc1 .LBB1_63
; %bb.2:
	s_clause 0x1
	s_load_b512 s[16:31], s[0:1], 0x18
	s_load_b256 s[36:43], s[0:1], 0x58
	v_bfe_u32 v34, v0, 10, 10
	v_dual_mov_b32 v35, 0 :: v_dual_and_b32 v36, 0x3ff, v0
	s_mov_b32 s12, s9
	s_delay_alu instid0(VALU_DEP_2) | instskip(SKIP_2) | instid1(VALU_DEP_3)
	v_dual_mov_b32 v41, 1.0 :: v_dual_lshlrev_b32 v6, 7, v34
	v_lshl_add_u32 v14, v34, 2, 64
	v_lshl_add_u32 v18, s14, 5, v34
	v_add_nc_u32_e32 v38, 0x1000, v6
	s_waitcnt lgkmcnt(0)
	s_mul_i32 s3, s15, s23
	s_mul_hi_u32 s4, s15, s22
	s_mul_i32 s2, s15, s22
	s_add_i32 s3, s4, s3
	v_mad_u64_u32 v[2:3], null, v34, s20, 0
	s_lshl_b64 s[4:5], s[2:3], 2
	s_mul_i32 s22, s15, s43
	s_add_u32 s3, s16, s4
	s_addc_u32 s34, s17, s5
	s_lshl_b64 s[6:7], s[18:19], 2
	s_mul_hi_u32 s23, s15, s42
	s_mul_i32 s2, s15, s42
	s_add_u32 s42, s3, s6
	s_addc_u32 s43, s34, s7
	s_add_i32 s3, s23, s22
	v_dual_mov_b32 v0, v3 :: v_dual_lshlrev_b32 v37, 2, v36
	s_lshl_b64 s[2:3], s[2:3], 2
	s_delay_alu instid0(SALU_CYCLE_1)
	s_add_u32 s18, s36, s2
	s_addc_u32 s19, s37, s3
	s_lshl_b64 s[2:3], s[38:39], 2
	v_mad_u64_u32 v[3:4], null, v34, s21, v[0:1]
	s_add_u32 s34, s18, s2
	s_addc_u32 s35, s19, s3
	s_lshl_b32 s36, s13, 5
	s_cmp_gt_i32 s13, -1
	v_add_nc_u32_e32 v0, s36, v36
	s_cselect_b32 s37, -1, 0
	s_delay_alu instid0(VALU_DEP_2)
	v_lshlrev_b64 v[4:5], 2, v[2:3]
	s_cmpk_eq_i32 s8, 0x84
	s_mul_i32 s2, s31, s15
	v_ashrrev_i32_e32 v1, 31, v0
	v_add_co_u32 v2, vcc_lo, v0, 16
	s_cselect_b32 s38, -1, 0
	s_ashr_i32 s13, s9, 31
	s_delay_alu instid0(VALU_DEP_2)
	v_add_co_ci_u32_e32 v3, vcc_lo, 0, v1, vcc_lo
	v_add_co_u32 v4, vcc_lo, s42, v4
	s_load_b32 s42, s[0:1], 0x84
	s_ashr_i32 s39, s10, 31
	s_lshl_b64 s[18:19], s[20:21], 7
	s_mul_hi_u32 s3, s30, s15
	s_add_u32 s22, s9, -16
	v_add_nc_u32_e32 v39, v37, v6
	s_addc_u32 s23, s13, -1
	v_add_nc_u32_e32 v6, 16, v0
	s_add_i32 s31, s3, s2
	s_mul_i32 s30, s30, s15
	s_lshl_b64 s[26:27], s[26:27], 2
	s_lshl_b64 s[30:31], s[30:31], 2
	v_cmp_le_i32_e64 s0, s9, v0
	s_add_u32 s8, s30, s26
	v_cmp_gt_i32_e64 s2, s9, v0
	v_cmp_gt_i32_e64 s3, s9, v6
	s_addc_u32 s9, s31, s27
	s_add_u32 s8, s24, s8
	s_addc_u32 s15, s25, s9
	s_lshl_b64 s[24:25], s[28:29], 2
	s_waitcnt lgkmcnt(0)
	s_lshl_b32 s9, s42, 5
	s_add_u32 s6, s16, s6
	s_addc_u32 s7, s17, s7
	s_add_u32 s4, s6, s4
	s_addc_u32 s5, s7, s5
	v_add_co_ci_u32_e32 v5, vcc_lo, s43, v5, vcc_lo
	v_mad_u64_u32 v[8:9], null, s20, v14, s[4:5]
	v_sub_co_u32 v10, vcc_lo, v0, v34
	v_subrev_co_ci_u32_e32 v11, vcc_lo, 0, v1, vcc_lo
	v_add_co_u32 v16, s4, s8, v37
	s_delay_alu instid0(VALU_DEP_3) | instskip(SKIP_1) | instid1(VALU_DEP_4)
	v_add_co_u32 v12, vcc_lo, v10, 16
	v_mad_u64_u32 v[19:20], null, s21, v14, v[9:10]
	v_add_co_ci_u32_e32 v13, vcc_lo, 0, v11, vcc_lo
	v_add_co_ci_u32_e64 v17, null, s15, 0, s4
	v_add_co_u32 v14, vcc_lo, v10, -16
	v_add_co_ci_u32_e32 v15, vcc_lo, -1, v11, vcc_lo
	v_add_co_u32 v16, vcc_lo, v16, 64
	v_cmp_le_i64_e64 s1, s[12:13], v[2:3]
	v_lshlrev_b64 v[20:21], 2, v[0:1]
	v_add_nc_u32_e32 v40, v38, v37
	v_ashrrev_i32_e32 v7, 31, v6
	v_add_co_ci_u32_e32 v17, vcc_lo, 0, v17, vcc_lo
	v_mov_b32_e32 v9, v19
	s_mov_b32 s15, s10
	s_branch .LBB1_4
.LBB1_3:                                ;   in Loop: Header=BB1_4 Depth=1
	s_or_b32 exec_lo, exec_lo, s4
	v_add_nc_u32_e32 v18, s9, v18
	s_add_i32 s14, s42, s14
	s_delay_alu instid0(SALU_CYCLE_1)
	s_cmp_le_i32 s14, s33
	s_cbranch_scc0 .LBB1_63
.LBB1_4:                                ; =>This Loop Header: Depth=1
                                        ;     Child Loop BB1_7 Depth 2
	v_lshl_add_u32 v42, s14, 5, v34
	v_dual_mov_b32 v46, 0 :: v_dual_mov_b32 v45, 0
	v_mov_b32_e32 v43, 0
	v_mov_b32_e32 v19, 0
	s_delay_alu instid0(VALU_DEP_4)
	v_ashrrev_i32_e32 v44, 31, v42
	s_and_not1_b32 vcc_lo, exec_lo, s37
	s_cbranch_vccnz .LBB1_55
; %bb.5:                                ;   in Loop: Header=BB1_4 Depth=1
	v_ashrrev_i32_e32 v19, 31, v18
	v_mad_u64_u32 v[22:23], null, s24, v18, v[16:17]
	v_mul_lo_u32 v32, s25, v18
	v_dual_mov_b32 v29, v5 :: v_dual_mov_b32 v46, 0
	s_delay_alu instid0(VALU_DEP_4) | instskip(SKIP_4) | instid1(VALU_DEP_4)
	v_lshlrev_b64 v[24:25], 2, v[18:19]
	v_mul_lo_u32 v33, s24, v19
	v_mov_b32_e32 v19, 0
	s_mov_b64 s[16:17], 0
	v_mov_b32_e32 v28, v4
	v_add_co_u32 v26, vcc_lo, v24, 64
	v_add_co_ci_u32_e32 v24, vcc_lo, 0, v25, vcc_lo
	v_sub_co_u32 v30, vcc_lo, s15, v42
	s_delay_alu instid0(VALU_DEP_3) | instskip(NEXT) | instid1(VALU_DEP_3)
	v_mul_lo_u32 v45, s29, v26
	v_mul_lo_u32 v43, s28, v24
	v_mad_u64_u32 v[24:25], null, s28, v26, v[16:17]
	v_sub_co_ci_u32_e32 v31, vcc_lo, s39, v44, vcc_lo
	v_dual_mov_b32 v27, v9 :: v_dual_mov_b32 v26, v8
	v_add3_u32 v23, v32, v23, v33
	s_delay_alu instid0(VALU_DEP_3)
	v_cmp_lt_i64_e32 vcc_lo, 0, v[30:31]
	v_cmp_lt_i64_e64 s4, 16, v[30:31]
	v_add3_u32 v25, v45, v25, v43
	v_mov_b32_e32 v43, 0
	v_mov_b32_e32 v45, 0
	s_branch .LBB1_7
.LBB1_6:                                ;   in Loop: Header=BB1_7 Depth=2
	s_or_b32 exec_lo, exec_lo, s5
	s_waitcnt lgkmcnt(0)
	s_waitcnt_vscnt null, 0x0
	s_barrier
	buffer_gl0_inv
	ds_load_2addr_b32 v[74:75], v37 offset1:16
	ds_load_b128 v[30:33], v38
	ds_load_b128 v[47:50], v38 offset:2048
	ds_load_2addr_b32 v[76:77], v37 offset0:32 offset1:48
	ds_load_b128 v[51:54], v38 offset:16
	ds_load_2addr_b32 v[82:83], v37 offset0:64 offset1:80
	ds_load_b128 v[55:58], v38 offset:32
	ds_load_b128 v[59:62], v38 offset:48
	ds_load_2addr_b32 v[84:85], v37 offset0:96 offset1:112
	ds_load_2addr_b32 v[86:87], v37 offset0:128 offset1:144
	ds_load_b128 v[63:66], v38 offset:2064
	ds_load_2addr_b32 v[88:89], v37 offset0:160 offset1:176
	ds_load_2addr_b32 v[90:91], v37 offset0:192 offset1:208
	;; [unrolled: 1-line block ×3, first 2 shown]
	v_add_nc_u32_e32 v94, 0x400, v37
	v_add_co_u32 v22, s5, 0x80, v22
	s_delay_alu instid0(VALU_DEP_1)
	v_add_co_ci_u32_e64 v23, s5, 0, v23, s5
	v_add_co_u32 v28, s5, v28, s18
	s_waitcnt lgkmcnt(12)
	v_fmac_f32_e32 v45, v75, v30
	s_waitcnt lgkmcnt(11)
	v_dual_fmac_f32 v46, v74, v30 :: v_dual_fmac_f32 v19, v75, v47
	v_add_nc_u32_e32 v95, 0x800, v37
	v_add_co_ci_u32_e64 v29, s5, s19, v29, s5
	s_waitcnt lgkmcnt(10)
	s_delay_alu instid0(VALU_DEP_3) | instskip(SKIP_2) | instid1(VALU_DEP_1)
	v_fmac_f32_e32 v46, v76, v31
	v_fmac_f32_e32 v45, v77, v31
	v_add_co_u32 v26, s5, v26, s18
	v_add_co_ci_u32_e64 v27, s5, s19, v27, s5
	s_waitcnt lgkmcnt(8)
	v_fmac_f32_e32 v46, v82, v32
	v_fmac_f32_e32 v43, v74, v47
	ds_load_b128 v[67:70], v38 offset:2080
	ds_load_b128 v[71:74], v38 offset:2096
	v_add_co_u32 v24, s5, 0x80, v24
	s_waitcnt lgkmcnt(7)
	v_fmac_f32_e32 v46, v84, v33
	v_fmac_f32_e32 v43, v76, v48
	s_add_u32 s16, s16, 32
	v_add_co_ci_u32_e64 v25, s5, 0, v25, s5
	s_waitcnt lgkmcnt(6)
	v_fmac_f32_e32 v46, v86, v51
	v_fmac_f32_e32 v43, v82, v49
	s_addc_u32 s17, s17, 0
	s_sub_i32 s6, s16, 32
	s_waitcnt lgkmcnt(4)
	v_fmac_f32_e32 v46, v88, v52
	v_fmac_f32_e32 v19, v77, v48
	ds_load_b128 v[75:78], v38 offset:64
	ds_load_b128 v[79:82], v38 offset:80
	ds_load_2addr_b32 v[30:31], v94 offset1:16
	ds_load_2addr_b32 v[47:48], v94 offset0:64 offset1:80
	s_waitcnt lgkmcnt(7)
	v_dual_fmac_f32 v46, v90, v53 :: v_dual_fmac_f32 v45, v83, v32
	s_cmp_ge_i32 s6, s36
	s_waitcnt lgkmcnt(6)
	s_delay_alu instid0(VALU_DEP_1) | instskip(SKIP_1) | instid1(VALU_DEP_1)
	v_dual_fmac_f32 v46, v92, v54 :: v_dual_fmac_f32 v19, v83, v49
	s_waitcnt lgkmcnt(1)
	v_dual_fmac_f32 v46, v30, v55 :: v_dual_fmac_f32 v45, v85, v33
	ds_load_2addr_b32 v[32:33], v94 offset0:32 offset1:48
	s_waitcnt lgkmcnt(0)
	v_fmac_f32_e32 v46, v32, v56
	s_delay_alu instid0(VALU_DEP_1) | instskip(SKIP_1) | instid1(VALU_DEP_1)
	v_dual_fmac_f32 v43, v84, v50 :: v_dual_fmac_f32 v46, v47, v57
	v_fmac_f32_e32 v45, v87, v51
	v_fmac_f32_e32 v45, v89, v52
	ds_load_2addr_b32 v[51:52], v94 offset0:128 offset1:144
	v_fmac_f32_e32 v19, v85, v50
	ds_load_2addr_b32 v[49:50], v94 offset0:96 offset1:112
	v_fmac_f32_e32 v45, v91, v53
	s_delay_alu instid0(VALU_DEP_1) | instskip(SKIP_2) | instid1(VALU_DEP_1)
	v_fmac_f32_e32 v45, v93, v54
	ds_load_2addr_b32 v[53:54], v94 offset0:160 offset1:176
	v_fmac_f32_e32 v45, v31, v55
	v_fmac_f32_e32 v45, v33, v56
	ds_load_2addr_b32 v[55:56], v94 offset0:192 offset1:208
	s_waitcnt lgkmcnt(2)
	v_dual_fmac_f32 v46, v49, v58 :: v_dual_fmac_f32 v45, v48, v57
	s_delay_alu instid0(VALU_DEP_1) | instskip(SKIP_2) | instid1(VALU_DEP_4)
	v_fmac_f32_e32 v46, v51, v59
	v_fmac_f32_e32 v43, v86, v63
	;; [unrolled: 1-line block ×4, first 2 shown]
	ds_load_2addr_b32 v[57:58], v95 offset1:16
	s_waitcnt lgkmcnt(2)
	v_fmac_f32_e32 v46, v53, v60
	v_fmac_f32_e32 v19, v89, v64
	;; [unrolled: 1-line block ×3, first 2 shown]
	s_delay_alu instid0(VALU_DEP_2)
	v_fmac_f32_e32 v19, v91, v65
	s_waitcnt lgkmcnt(1)
	v_dual_fmac_f32 v46, v55, v61 :: v_dual_fmac_f32 v43, v88, v64
	ds_load_2addr_b32 v[63:64], v94 offset0:224 offset1:240
	v_fmac_f32_e32 v45, v54, v60
	v_fmac_f32_e32 v19, v93, v66
	ds_load_2addr_b32 v[59:60], v95 offset0:128 offset1:144
	v_fmac_f32_e32 v45, v56, v61
	v_fmac_f32_e32 v19, v31, v67
	s_delay_alu instid0(VALU_DEP_1) | instskip(SKIP_1) | instid1(VALU_DEP_1)
	v_fmac_f32_e32 v19, v33, v68
	s_waitcnt lgkmcnt(1)
	v_dual_fmac_f32 v19, v48, v69 :: v_dual_fmac_f32 v46, v63, v62
	v_fmac_f32_e32 v45, v64, v62
	ds_load_2addr_b32 v[61:62], v95 offset0:192 offset1:208
	v_dual_fmac_f32 v19, v50, v70 :: v_dual_fmac_f32 v46, v57, v75
	v_fmac_f32_e32 v43, v90, v65
	v_fmac_f32_e32 v45, v58, v75
	s_delay_alu instid0(VALU_DEP_3) | instskip(NEXT) | instid1(VALU_DEP_3)
	v_fmac_f32_e32 v19, v52, v71
	v_fmac_f32_e32 v43, v92, v66
	s_delay_alu instid0(VALU_DEP_2) | instskip(NEXT) | instid1(VALU_DEP_2)
	v_fmac_f32_e32 v19, v54, v72
	v_fmac_f32_e32 v43, v30, v67
	s_delay_alu instid0(VALU_DEP_2) | instskip(NEXT) | instid1(VALU_DEP_2)
	v_fmac_f32_e32 v19, v56, v73
	v_fmac_f32_e32 v43, v32, v68
	ds_load_b128 v[30:33], v38 offset:2112
	v_fmac_f32_e32 v19, v64, v74
	v_fmac_f32_e32 v43, v47, v69
	v_add_nc_u32_e32 v69, 0xc00, v37
	s_delay_alu instid0(VALU_DEP_2)
	v_fmac_f32_e32 v43, v49, v70
	ds_load_b128 v[47:50], v38 offset:2128
	v_fmac_f32_e32 v43, v51, v71
	ds_load_2addr_b32 v[51:52], v95 offset0:32 offset1:48
	v_fmac_f32_e32 v43, v53, v72
	ds_load_2addr_b32 v[53:54], v95 offset0:64 offset1:80
	s_waitcnt lgkmcnt(3)
	v_fmac_f32_e32 v19, v58, v30
	v_fmac_f32_e32 v43, v55, v73
	ds_load_2addr_b32 v[55:56], v95 offset0:96 offset1:112
	v_fmac_f32_e32 v43, v63, v74
	ds_load_2addr_b32 v[63:64], v95 offset0:224 offset1:240
	s_waitcnt lgkmcnt(3)
	v_dual_fmac_f32 v43, v57, v30 :: v_dual_fmac_f32 v46, v51, v76
	v_fmac_f32_e32 v45, v52, v76
	ds_load_2addr_b32 v[57:58], v95 offset0:160 offset1:176
	v_fmac_f32_e32 v19, v52, v31
	s_waitcnt lgkmcnt(3)
	v_dual_fmac_f32 v43, v51, v31 :: v_dual_fmac_f32 v46, v53, v77
	v_fmac_f32_e32 v45, v54, v77
	s_delay_alu instid0(VALU_DEP_3) | instskip(SKIP_1) | instid1(VALU_DEP_3)
	v_fmac_f32_e32 v19, v54, v32
	s_waitcnt lgkmcnt(2)
	v_dual_fmac_f32 v43, v53, v32 :: v_dual_fmac_f32 v46, v55, v78
	s_delay_alu instid0(VALU_DEP_3) | instskip(NEXT) | instid1(VALU_DEP_3)
	v_fmac_f32_e32 v45, v56, v78
	v_fmac_f32_e32 v19, v56, v33
	s_delay_alu instid0(VALU_DEP_3) | instskip(NEXT) | instid1(VALU_DEP_4)
	v_fmac_f32_e32 v43, v55, v33
	v_fmac_f32_e32 v46, v59, v79
	s_delay_alu instid0(VALU_DEP_4)
	v_fmac_f32_e32 v45, v60, v79
	ds_load_2addr_b32 v[65:66], v69 offset1:16
	ds_load_b128 v[30:33], v38 offset:96
	v_fmac_f32_e32 v19, v60, v47
	v_fmac_f32_e32 v43, v59, v47
	ds_load_b128 v[51:54], v38 offset:2144
	ds_load_2addr_b32 v[59:60], v69 offset0:32 offset1:48
	s_waitcnt lgkmcnt(4)
	v_fmac_f32_e32 v46, v57, v80
	v_fmac_f32_e32 v45, v58, v80
	;; [unrolled: 1-line block ×4, first 2 shown]
	ds_load_2addr_b32 v[67:68], v69 offset0:64 offset1:80
	v_fmac_f32_e32 v46, v61, v81
	v_fmac_f32_e32 v45, v62, v81
	;; [unrolled: 1-line block ×4, first 2 shown]
	ds_load_2addr_b32 v[61:62], v69 offset0:96 offset1:112
	v_fmac_f32_e32 v46, v63, v82
	v_fmac_f32_e32 v45, v64, v82
	;; [unrolled: 1-line block ×4, first 2 shown]
	ds_load_b128 v[47:50], v38 offset:112
	s_waitcnt lgkmcnt(5)
	v_fmac_f32_e32 v46, v65, v30
	v_fmac_f32_e32 v45, v66, v30
	ds_load_2addr_b32 v[63:64], v69 offset0:128 offset1:144
	ds_load_b128 v[55:58], v38 offset:2160
	s_waitcnt lgkmcnt(6)
	v_fmac_f32_e32 v43, v65, v51
	v_fmac_f32_e32 v19, v66, v51
	s_waitcnt lgkmcnt(5)
	v_fmac_f32_e32 v46, v59, v31
	ds_load_2addr_b32 v[65:66], v69 offset0:160 offset1:176
	v_fmac_f32_e32 v45, v60, v31
	v_fmac_f32_e32 v43, v59, v52
	v_fmac_f32_e32 v19, v60, v52
	s_waitcnt lgkmcnt(5)
	v_fmac_f32_e32 v46, v67, v32
	ds_load_2addr_b32 v[30:31], v69 offset0:192 offset1:208
	v_fmac_f32_e32 v45, v68, v32
	v_fmac_f32_e32 v43, v67, v53
	v_fmac_f32_e32 v19, v68, v53
	s_waitcnt lgkmcnt(5)
	v_fmac_f32_e32 v46, v61, v33
	ds_load_2addr_b32 v[51:52], v69 offset0:224 offset1:240
	v_fmac_f32_e32 v45, v62, v33
	v_fmac_f32_e32 v43, v61, v54
	v_fmac_f32_e32 v19, v62, v54
	s_waitcnt lgkmcnt(0)
	v_fmac_f32_e32 v46, v63, v47
	v_fmac_f32_e32 v45, v64, v47
	;; [unrolled: 1-line block ×4, first 2 shown]
	s_barrier
	v_fmac_f32_e32 v46, v65, v48
	v_fmac_f32_e32 v45, v66, v48
	;; [unrolled: 1-line block ×4, first 2 shown]
	buffer_gl0_inv
	v_fmac_f32_e32 v46, v30, v49
	v_fmac_f32_e32 v45, v31, v49
	;; [unrolled: 1-line block ×4, first 2 shown]
	s_delay_alu instid0(VALU_DEP_4) | instskip(NEXT) | instid1(VALU_DEP_4)
	v_fmac_f32_e32 v46, v51, v50
	v_fmac_f32_e32 v45, v52, v50
	s_delay_alu instid0(VALU_DEP_4) | instskip(NEXT) | instid1(VALU_DEP_4)
	v_fmac_f32_e32 v43, v51, v58
	v_fmac_f32_e32 v19, v52, v58
	s_cbranch_scc1 .LBB1_55
.LBB1_7:                                ;   Parent Loop BB1_4 Depth=1
                                        ; =>  This Inner Loop Header: Depth=2
	v_add_co_u32 v30, s5, v34, s16
	s_delay_alu instid0(VALU_DEP_1) | instskip(SKIP_1) | instid1(VALU_DEP_2)
	v_add_co_ci_u32_e64 v31, null, 0, s17, s5
	v_cmp_eq_u64_e64 s7, s[16:17], v[10:11]
	v_cmp_le_i64_e64 s6, s[12:13], v[30:31]
	v_cmp_gt_i64_e64 s5, v[30:31], v[0:1]
	s_delay_alu instid0(VALU_DEP_3) | instskip(NEXT) | instid1(VALU_DEP_1)
	s_and_b32 s21, s38, s7
	s_or_b32 s7, s6, s5
	s_delay_alu instid0(SALU_CYCLE_1) | instskip(SKIP_1) | instid1(VALU_DEP_1)
	s_or_b32 s8, s7, s21
	v_add_co_u32 v32, s7, v28, v20
	v_add_co_ci_u32_e64 v33, s7, v29, v21, s7
	s_or_b32 s7, s0, s8
	s_delay_alu instid0(SALU_CYCLE_1) | instskip(NEXT) | instid1(SALU_CYCLE_1)
	s_xor_b32 s7, s7, -1
	s_and_saveexec_b32 s8, s7
	s_delay_alu instid0(SALU_CYCLE_1)
	s_xor_b32 s7, exec_lo, s8
	s_cbranch_execz .LBB1_9
; %bb.8:                                ;   in Loop: Header=BB1_7 Depth=2
	global_load_b32 v47, v[32:33], off
	s_waitcnt vmcnt(0)
	ds_store_b32 v39, v47
.LBB1_9:                                ;   in Loop: Header=BB1_7 Depth=2
	s_or_saveexec_b32 s7, s7
	s_xor_b32 s20, s21, -1
	s_xor_b32 exec_lo, exec_lo, s7
	s_cbranch_execz .LBB1_15
; %bb.10:                               ;   in Loop: Header=BB1_7 Depth=2
	s_and_saveexec_b32 s8, s20
	s_delay_alu instid0(SALU_CYCLE_1)
	s_xor_b32 s8, exec_lo, s8
	s_cbranch_execz .LBB1_12
; %bb.11:                               ;   in Loop: Header=BB1_7 Depth=2
	ds_store_b32 v39, v35
.LBB1_12:                               ;   in Loop: Header=BB1_7 Depth=2
	s_and_not1_saveexec_b32 s8, s8
	s_cbranch_execz .LBB1_14
; %bb.13:                               ;   in Loop: Header=BB1_7 Depth=2
	ds_store_b32 v39, v41
.LBB1_14:                               ;   in Loop: Header=BB1_7 Depth=2
	s_or_b32 exec_lo, exec_lo, s8
.LBB1_15:                               ;   in Loop: Header=BB1_7 Depth=2
	s_delay_alu instid0(SALU_CYCLE_1) | instskip(SKIP_2) | instid1(VALU_DEP_2)
	s_or_b32 exec_lo, exec_lo, s7
	v_cmp_eq_u64_e64 s7, s[16:17], v[12:13]
	v_cmp_lt_i64_e64 s8, v[2:3], v[30:31]
	s_and_b32 s7, s38, s7
	s_delay_alu instid0(VALU_DEP_1) | instskip(NEXT) | instid1(SALU_CYCLE_1)
	s_or_b32 s6, s6, s8
	s_or_b32 s6, s6, s7
	s_delay_alu instid0(SALU_CYCLE_1) | instskip(NEXT) | instid1(SALU_CYCLE_1)
	s_or_b32 s6, s1, s6
	s_xor_b32 s6, s6, -1
	s_delay_alu instid0(SALU_CYCLE_1) | instskip(NEXT) | instid1(SALU_CYCLE_1)
	s_and_saveexec_b32 s8, s6
	s_xor_b32 s6, exec_lo, s8
	s_cbranch_execz .LBB1_17
; %bb.16:                               ;   in Loop: Header=BB1_7 Depth=2
	global_load_b32 v32, v[32:33], off offset:64
	s_waitcnt vmcnt(0)
	ds_store_b32 v39, v32 offset:64
.LBB1_17:                               ;   in Loop: Header=BB1_7 Depth=2
	s_and_not1_saveexec_b32 s6, s6
	s_cbranch_execz .LBB1_23
; %bb.18:                               ;   in Loop: Header=BB1_7 Depth=2
	s_xor_b32 s7, s7, -1
	s_delay_alu instid0(SALU_CYCLE_1) | instskip(NEXT) | instid1(SALU_CYCLE_1)
	s_and_saveexec_b32 s8, s7
	s_xor_b32 s7, exec_lo, s8
	s_cbranch_execz .LBB1_20
; %bb.19:                               ;   in Loop: Header=BB1_7 Depth=2
	ds_store_b32 v39, v35 offset:64
.LBB1_20:                               ;   in Loop: Header=BB1_7 Depth=2
	s_and_not1_saveexec_b32 s7, s7
	s_cbranch_execz .LBB1_22
; %bb.21:                               ;   in Loop: Header=BB1_7 Depth=2
	ds_store_b32 v39, v41 offset:64
.LBB1_22:                               ;   in Loop: Header=BB1_7 Depth=2
	s_or_b32 exec_lo, exec_lo, s7
.LBB1_23:                               ;   in Loop: Header=BB1_7 Depth=2
	s_delay_alu instid0(SALU_CYCLE_1) | instskip(SKIP_1) | instid1(VALU_DEP_1)
	s_or_b32 exec_lo, exec_lo, s6
	v_add_co_u32 v30, s6, v30, 16
	v_add_co_ci_u32_e64 v31, s6, 0, v31, s6
	v_cmp_eq_u64_e64 s7, s[16:17], v[14:15]
	s_delay_alu instid0(VALU_DEP_2) | instskip(SKIP_1) | instid1(VALU_DEP_3)
	v_cmp_le_i64_e64 s6, s[12:13], v[30:31]
	v_cmp_gt_i64_e64 s8, v[30:31], v[0:1]
	s_and_b32 s26, s38, s7
	s_delay_alu instid0(VALU_DEP_1) | instskip(NEXT) | instid1(SALU_CYCLE_1)
	s_or_b32 s7, s6, s8
	s_or_b32 s7, s7, s26
	s_delay_alu instid0(SALU_CYCLE_1) | instskip(NEXT) | instid1(SALU_CYCLE_1)
	s_or_b32 s7, s0, s7
	s_xor_b32 s7, s7, -1
	s_delay_alu instid0(SALU_CYCLE_1) | instskip(NEXT) | instid1(SALU_CYCLE_1)
	s_and_saveexec_b32 s8, s7
	s_xor_b32 s8, exec_lo, s8
	s_cbranch_execz .LBB1_25
; %bb.24:                               ;   in Loop: Header=BB1_7 Depth=2
	v_add_co_u32 v30, s7, v26, v20
	s_delay_alu instid0(VALU_DEP_1)
	v_add_co_ci_u32_e64 v31, s7, v27, v21, s7
	global_load_b32 v30, v[30:31], off
	s_waitcnt vmcnt(0)
	ds_store_b32 v39, v30 offset:2048
.LBB1_25:                               ;   in Loop: Header=BB1_7 Depth=2
	s_and_not1_saveexec_b32 s7, s8
	s_cbranch_execz .LBB1_31
; %bb.26:                               ;   in Loop: Header=BB1_7 Depth=2
	s_xor_b32 s8, s26, -1
	s_delay_alu instid0(SALU_CYCLE_1) | instskip(NEXT) | instid1(SALU_CYCLE_1)
	s_and_saveexec_b32 s26, s8
	s_xor_b32 s8, exec_lo, s26
	s_cbranch_execz .LBB1_28
; %bb.27:                               ;   in Loop: Header=BB1_7 Depth=2
	ds_store_b32 v39, v35 offset:2048
.LBB1_28:                               ;   in Loop: Header=BB1_7 Depth=2
	s_and_not1_saveexec_b32 s8, s8
	s_cbranch_execz .LBB1_30
; %bb.29:                               ;   in Loop: Header=BB1_7 Depth=2
	ds_store_b32 v39, v41 offset:2048
.LBB1_30:                               ;   in Loop: Header=BB1_7 Depth=2
	s_or_b32 exec_lo, exec_lo, s8
.LBB1_31:                               ;   in Loop: Header=BB1_7 Depth=2
	s_delay_alu instid0(SALU_CYCLE_1) | instskip(SKIP_1) | instid1(SALU_CYCLE_1)
	s_or_b32 exec_lo, exec_lo, s7
	s_or_b32 s5, s6, s5
	s_or_b32 s5, s5, s21
	s_delay_alu instid0(SALU_CYCLE_1) | instskip(NEXT) | instid1(SALU_CYCLE_1)
	s_or_b32 s5, s1, s5
	s_xor_b32 s5, s5, -1
	s_delay_alu instid0(SALU_CYCLE_1) | instskip(NEXT) | instid1(SALU_CYCLE_1)
	s_and_saveexec_b32 s6, s5
	s_xor_b32 s6, exec_lo, s6
	s_cbranch_execz .LBB1_33
; %bb.32:                               ;   in Loop: Header=BB1_7 Depth=2
	v_add_co_u32 v30, s5, v26, v20
	s_delay_alu instid0(VALU_DEP_1)
	v_add_co_ci_u32_e64 v31, s5, v27, v21, s5
	global_load_b32 v30, v[30:31], off offset:64
	s_waitcnt vmcnt(0)
	ds_store_b32 v39, v30 offset:2112
.LBB1_33:                               ;   in Loop: Header=BB1_7 Depth=2
	s_and_not1_saveexec_b32 s5, s6
	s_cbranch_execz .LBB1_39
; %bb.34:                               ;   in Loop: Header=BB1_7 Depth=2
	s_and_saveexec_b32 s6, s20
	s_delay_alu instid0(SALU_CYCLE_1)
	s_xor_b32 s6, exec_lo, s6
	s_cbranch_execz .LBB1_36
; %bb.35:                               ;   in Loop: Header=BB1_7 Depth=2
	ds_store_b32 v39, v35 offset:2112
.LBB1_36:                               ;   in Loop: Header=BB1_7 Depth=2
	s_and_not1_saveexec_b32 s6, s6
	s_cbranch_execz .LBB1_38
; %bb.37:                               ;   in Loop: Header=BB1_7 Depth=2
	ds_store_b32 v39, v41 offset:2112
.LBB1_38:                               ;   in Loop: Header=BB1_7 Depth=2
	s_or_b32 exec_lo, exec_lo, s6
.LBB1_39:                               ;   in Loop: Header=BB1_7 Depth=2
	s_delay_alu instid0(SALU_CYCLE_1) | instskip(SKIP_1) | instid1(VALU_DEP_1)
	s_or_b32 exec_lo, exec_lo, s5
	v_add_co_u32 v30, s5, v36, s16
	v_add_co_ci_u32_e64 v31, null, 0, s17, s5
	s_delay_alu instid0(VALU_DEP_1) | instskip(NEXT) | instid1(VALU_DEP_1)
	v_cmp_gt_i64_e64 s5, s[12:13], v[30:31]
	s_and_b32 s6, vcc_lo, s5
	s_delay_alu instid0(SALU_CYCLE_1) | instskip(NEXT) | instid1(SALU_CYCLE_1)
	s_xor_b32 s6, s6, -1
	s_and_saveexec_b32 s7, s6
	s_delay_alu instid0(SALU_CYCLE_1)
	s_xor_b32 s6, exec_lo, s7
	s_cbranch_execz .LBB1_41
; %bb.40:                               ;   in Loop: Header=BB1_7 Depth=2
	ds_store_b32 v40, v35
.LBB1_41:                               ;   in Loop: Header=BB1_7 Depth=2
	s_and_not1_saveexec_b32 s6, s6
	s_cbranch_execz .LBB1_43
; %bb.42:                               ;   in Loop: Header=BB1_7 Depth=2
	global_load_b32 v32, v[22:23], off offset:-64
	s_waitcnt vmcnt(0)
	ds_store_b32 v40, v32
.LBB1_43:                               ;   in Loop: Header=BB1_7 Depth=2
	s_or_b32 exec_lo, exec_lo, s6
	v_cmp_gt_i64_e64 s6, s[22:23], v[30:31]
	s_delay_alu instid0(VALU_DEP_1) | instskip(NEXT) | instid1(SALU_CYCLE_1)
	s_and_b32 s7, vcc_lo, s6
	s_xor_b32 s7, s7, -1
	s_delay_alu instid0(SALU_CYCLE_1) | instskip(NEXT) | instid1(SALU_CYCLE_1)
	s_and_saveexec_b32 s8, s7
	s_xor_b32 s7, exec_lo, s8
	s_cbranch_execz .LBB1_45
; %bb.44:                               ;   in Loop: Header=BB1_7 Depth=2
	ds_store_b32 v40, v35 offset:64
.LBB1_45:                               ;   in Loop: Header=BB1_7 Depth=2
	s_and_not1_saveexec_b32 s7, s7
	s_cbranch_execz .LBB1_47
; %bb.46:                               ;   in Loop: Header=BB1_7 Depth=2
	global_load_b32 v30, v[22:23], off
	s_waitcnt vmcnt(0)
	ds_store_b32 v40, v30 offset:64
.LBB1_47:                               ;   in Loop: Header=BB1_7 Depth=2
	s_or_b32 exec_lo, exec_lo, s7
	s_and_b32 s5, s4, s5
	s_delay_alu instid0(SALU_CYCLE_1) | instskip(NEXT) | instid1(SALU_CYCLE_1)
	s_xor_b32 s5, s5, -1
	s_and_saveexec_b32 s7, s5
	s_delay_alu instid0(SALU_CYCLE_1)
	s_xor_b32 s5, exec_lo, s7
	s_cbranch_execz .LBB1_49
; %bb.48:                               ;   in Loop: Header=BB1_7 Depth=2
	ds_store_b32 v40, v35 offset:2048
.LBB1_49:                               ;   in Loop: Header=BB1_7 Depth=2
	s_and_not1_saveexec_b32 s5, s5
	s_cbranch_execz .LBB1_51
; %bb.50:                               ;   in Loop: Header=BB1_7 Depth=2
	global_load_b32 v30, v[24:25], off offset:-64
	s_waitcnt vmcnt(0)
	ds_store_b32 v40, v30 offset:2048
.LBB1_51:                               ;   in Loop: Header=BB1_7 Depth=2
	s_or_b32 exec_lo, exec_lo, s5
	s_and_b32 s5, s4, s6
	s_delay_alu instid0(SALU_CYCLE_1) | instskip(NEXT) | instid1(SALU_CYCLE_1)
	s_xor_b32 s5, s5, -1
	s_and_saveexec_b32 s6, s5
	s_delay_alu instid0(SALU_CYCLE_1)
	s_xor_b32 s5, exec_lo, s6
	s_cbranch_execz .LBB1_53
; %bb.52:                               ;   in Loop: Header=BB1_7 Depth=2
	ds_store_b32 v40, v35 offset:2112
.LBB1_53:                               ;   in Loop: Header=BB1_7 Depth=2
	s_and_not1_saveexec_b32 s5, s5
	s_cbranch_execz .LBB1_6
; %bb.54:                               ;   in Loop: Header=BB1_7 Depth=2
	global_load_b32 v30, v[24:25], off
	s_waitcnt vmcnt(0)
	ds_store_b32 v40, v30 offset:2112
	s_branch .LBB1_6
.LBB1_55:                               ;   in Loop: Header=BB1_4 Depth=1
	s_delay_alu instid0(VALU_DEP_1) | instskip(SKIP_3) | instid1(VALU_DEP_2)
	v_mul_lo_u32 v24, v44, s40
	v_mul_lo_u32 v25, v42, s41
	v_mad_u64_u32 v[22:23], null, v42, s40, 0
	v_cmp_gt_i32_e32 vcc_lo, s10, v42
	v_add3_u32 v23, v23, v25, v24
	s_delay_alu instid0(VALU_DEP_1) | instskip(NEXT) | instid1(VALU_DEP_1)
	v_lshlrev_b64 v[22:23], 2, v[22:23]
	v_add_co_u32 v22, s4, s34, v22
	s_delay_alu instid0(VALU_DEP_1) | instskip(SKIP_1) | instid1(SALU_CYCLE_1)
	v_add_co_ci_u32_e64 v23, s4, s35, v23, s4
	s_and_b32 s4, s2, vcc_lo
	s_and_saveexec_b32 s5, s4
	s_cbranch_execz .LBB1_57
; %bb.56:                               ;   in Loop: Header=BB1_4 Depth=1
	v_add_co_u32 v24, s4, v22, v20
	s_delay_alu instid0(VALU_DEP_1)
	v_add_co_ci_u32_e64 v25, s4, v23, v21, s4
	global_load_b32 v26, v[24:25], off
	s_waitcnt vmcnt(0)
	v_fmac_f32_e32 v26, s11, v46
	global_store_b32 v[24:25], v26, off
.LBB1_57:                               ;   in Loop: Header=BB1_4 Depth=1
	s_or_b32 exec_lo, exec_lo, s5
	s_and_b32 s5, s3, vcc_lo
	s_delay_alu instid0(SALU_CYCLE_1)
	s_and_saveexec_b32 s4, s5
	s_cbranch_execz .LBB1_59
; %bb.58:                               ;   in Loop: Header=BB1_4 Depth=1
	v_lshlrev_b64 v[24:25], 2, v[6:7]
	s_delay_alu instid0(VALU_DEP_1) | instskip(NEXT) | instid1(VALU_DEP_2)
	v_add_co_u32 v22, vcc_lo, v22, v24
	v_add_co_ci_u32_e32 v23, vcc_lo, v23, v25, vcc_lo
	global_load_b32 v24, v[22:23], off
	s_waitcnt vmcnt(0)
	v_fmac_f32_e32 v24, s11, v45
	global_store_b32 v[22:23], v24, off
.LBB1_59:                               ;   in Loop: Header=BB1_4 Depth=1
	s_or_b32 exec_lo, exec_lo, s4
	v_add_nc_u32_e32 v24, 16, v42
	s_delay_alu instid0(VALU_DEP_1) | instskip(SKIP_3) | instid1(VALU_DEP_4)
	v_ashrrev_i32_e32 v25, 31, v24
	v_mul_lo_u32 v26, v24, s41
	v_mad_u64_u32 v[22:23], null, v24, s40, 0
	v_cmp_gt_i32_e32 vcc_lo, s10, v24
	v_mul_lo_u32 v25, v25, s40
	s_delay_alu instid0(VALU_DEP_1) | instskip(NEXT) | instid1(VALU_DEP_1)
	v_add3_u32 v23, v23, v26, v25
	v_lshlrev_b64 v[22:23], 2, v[22:23]
	s_delay_alu instid0(VALU_DEP_1) | instskip(NEXT) | instid1(VALU_DEP_1)
	v_add_co_u32 v22, s4, s34, v22
	v_add_co_ci_u32_e64 v23, s4, s35, v23, s4
	s_and_b32 s4, s2, vcc_lo
	s_delay_alu instid0(SALU_CYCLE_1)
	s_and_saveexec_b32 s5, s4
	s_cbranch_execz .LBB1_61
; %bb.60:                               ;   in Loop: Header=BB1_4 Depth=1
	v_add_co_u32 v24, s4, v22, v20
	s_delay_alu instid0(VALU_DEP_1)
	v_add_co_ci_u32_e64 v25, s4, v23, v21, s4
	global_load_b32 v26, v[24:25], off
	s_waitcnt vmcnt(0)
	v_fmac_f32_e32 v26, s11, v43
	global_store_b32 v[24:25], v26, off
.LBB1_61:                               ;   in Loop: Header=BB1_4 Depth=1
	s_or_b32 exec_lo, exec_lo, s5
	s_and_b32 s5, s3, vcc_lo
	s_delay_alu instid0(SALU_CYCLE_1)
	s_and_saveexec_b32 s4, s5
	s_cbranch_execz .LBB1_3
; %bb.62:                               ;   in Loop: Header=BB1_4 Depth=1
	v_lshlrev_b64 v[24:25], 2, v[6:7]
	s_delay_alu instid0(VALU_DEP_1) | instskip(NEXT) | instid1(VALU_DEP_2)
	v_add_co_u32 v22, vcc_lo, v22, v24
	v_add_co_ci_u32_e32 v23, vcc_lo, v23, v25, vcc_lo
	global_load_b32 v24, v[22:23], off
	s_waitcnt vmcnt(0)
	v_fmac_f32_e32 v24, s11, v19
	global_store_b32 v[22:23], v24, off
	s_branch .LBB1_3
.LBB1_63:
	s_nop 0
	s_sendmsg sendmsg(MSG_DEALLOC_VGPRS)
	s_endpgm
	.section	.rodata,"a",@progbits
	.p2align	6, 0x0
	.amdhsa_kernel _ZL30rocblas_trmm_outofplace_kernelIfLi32ELi2ELb1ELb0ELb0ELb0EfKffEv17rocblas_diagonal_iiT6_lPT7_lllS4_lllPT8_llli
		.amdhsa_group_segment_fixed_size 8192
		.amdhsa_private_segment_fixed_size 0
		.amdhsa_kernarg_size 384
		.amdhsa_user_sgpr_count 13
		.amdhsa_user_sgpr_dispatch_ptr 0
		.amdhsa_user_sgpr_queue_ptr 0
		.amdhsa_user_sgpr_kernarg_segment_ptr 1
		.amdhsa_user_sgpr_dispatch_id 0
		.amdhsa_user_sgpr_private_segment_size 0
		.amdhsa_wavefront_size32 1
		.amdhsa_uses_dynamic_stack 0
		.amdhsa_enable_private_segment 0
		.amdhsa_system_sgpr_workgroup_id_x 1
		.amdhsa_system_sgpr_workgroup_id_y 1
		.amdhsa_system_sgpr_workgroup_id_z 1
		.amdhsa_system_sgpr_workgroup_info 0
		.amdhsa_system_vgpr_workitem_id 1
		.amdhsa_next_free_vgpr 96
		.amdhsa_next_free_sgpr 44
		.amdhsa_reserve_vcc 1
		.amdhsa_float_round_mode_32 0
		.amdhsa_float_round_mode_16_64 0
		.amdhsa_float_denorm_mode_32 3
		.amdhsa_float_denorm_mode_16_64 3
		.amdhsa_dx10_clamp 1
		.amdhsa_ieee_mode 1
		.amdhsa_fp16_overflow 0
		.amdhsa_workgroup_processor_mode 1
		.amdhsa_memory_ordered 1
		.amdhsa_forward_progress 0
		.amdhsa_shared_vgpr_count 0
		.amdhsa_exception_fp_ieee_invalid_op 0
		.amdhsa_exception_fp_denorm_src 0
		.amdhsa_exception_fp_ieee_div_zero 0
		.amdhsa_exception_fp_ieee_overflow 0
		.amdhsa_exception_fp_ieee_underflow 0
		.amdhsa_exception_fp_ieee_inexact 0
		.amdhsa_exception_int_div_zero 0
	.end_amdhsa_kernel
	.section	.text._ZL30rocblas_trmm_outofplace_kernelIfLi32ELi2ELb1ELb0ELb0ELb0EfKffEv17rocblas_diagonal_iiT6_lPT7_lllS4_lllPT8_llli,"axG",@progbits,_ZL30rocblas_trmm_outofplace_kernelIfLi32ELi2ELb1ELb0ELb0ELb0EfKffEv17rocblas_diagonal_iiT6_lPT7_lllS4_lllPT8_llli,comdat
.Lfunc_end1:
	.size	_ZL30rocblas_trmm_outofplace_kernelIfLi32ELi2ELb1ELb0ELb0ELb0EfKffEv17rocblas_diagonal_iiT6_lPT7_lllS4_lllPT8_llli, .Lfunc_end1-_ZL30rocblas_trmm_outofplace_kernelIfLi32ELi2ELb1ELb0ELb0ELb0EfKffEv17rocblas_diagonal_iiT6_lPT7_lllS4_lllPT8_llli
                                        ; -- End function
	.section	.AMDGPU.csdata,"",@progbits
; Kernel info:
; codeLenInByte = 3432
; NumSgprs: 46
; NumVgprs: 96
; ScratchSize: 0
; MemoryBound: 0
; FloatMode: 240
; IeeeMode: 1
; LDSByteSize: 8192 bytes/workgroup (compile time only)
; SGPRBlocks: 5
; VGPRBlocks: 11
; NumSGPRsForWavesPerEU: 46
; NumVGPRsForWavesPerEU: 96
; Occupancy: 16
; WaveLimiterHint : 0
; COMPUTE_PGM_RSRC2:SCRATCH_EN: 0
; COMPUTE_PGM_RSRC2:USER_SGPR: 13
; COMPUTE_PGM_RSRC2:TRAP_HANDLER: 0
; COMPUTE_PGM_RSRC2:TGID_X_EN: 1
; COMPUTE_PGM_RSRC2:TGID_Y_EN: 1
; COMPUTE_PGM_RSRC2:TGID_Z_EN: 1
; COMPUTE_PGM_RSRC2:TIDIG_COMP_CNT: 1
	.section	.text._ZL30rocblas_trmm_outofplace_kernelIfLi32ELi2ELb1ELb1ELb0ELb0EPKfS0_fEv17rocblas_diagonal_iiT6_lPT7_lllS5_lllPT8_llli,"axG",@progbits,_ZL30rocblas_trmm_outofplace_kernelIfLi32ELi2ELb1ELb1ELb0ELb0EPKfS0_fEv17rocblas_diagonal_iiT6_lPT7_lllS5_lllPT8_llli,comdat
	.globl	_ZL30rocblas_trmm_outofplace_kernelIfLi32ELi2ELb1ELb1ELb0ELb0EPKfS0_fEv17rocblas_diagonal_iiT6_lPT7_lllS5_lllPT8_llli ; -- Begin function _ZL30rocblas_trmm_outofplace_kernelIfLi32ELi2ELb1ELb1ELb0ELb0EPKfS0_fEv17rocblas_diagonal_iiT6_lPT7_lllS5_lllPT8_llli
	.p2align	8
	.type	_ZL30rocblas_trmm_outofplace_kernelIfLi32ELi2ELb1ELb1ELb0ELb0EPKfS0_fEv17rocblas_diagonal_iiT6_lPT7_lllS5_lllPT8_llli,@function
_ZL30rocblas_trmm_outofplace_kernelIfLi32ELi2ELb1ELb1ELb0ELb0EPKfS0_fEv17rocblas_diagonal_iiT6_lPT7_lllS5_lllPT8_llli: ; @_ZL30rocblas_trmm_outofplace_kernelIfLi32ELi2ELb1ELb1ELb0ELb0EPKfS0_fEv17rocblas_diagonal_iiT6_lPT7_lllS5_lllPT8_llli
; %bb.0:
	s_load_b512 s[16:31], s[0:1], 0x10
	s_waitcnt lgkmcnt(0)
	s_mul_i32 s2, s15, s19
	s_mul_hi_u32 s3, s15, s18
	s_delay_alu instid0(SALU_CYCLE_1) | instskip(SKIP_1) | instid1(SALU_CYCLE_1)
	s_add_i32 s3, s3, s2
	s_mul_i32 s2, s15, s18
	s_lshl_b64 s[2:3], s[2:3], 2
	s_delay_alu instid0(SALU_CYCLE_1) | instskip(SKIP_4) | instid1(VALU_DEP_1)
	s_add_u32 s2, s16, s2
	s_addc_u32 s3, s17, s3
	s_load_b32 s33, s[2:3], 0x0
	s_waitcnt lgkmcnt(0)
	v_cmp_eq_f32_e64 s2, s33, 0
	s_and_b32 vcc_lo, exec_lo, s2
	s_cbranch_vccnz .LBB2_63
; %bb.1:
	s_load_b128 s[8:11], s[0:1], 0x0
	s_waitcnt lgkmcnt(0)
	s_add_i32 s2, s10, -1
	s_delay_alu instid0(SALU_CYCLE_1) | instskip(NEXT) | instid1(SALU_CYCLE_1)
	s_ashr_i32 s3, s2, 31
	s_lshr_b32 s3, s3, 27
	s_delay_alu instid0(SALU_CYCLE_1) | instskip(NEXT) | instid1(SALU_CYCLE_1)
	s_add_i32 s2, s2, s3
	s_ashr_i32 s11, s2, 5
	s_delay_alu instid0(SALU_CYCLE_1)
	s_cmp_gt_i32 s14, s11
	s_cbranch_scc1 .LBB2_63
; %bb.2:
	s_clause 0x1
	s_load_b128 s[16:19], s[0:1], 0x70
	s_load_b256 s[36:43], s[0:1], 0x50
	s_mul_i32 s3, s15, s27
	s_mul_hi_u32 s4, s15, s26
	s_mul_i32 s2, s15, s26
	s_add_i32 s3, s4, s3
	s_load_b32 s34, s[0:1], 0x8c
	s_lshl_b64 s[4:5], s[2:3], 2
	v_bfe_u32 v34, v0, 10, 10
	s_add_u32 s2, s20, s4
	s_addc_u32 s3, s21, s5
	s_lshl_b64 s[6:7], s[22:23], 2
	v_dual_mov_b32 v40, 1.0 :: v_dual_and_b32 v1, 0x3ff, v0
	s_add_u32 s2, s2, s6
	s_addc_u32 s3, s3, s7
	v_dual_mov_b32 v39, 0 :: v_dual_lshlrev_b32 v2, 7, v34
	s_delay_alu instid0(VALU_DEP_2)
	v_lshlrev_b32_e32 v35, 2, v1
	v_lshl_add_u32 v20, s14, 5, v34
	s_waitcnt lgkmcnt(0)
	s_mul_i32 s1, s15, s19
	s_mul_hi_u32 s12, s15, s18
	s_mul_i32 s0, s15, s18
	s_add_i32 s1, s12, s1
	v_add_nc_u32_e32 v36, 0x1000, v2
	s_lshl_b64 s[0:1], s[0:1], 2
	v_add_nc_u32_e32 v37, v35, v2
	s_add_u32 s12, s40, s0
	s_addc_u32 s18, s41, s1
	s_lshl_b64 s[0:1], s[42:43], 2
	s_mul_hi_u32 s26, s38, s15
	s_add_u32 s35, s12, s0
	s_addc_u32 s40, s18, s1
	s_lshl_b32 s0, s13, 5
	s_mov_b32 s12, s9
	v_add_nc_u32_e32 v0, s0, v34
	v_add_nc_u32_e32 v2, s0, v1
	s_sub_i32 s41, s9, s0
	v_add_nc_u32_e32 v38, v36, v35
	s_cmp_gt_i32 s41, 0
	v_ashrrev_i32_e32 v1, 31, v0
	v_mul_lo_u32 v5, v0, s25
	v_mad_u64_u32 v[8:9], null, v0, s24, 0
	v_ashrrev_i32_e32 v3, 31, v2
	s_delay_alu instid0(VALU_DEP_4)
	v_mul_lo_u32 v6, v1, s24
	v_add_nc_u32_e32 v4, 16, v2
	s_cselect_b32 s42, -1, 0
	s_cmpk_eq_i32 s8, 0x84
	s_mul_i32 s8, s39, s15
	s_cselect_b32 s43, -1, 0
	s_ashr_i32 s13, s9, 31
	s_ashr_i32 s44, s10, 31
	v_add3_u32 v9, v9, v5, v6
	v_add_co_u32 v6, vcc_lo, v2, 16
	v_add_co_ci_u32_e32 v7, vcc_lo, 0, v3, vcc_lo
	s_delay_alu instid0(VALU_DEP_3)
	v_lshlrev_b64 v[8:9], 2, v[8:9]
	s_lshl_b64 s[18:19], s[24:25], 7
	s_add_u32 s22, s9, -16
	v_cmp_le_i32_e64 s0, s9, v2
	s_addc_u32 s23, s13, -1
	v_lshlrev_b64 v[12:13], 2, v[0:1]
	v_add_co_u32 v8, vcc_lo, s2, v8
	v_add_co_ci_u32_e32 v9, vcc_lo, s3, v9, vcc_lo
	v_cmp_gt_i32_e64 s2, s9, v2
	v_cmp_gt_i32_e64 s3, s9, v4
	s_add_i32 s9, s26, s8
	s_mul_i32 s8, s38, s15
	s_lshl_b64 s[26:27], s[30:31], 2
	s_lshl_b64 s[8:9], s[8:9], 2
	v_sub_co_u32 v10, vcc_lo, v2, v0
	s_add_u32 s8, s8, s26
	s_addc_u32 s9, s9, s27
	s_add_u32 s8, s8, s28
	v_sub_co_ci_u32_e32 v11, vcc_lo, v3, v1, vcc_lo
	s_addc_u32 s9, s9, s29
	s_add_u32 s26, s8, 64
	v_add_co_u32 v14, vcc_lo, v12, 64
	s_addc_u32 s27, s9, 0
	s_lshl_b64 s[28:29], s[36:37], 2
	s_lshl_b32 s9, s34, 5
	v_add_co_ci_u32_e32 v15, vcc_lo, 0, v13, vcc_lo
	s_add_u32 s6, s20, s6
	s_addc_u32 s7, s21, s7
	s_add_u32 s4, s6, s4
	s_addc_u32 s5, s7, s5
	v_mul_lo_u32 v21, s24, v15
	v_mad_u64_u32 v[12:13], null, s24, v14, s[4:5]
	v_mul_lo_u32 v22, s25, v14
	v_add_co_u32 v14, vcc_lo, v10, 16
	v_add_co_ci_u32_e32 v15, vcc_lo, 0, v11, vcc_lo
	v_add_co_u32 v16, vcc_lo, v10, -16
	v_cmp_le_i64_e64 s1, s[12:13], v[6:7]
	v_lshlrev_b64 v[18:19], 2, v[2:3]
	v_ashrrev_i32_e32 v5, 31, v4
	v_add_co_ci_u32_e32 v17, vcc_lo, -1, v11, vcc_lo
	v_add3_u32 v13, v22, v13, v21
	s_branch .LBB2_4
.LBB2_3:                                ;   in Loop: Header=BB2_4 Depth=1
	s_or_b32 exec_lo, exec_lo, s4
	v_add_nc_u32_e32 v20, s9, v20
	s_add_i32 s14, s34, s14
	s_delay_alu instid0(SALU_CYCLE_1)
	s_cmp_le_i32 s14, s11
	s_cbranch_scc0 .LBB2_63
.LBB2_4:                                ; =>This Loop Header: Depth=1
                                        ;     Child Loop BB2_7 Depth 2
	v_lshl_add_u32 v41, s14, 5, v34
	v_dual_mov_b32 v45, 0 :: v_dual_mov_b32 v44, 0
	v_dual_mov_b32 v42, 0 :: v_dual_mov_b32 v21, 0
	s_delay_alu instid0(VALU_DEP_3)
	v_ashrrev_i32_e32 v43, 31, v41
	s_and_not1_b32 vcc_lo, exec_lo, s42
	s_cbranch_vccnz .LBB2_55
; %bb.5:                                ;   in Loop: Header=BB2_4 Depth=1
	v_ashrrev_i32_e32 v21, 31, v20
	v_mad_u64_u32 v[22:23], null, s28, v20, s[26:27]
	v_mul_lo_u32 v32, s29, v20
	v_mov_b32_e32 v29, v9
	s_delay_alu instid0(VALU_DEP_4) | instskip(SKIP_4) | instid1(VALU_DEP_4)
	v_lshlrev_b64 v[24:25], 2, v[20:21]
	v_mul_lo_u32 v33, s28, v21
	v_mov_b32_e32 v21, 0
	s_mov_b64 s[20:21], 0
	v_dual_mov_b32 v28, v8 :: v_dual_mov_b32 v45, 0
	v_add_co_u32 v26, vcc_lo, v24, 64
	v_add_co_ci_u32_e32 v24, vcc_lo, 0, v25, vcc_lo
	v_sub_co_u32 v30, vcc_lo, s10, v41
	s_delay_alu instid0(VALU_DEP_3) | instskip(NEXT) | instid1(VALU_DEP_3)
	v_mul_lo_u32 v44, s37, v26
	v_mul_lo_u32 v42, s36, v24
	v_mad_u64_u32 v[24:25], null, s36, v26, s[26:27]
	v_sub_co_ci_u32_e32 v31, vcc_lo, s44, v43, vcc_lo
	v_dual_mov_b32 v27, v13 :: v_dual_mov_b32 v26, v12
	v_add3_u32 v23, v32, v23, v33
	s_delay_alu instid0(VALU_DEP_3)
	v_cmp_lt_i64_e32 vcc_lo, 0, v[30:31]
	v_cmp_lt_i64_e64 s4, 16, v[30:31]
	v_add3_u32 v25, v44, v25, v42
	v_mov_b32_e32 v42, 0
	v_mov_b32_e32 v44, 0
	s_branch .LBB2_7
.LBB2_6:                                ;   in Loop: Header=BB2_7 Depth=2
	s_or_b32 exec_lo, exec_lo, s6
	s_waitcnt lgkmcnt(0)
	s_waitcnt_vscnt null, 0x0
	s_barrier
	buffer_gl0_inv
	ds_load_2addr_b32 v[73:74], v35 offset1:16
	ds_load_b128 v[30:33], v36
	ds_load_b128 v[46:49], v36 offset:2048
	ds_load_2addr_b32 v[75:76], v35 offset0:32 offset1:48
	ds_load_b128 v[50:53], v36 offset:16
	ds_load_2addr_b32 v[81:82], v35 offset0:64 offset1:80
	ds_load_b128 v[54:57], v36 offset:32
	ds_load_b128 v[58:61], v36 offset:48
	ds_load_2addr_b32 v[83:84], v35 offset0:96 offset1:112
	ds_load_2addr_b32 v[85:86], v35 offset0:128 offset1:144
	ds_load_b128 v[62:65], v36 offset:2064
	ds_load_2addr_b32 v[87:88], v35 offset0:160 offset1:176
	ds_load_2addr_b32 v[89:90], v35 offset0:192 offset1:208
	;; [unrolled: 1-line block ×3, first 2 shown]
	v_add_nc_u32_e32 v93, 0x400, v35
	v_add_co_u32 v22, s5, 0x80, v22
	s_delay_alu instid0(VALU_DEP_1)
	v_add_co_ci_u32_e64 v23, s5, 0, v23, s5
	v_add_co_u32 v28, s5, v28, s18
	s_waitcnt lgkmcnt(12)
	v_fmac_f32_e32 v44, v74, v30
	v_fmac_f32_e32 v45, v73, v30
	v_add_co_ci_u32_e64 v29, s5, s19, v29, s5
	v_add_co_u32 v26, s5, v26, s18
	s_waitcnt lgkmcnt(10)
	v_fmac_f32_e32 v44, v76, v31
	v_dual_fmac_f32 v42, v73, v46 :: v_dual_fmac_f32 v45, v75, v31
	v_dual_fmac_f32 v21, v74, v46 :: v_dual_add_nc_u32 v94, 0x800, v35
	s_waitcnt lgkmcnt(8)
	s_delay_alu instid0(VALU_DEP_3) | instskip(NEXT) | instid1(VALU_DEP_3)
	v_fmac_f32_e32 v44, v82, v32
	v_dual_fmac_f32 v42, v75, v47 :: v_dual_fmac_f32 v45, v81, v32
	s_delay_alu instid0(VALU_DEP_3)
	v_fmac_f32_e32 v21, v76, v47
	ds_load_b128 v[66:69], v36 offset:2080
	ds_load_b128 v[70:73], v36 offset:2096
	s_waitcnt lgkmcnt(7)
	v_fmac_f32_e32 v44, v84, v33
	v_dual_fmac_f32 v42, v81, v48 :: v_dual_fmac_f32 v45, v83, v33
	v_fmac_f32_e32 v21, v82, v48
	ds_load_b128 v[74:77], v36 offset:64
	ds_load_b128 v[78:81], v36 offset:80
	ds_load_2addr_b32 v[30:31], v93 offset1:16
	s_waitcnt lgkmcnt(9)
	v_dual_fmac_f32 v42, v83, v49 :: v_dual_fmac_f32 v45, v85, v50
	v_dual_fmac_f32 v21, v84, v49 :: v_dual_fmac_f32 v44, v86, v50
	ds_load_2addr_b32 v[32:33], v93 offset0:32 offset1:48
	s_waitcnt lgkmcnt(8)
	v_dual_fmac_f32 v42, v85, v62 :: v_dual_fmac_f32 v45, v87, v51
	v_dual_fmac_f32 v21, v86, v62 :: v_dual_fmac_f32 v44, v88, v51
	ds_load_2addr_b32 v[46:47], v93 offset0:64 offset1:80
	;; [unrolled: 4-line block ×7, first 2 shown]
	s_waitcnt lgkmcnt(4)
	v_dual_fmac_f32 v42, v46, v68 :: v_dual_fmac_f32 v45, v48, v57
	v_dual_fmac_f32 v21, v47, v68 :: v_dual_fmac_f32 v44, v49, v57
	ds_load_2addr_b32 v[56:57], v94 offset1:16
	s_waitcnt lgkmcnt(4)
	v_dual_fmac_f32 v42, v48, v69 :: v_dual_fmac_f32 v45, v50, v58
	v_dual_fmac_f32 v21, v49, v69 :: v_dual_fmac_f32 v44, v51, v58
	ds_load_b128 v[30:33], v36 offset:2112
	ds_load_b128 v[46:49], v36 offset:2128
	s_waitcnt lgkmcnt(5)
	v_dual_fmac_f32 v42, v50, v70 :: v_dual_fmac_f32 v45, v52, v59
	v_dual_fmac_f32 v21, v51, v70 :: v_dual_fmac_f32 v44, v53, v59
	ds_load_2addr_b32 v[50:51], v94 offset0:32 offset1:48
	s_waitcnt lgkmcnt(5)
	v_dual_fmac_f32 v42, v52, v71 :: v_dual_fmac_f32 v45, v54, v60
	v_dual_fmac_f32 v21, v53, v71 :: v_dual_fmac_f32 v44, v55, v60
	ds_load_2addr_b32 v[52:53], v94 offset0:64 offset1:80
	ds_load_2addr_b32 v[58:59], v94 offset0:128 offset1:144
	v_add_co_ci_u32_e64 v27, s5, s19, v27, s5
	v_fmac_f32_e32 v21, v55, v72
	v_fmac_f32_e32 v42, v54, v72
	s_waitcnt lgkmcnt(6)
	v_fmac_f32_e32 v44, v63, v61
	v_fmac_f32_e32 v45, v62, v61
	ds_load_2addr_b32 v[54:55], v94 offset0:96 offset1:112
	v_fmac_f32_e32 v21, v63, v73
	v_fmac_f32_e32 v42, v62, v73
	s_waitcnt lgkmcnt(6)
	v_fmac_f32_e32 v44, v57, v74
	v_fmac_f32_e32 v45, v56, v74
	ds_load_2addr_b32 v[60:61], v94 offset0:192 offset1:208
	s_waitcnt lgkmcnt(6)
	v_fmac_f32_e32 v21, v57, v30
	v_fmac_f32_e32 v42, v56, v30
	s_waitcnt lgkmcnt(4)
	v_fmac_f32_e32 v44, v51, v75
	v_fmac_f32_e32 v45, v50, v75
	ds_load_2addr_b32 v[56:57], v94 offset0:160 offset1:176
	v_fmac_f32_e32 v21, v51, v31
	v_fmac_f32_e32 v42, v50, v31
	s_waitcnt lgkmcnt(4)
	v_fmac_f32_e32 v44, v53, v76
	v_fmac_f32_e32 v45, v52, v76
	ds_load_2addr_b32 v[62:63], v94 offset0:224 offset1:240
	v_fmac_f32_e32 v21, v53, v32
	v_fmac_f32_e32 v42, v52, v32
	v_add_co_u32 v24, s5, 0x80, v24
	s_waitcnt lgkmcnt(3)
	v_fmac_f32_e32 v45, v54, v77
	v_fmac_f32_e32 v44, v55, v77
	v_dual_fmac_f32 v21, v55, v33 :: v_dual_add_nc_u32 v68, 0xc00, v35
	v_fmac_f32_e32 v42, v54, v33
	ds_load_2addr_b32 v[64:65], v68 offset1:16
	ds_load_b128 v[30:33], v36 offset:96
	v_fmac_f32_e32 v21, v59, v46
	v_fmac_f32_e32 v44, v59, v78
	;; [unrolled: 1-line block ×4, first 2 shown]
	ds_load_b128 v[50:53], v36 offset:2144
	ds_load_2addr_b32 v[58:59], v68 offset0:32 offset1:48
	s_waitcnt lgkmcnt(5)
	v_fmac_f32_e32 v44, v57, v79
	v_fmac_f32_e32 v45, v56, v79
	;; [unrolled: 1-line block ×4, first 2 shown]
	ds_load_2addr_b32 v[66:67], v68 offset0:64 offset1:80
	v_fmac_f32_e32 v44, v61, v80
	v_fmac_f32_e32 v45, v60, v80
	;; [unrolled: 1-line block ×4, first 2 shown]
	ds_load_2addr_b32 v[60:61], v68 offset0:96 offset1:112
	s_waitcnt lgkmcnt(6)
	v_fmac_f32_e32 v44, v63, v81
	v_fmac_f32_e32 v45, v62, v81
	;; [unrolled: 1-line block ×4, first 2 shown]
	ds_load_b128 v[46:49], v36 offset:112
	ds_load_2addr_b32 v[62:63], v68 offset0:128 offset1:144
	ds_load_b128 v[54:57], v36 offset:2160
	s_waitcnt lgkmcnt(7)
	v_fmac_f32_e32 v45, v64, v30
	v_fmac_f32_e32 v44, v65, v30
	v_add_co_ci_u32_e64 v25, s5, 0, v25, s5
	s_add_u32 s20, s20, 32
	s_waitcnt lgkmcnt(5)
	v_fmac_f32_e32 v45, v58, v31
	v_dual_fmac_f32 v21, v65, v50 :: v_dual_fmac_f32 v44, v59, v31
	v_fmac_f32_e32 v42, v64, v50
	ds_load_2addr_b32 v[64:65], v68 offset0:160 offset1:176
	ds_load_2addr_b32 v[30:31], v68 offset0:192 offset1:208
	v_fmac_f32_e32 v21, v59, v51
	s_waitcnt lgkmcnt(6)
	v_fmac_f32_e32 v44, v67, v32
	v_fmac_f32_e32 v42, v58, v51
	;; [unrolled: 1-line block ×3, first 2 shown]
	ds_load_2addr_b32 v[50:51], v68 offset0:224 offset1:240
	s_waitcnt lgkmcnt(6)
	v_dual_fmac_f32 v21, v67, v52 :: v_dual_fmac_f32 v44, v61, v33
	v_dual_fmac_f32 v42, v66, v52 :: v_dual_fmac_f32 v45, v60, v33
	s_addc_u32 s21, s21, 0
	s_delay_alu instid0(VALU_DEP_2)
	v_fmac_f32_e32 v21, v61, v53
	s_cmp_ge_i32 s20, s41
	s_waitcnt lgkmcnt(4)
	v_dual_fmac_f32 v42, v60, v53 :: v_dual_fmac_f32 v45, v62, v46
	v_fmac_f32_e32 v44, v63, v46
	s_waitcnt lgkmcnt(0)
	s_barrier
	buffer_gl0_inv
	v_fmac_f32_e32 v45, v64, v47
	v_dual_fmac_f32 v21, v63, v54 :: v_dual_fmac_f32 v44, v65, v47
	v_fmac_f32_e32 v42, v62, v54
	s_delay_alu instid0(VALU_DEP_3) | instskip(NEXT) | instid1(VALU_DEP_3)
	v_fmac_f32_e32 v45, v30, v48
	v_dual_fmac_f32 v21, v65, v55 :: v_dual_fmac_f32 v44, v31, v48
	s_delay_alu instid0(VALU_DEP_2) | instskip(NEXT) | instid1(VALU_DEP_2)
	v_dual_fmac_f32 v42, v64, v55 :: v_dual_fmac_f32 v45, v50, v49
	v_fmac_f32_e32 v21, v31, v56
	s_delay_alu instid0(VALU_DEP_3) | instskip(NEXT) | instid1(VALU_DEP_2)
	v_fmac_f32_e32 v44, v51, v49
	v_dual_fmac_f32 v42, v30, v56 :: v_dual_fmac_f32 v21, v51, v57
	s_delay_alu instid0(VALU_DEP_1)
	v_fmac_f32_e32 v42, v50, v57
	s_cbranch_scc1 .LBB2_55
.LBB2_7:                                ;   Parent Loop BB2_4 Depth=1
                                        ; =>  This Inner Loop Header: Depth=2
	v_add_co_u32 v30, s5, v0, s20
	s_delay_alu instid0(VALU_DEP_1) | instskip(SKIP_1) | instid1(VALU_DEP_2)
	v_add_co_ci_u32_e64 v31, s5, s21, v1, s5
	v_cmp_eq_u64_e64 s7, s[20:21], v[10:11]
	v_cmp_le_i64_e64 s6, s[12:13], v[30:31]
	v_cmp_lt_i64_e64 s5, v[30:31], v[2:3]
	s_delay_alu instid0(VALU_DEP_3) | instskip(NEXT) | instid1(VALU_DEP_1)
	s_and_b32 s24, s43, s7
	s_or_b32 s7, s6, s5
	s_delay_alu instid0(SALU_CYCLE_1) | instskip(SKIP_1) | instid1(VALU_DEP_1)
	s_or_b32 s8, s7, s24
	v_add_co_u32 v32, s7, v28, v18
	v_add_co_ci_u32_e64 v33, s7, v29, v19, s7
	s_or_b32 s7, s0, s8
	s_delay_alu instid0(SALU_CYCLE_1) | instskip(NEXT) | instid1(SALU_CYCLE_1)
	s_xor_b32 s7, s7, -1
	s_and_saveexec_b32 s8, s7
	s_delay_alu instid0(SALU_CYCLE_1)
	s_xor_b32 s7, exec_lo, s8
	s_cbranch_execz .LBB2_9
; %bb.8:                                ;   in Loop: Header=BB2_7 Depth=2
	global_load_b32 v46, v[32:33], off
	s_waitcnt vmcnt(0)
	ds_store_b32 v37, v46
.LBB2_9:                                ;   in Loop: Header=BB2_7 Depth=2
	s_or_saveexec_b32 s7, s7
	s_xor_b32 s15, s24, -1
	s_xor_b32 exec_lo, exec_lo, s7
	s_cbranch_execz .LBB2_15
; %bb.10:                               ;   in Loop: Header=BB2_7 Depth=2
	s_and_saveexec_b32 s8, s15
	s_delay_alu instid0(SALU_CYCLE_1)
	s_xor_b32 s8, exec_lo, s8
	s_cbranch_execz .LBB2_12
; %bb.11:                               ;   in Loop: Header=BB2_7 Depth=2
	ds_store_b32 v37, v39
.LBB2_12:                               ;   in Loop: Header=BB2_7 Depth=2
	s_and_not1_saveexec_b32 s8, s8
	s_cbranch_execz .LBB2_14
; %bb.13:                               ;   in Loop: Header=BB2_7 Depth=2
	ds_store_b32 v37, v40
.LBB2_14:                               ;   in Loop: Header=BB2_7 Depth=2
	s_or_b32 exec_lo, exec_lo, s8
.LBB2_15:                               ;   in Loop: Header=BB2_7 Depth=2
	s_delay_alu instid0(SALU_CYCLE_1) | instskip(SKIP_2) | instid1(VALU_DEP_2)
	s_or_b32 exec_lo, exec_lo, s7
	v_cmp_eq_u64_e64 s7, s[20:21], v[14:15]
	v_cmp_gt_i64_e64 s8, v[6:7], v[30:31]
	s_and_b32 s7, s43, s7
	s_delay_alu instid0(VALU_DEP_1) | instskip(NEXT) | instid1(SALU_CYCLE_1)
	s_or_b32 s6, s6, s8
	s_or_b32 s6, s6, s7
	s_delay_alu instid0(SALU_CYCLE_1) | instskip(NEXT) | instid1(SALU_CYCLE_1)
	s_or_b32 s6, s1, s6
	s_xor_b32 s6, s6, -1
	s_delay_alu instid0(SALU_CYCLE_1) | instskip(NEXT) | instid1(SALU_CYCLE_1)
	s_and_saveexec_b32 s8, s6
	s_xor_b32 s6, exec_lo, s8
	s_cbranch_execz .LBB2_17
; %bb.16:                               ;   in Loop: Header=BB2_7 Depth=2
	global_load_b32 v32, v[32:33], off offset:64
	s_waitcnt vmcnt(0)
	ds_store_b32 v37, v32 offset:64
.LBB2_17:                               ;   in Loop: Header=BB2_7 Depth=2
	s_and_not1_saveexec_b32 s6, s6
	s_cbranch_execz .LBB2_23
; %bb.18:                               ;   in Loop: Header=BB2_7 Depth=2
	s_xor_b32 s7, s7, -1
	s_delay_alu instid0(SALU_CYCLE_1) | instskip(NEXT) | instid1(SALU_CYCLE_1)
	s_and_saveexec_b32 s8, s7
	s_xor_b32 s7, exec_lo, s8
	s_cbranch_execz .LBB2_20
; %bb.19:                               ;   in Loop: Header=BB2_7 Depth=2
	ds_store_b32 v37, v39 offset:64
.LBB2_20:                               ;   in Loop: Header=BB2_7 Depth=2
	s_and_not1_saveexec_b32 s7, s7
	s_cbranch_execz .LBB2_22
; %bb.21:                               ;   in Loop: Header=BB2_7 Depth=2
	ds_store_b32 v37, v40 offset:64
.LBB2_22:                               ;   in Loop: Header=BB2_7 Depth=2
	s_or_b32 exec_lo, exec_lo, s7
.LBB2_23:                               ;   in Loop: Header=BB2_7 Depth=2
	s_delay_alu instid0(SALU_CYCLE_1) | instskip(SKIP_1) | instid1(VALU_DEP_1)
	s_or_b32 exec_lo, exec_lo, s6
	v_add_co_u32 v30, s6, v30, 16
	v_add_co_ci_u32_e64 v31, s6, 0, v31, s6
	v_cmp_eq_u64_e64 s7, s[20:21], v[16:17]
	s_delay_alu instid0(VALU_DEP_2) | instskip(SKIP_1) | instid1(VALU_DEP_3)
	v_cmp_le_i64_e64 s6, s[12:13], v[30:31]
	v_cmp_lt_i64_e64 s8, v[30:31], v[2:3]
	s_and_b32 s25, s43, s7
	s_delay_alu instid0(VALU_DEP_1) | instskip(NEXT) | instid1(SALU_CYCLE_1)
	s_or_b32 s7, s6, s8
	s_or_b32 s7, s7, s25
	s_delay_alu instid0(SALU_CYCLE_1) | instskip(NEXT) | instid1(SALU_CYCLE_1)
	s_or_b32 s7, s0, s7
	s_xor_b32 s7, s7, -1
	s_delay_alu instid0(SALU_CYCLE_1) | instskip(NEXT) | instid1(SALU_CYCLE_1)
	s_and_saveexec_b32 s8, s7
	s_xor_b32 s8, exec_lo, s8
	s_cbranch_execz .LBB2_25
; %bb.24:                               ;   in Loop: Header=BB2_7 Depth=2
	v_add_co_u32 v30, s7, v26, v18
	s_delay_alu instid0(VALU_DEP_1)
	v_add_co_ci_u32_e64 v31, s7, v27, v19, s7
	global_load_b32 v30, v[30:31], off
	s_waitcnt vmcnt(0)
	ds_store_b32 v37, v30 offset:2048
.LBB2_25:                               ;   in Loop: Header=BB2_7 Depth=2
	s_and_not1_saveexec_b32 s7, s8
	s_cbranch_execz .LBB2_31
; %bb.26:                               ;   in Loop: Header=BB2_7 Depth=2
	s_xor_b32 s8, s25, -1
	s_delay_alu instid0(SALU_CYCLE_1) | instskip(NEXT) | instid1(SALU_CYCLE_1)
	s_and_saveexec_b32 s25, s8
	s_xor_b32 s8, exec_lo, s25
	s_cbranch_execz .LBB2_28
; %bb.27:                               ;   in Loop: Header=BB2_7 Depth=2
	ds_store_b32 v37, v39 offset:2048
.LBB2_28:                               ;   in Loop: Header=BB2_7 Depth=2
	s_and_not1_saveexec_b32 s8, s8
	s_cbranch_execz .LBB2_30
; %bb.29:                               ;   in Loop: Header=BB2_7 Depth=2
	ds_store_b32 v37, v40 offset:2048
.LBB2_30:                               ;   in Loop: Header=BB2_7 Depth=2
	s_or_b32 exec_lo, exec_lo, s8
.LBB2_31:                               ;   in Loop: Header=BB2_7 Depth=2
	s_delay_alu instid0(SALU_CYCLE_1) | instskip(SKIP_1) | instid1(SALU_CYCLE_1)
	s_or_b32 exec_lo, exec_lo, s7
	s_or_b32 s5, s6, s5
	s_or_b32 s5, s5, s24
	s_delay_alu instid0(SALU_CYCLE_1) | instskip(NEXT) | instid1(SALU_CYCLE_1)
	s_or_b32 s5, s1, s5
	s_xor_b32 s5, s5, -1
	s_delay_alu instid0(SALU_CYCLE_1) | instskip(NEXT) | instid1(SALU_CYCLE_1)
	s_and_saveexec_b32 s6, s5
	s_xor_b32 s6, exec_lo, s6
	s_cbranch_execz .LBB2_33
; %bb.32:                               ;   in Loop: Header=BB2_7 Depth=2
	v_add_co_u32 v30, s5, v26, v18
	s_delay_alu instid0(VALU_DEP_1)
	v_add_co_ci_u32_e64 v31, s5, v27, v19, s5
	global_load_b32 v30, v[30:31], off offset:64
	s_waitcnt vmcnt(0)
	ds_store_b32 v37, v30 offset:2112
.LBB2_33:                               ;   in Loop: Header=BB2_7 Depth=2
	s_and_not1_saveexec_b32 s5, s6
	s_cbranch_execz .LBB2_39
; %bb.34:                               ;   in Loop: Header=BB2_7 Depth=2
	s_and_saveexec_b32 s6, s15
	s_delay_alu instid0(SALU_CYCLE_1)
	s_xor_b32 s6, exec_lo, s6
	s_cbranch_execz .LBB2_36
; %bb.35:                               ;   in Loop: Header=BB2_7 Depth=2
	ds_store_b32 v37, v39 offset:2112
.LBB2_36:                               ;   in Loop: Header=BB2_7 Depth=2
	s_and_not1_saveexec_b32 s6, s6
	s_cbranch_execz .LBB2_38
; %bb.37:                               ;   in Loop: Header=BB2_7 Depth=2
	ds_store_b32 v37, v40 offset:2112
.LBB2_38:                               ;   in Loop: Header=BB2_7 Depth=2
	s_or_b32 exec_lo, exec_lo, s6
.LBB2_39:                               ;   in Loop: Header=BB2_7 Depth=2
	s_delay_alu instid0(SALU_CYCLE_1) | instskip(SKIP_1) | instid1(VALU_DEP_1)
	s_or_b32 exec_lo, exec_lo, s5
	v_add_co_u32 v32, s5, v2, s20
	v_add_co_ci_u32_e64 v33, s5, s21, v3, s5
	s_delay_alu instid0(VALU_DEP_1) | instskip(NEXT) | instid1(VALU_DEP_1)
	v_cmp_gt_i64_e64 s5, s[12:13], v[32:33]
	s_and_b32 s6, vcc_lo, s5
	s_delay_alu instid0(SALU_CYCLE_1) | instskip(NEXT) | instid1(SALU_CYCLE_1)
	s_xor_b32 s6, s6, -1
	s_and_saveexec_b32 s7, s6
	s_delay_alu instid0(SALU_CYCLE_1)
	s_xor_b32 s6, exec_lo, s7
	s_cbranch_execz .LBB2_41
; %bb.40:                               ;   in Loop: Header=BB2_7 Depth=2
	ds_store_b32 v38, v39
.LBB2_41:                               ;   in Loop: Header=BB2_7 Depth=2
	s_or_saveexec_b32 s7, s6
	v_add_co_u32 v30, s6, v22, v18
	s_delay_alu instid0(VALU_DEP_1)
	v_add_co_ci_u32_e64 v31, s6, v23, v19, s6
	s_xor_b32 exec_lo, exec_lo, s7
	s_cbranch_execz .LBB2_43
; %bb.42:                               ;   in Loop: Header=BB2_7 Depth=2
	global_load_b32 v46, v[30:31], off offset:-64
	s_waitcnt vmcnt(0)
	ds_store_b32 v38, v46
.LBB2_43:                               ;   in Loop: Header=BB2_7 Depth=2
	s_or_b32 exec_lo, exec_lo, s7
	v_cmp_gt_i64_e64 s6, s[22:23], v[32:33]
	s_delay_alu instid0(VALU_DEP_1) | instskip(NEXT) | instid1(SALU_CYCLE_1)
	s_and_b32 s7, vcc_lo, s6
	s_xor_b32 s7, s7, -1
	s_delay_alu instid0(SALU_CYCLE_1) | instskip(NEXT) | instid1(SALU_CYCLE_1)
	s_and_saveexec_b32 s8, s7
	s_xor_b32 s7, exec_lo, s8
	s_cbranch_execz .LBB2_45
; %bb.44:                               ;   in Loop: Header=BB2_7 Depth=2
	ds_store_b32 v38, v39 offset:64
                                        ; implicit-def: $vgpr30_vgpr31
.LBB2_45:                               ;   in Loop: Header=BB2_7 Depth=2
	s_and_not1_saveexec_b32 s7, s7
	s_cbranch_execz .LBB2_47
; %bb.46:                               ;   in Loop: Header=BB2_7 Depth=2
	global_load_b32 v30, v[30:31], off
	s_waitcnt vmcnt(0)
	ds_store_b32 v38, v30 offset:64
.LBB2_47:                               ;   in Loop: Header=BB2_7 Depth=2
	s_or_b32 exec_lo, exec_lo, s7
	s_and_b32 s5, s4, s5
	s_delay_alu instid0(SALU_CYCLE_1) | instskip(NEXT) | instid1(SALU_CYCLE_1)
	s_xor_b32 s5, s5, -1
	s_and_saveexec_b32 s7, s5
	s_delay_alu instid0(SALU_CYCLE_1)
	s_xor_b32 s5, exec_lo, s7
	s_cbranch_execz .LBB2_49
; %bb.48:                               ;   in Loop: Header=BB2_7 Depth=2
	ds_store_b32 v38, v39 offset:2048
.LBB2_49:                               ;   in Loop: Header=BB2_7 Depth=2
	s_and_not1_saveexec_b32 s7, s5
	s_cbranch_execz .LBB2_51
; %bb.50:                               ;   in Loop: Header=BB2_7 Depth=2
	v_add_co_u32 v30, s5, v24, v18
	s_delay_alu instid0(VALU_DEP_1)
	v_add_co_ci_u32_e64 v31, s5, v25, v19, s5
	global_load_b32 v30, v[30:31], off offset:-64
	s_waitcnt vmcnt(0)
	ds_store_b32 v38, v30 offset:2048
.LBB2_51:                               ;   in Loop: Header=BB2_7 Depth=2
	s_or_b32 exec_lo, exec_lo, s7
	s_and_b32 s5, s4, s6
	s_delay_alu instid0(SALU_CYCLE_1) | instskip(NEXT) | instid1(SALU_CYCLE_1)
	s_xor_b32 s5, s5, -1
	s_and_saveexec_b32 s6, s5
	s_delay_alu instid0(SALU_CYCLE_1)
	s_xor_b32 s5, exec_lo, s6
	s_cbranch_execz .LBB2_53
; %bb.52:                               ;   in Loop: Header=BB2_7 Depth=2
	ds_store_b32 v38, v39 offset:2112
.LBB2_53:                               ;   in Loop: Header=BB2_7 Depth=2
	s_and_not1_saveexec_b32 s6, s5
	s_cbranch_execz .LBB2_6
; %bb.54:                               ;   in Loop: Header=BB2_7 Depth=2
	v_add_co_u32 v30, s5, v24, v18
	s_delay_alu instid0(VALU_DEP_1)
	v_add_co_ci_u32_e64 v31, s5, v25, v19, s5
	global_load_b32 v30, v[30:31], off
	s_waitcnt vmcnt(0)
	ds_store_b32 v38, v30 offset:2112
	s_branch .LBB2_6
.LBB2_55:                               ;   in Loop: Header=BB2_4 Depth=1
	s_delay_alu instid0(VALU_DEP_1) | instskip(SKIP_3) | instid1(VALU_DEP_2)
	v_mul_lo_u32 v24, v43, s16
	v_mul_lo_u32 v25, v41, s17
	v_mad_u64_u32 v[22:23], null, v41, s16, 0
	v_cmp_gt_i32_e32 vcc_lo, s10, v41
	v_add3_u32 v23, v23, v25, v24
	s_delay_alu instid0(VALU_DEP_1) | instskip(NEXT) | instid1(VALU_DEP_1)
	v_lshlrev_b64 v[22:23], 2, v[22:23]
	v_add_co_u32 v22, s4, s35, v22
	s_delay_alu instid0(VALU_DEP_1) | instskip(SKIP_1) | instid1(SALU_CYCLE_1)
	v_add_co_ci_u32_e64 v23, s4, s40, v23, s4
	s_and_b32 s4, s2, vcc_lo
	s_and_saveexec_b32 s5, s4
	s_cbranch_execz .LBB2_57
; %bb.56:                               ;   in Loop: Header=BB2_4 Depth=1
	v_add_co_u32 v24, s4, v22, v18
	s_delay_alu instid0(VALU_DEP_1)
	v_add_co_ci_u32_e64 v25, s4, v23, v19, s4
	global_load_b32 v26, v[24:25], off
	s_waitcnt vmcnt(0)
	v_fmac_f32_e32 v26, s33, v45
	global_store_b32 v[24:25], v26, off
.LBB2_57:                               ;   in Loop: Header=BB2_4 Depth=1
	s_or_b32 exec_lo, exec_lo, s5
	s_and_b32 s5, s3, vcc_lo
	s_delay_alu instid0(SALU_CYCLE_1)
	s_and_saveexec_b32 s4, s5
	s_cbranch_execz .LBB2_59
; %bb.58:                               ;   in Loop: Header=BB2_4 Depth=1
	v_lshlrev_b64 v[24:25], 2, v[4:5]
	s_delay_alu instid0(VALU_DEP_1) | instskip(NEXT) | instid1(VALU_DEP_2)
	v_add_co_u32 v22, vcc_lo, v22, v24
	v_add_co_ci_u32_e32 v23, vcc_lo, v23, v25, vcc_lo
	global_load_b32 v24, v[22:23], off
	s_waitcnt vmcnt(0)
	v_fmac_f32_e32 v24, s33, v44
	global_store_b32 v[22:23], v24, off
.LBB2_59:                               ;   in Loop: Header=BB2_4 Depth=1
	s_or_b32 exec_lo, exec_lo, s4
	v_add_nc_u32_e32 v24, 16, v41
	s_delay_alu instid0(VALU_DEP_1) | instskip(SKIP_3) | instid1(VALU_DEP_4)
	v_ashrrev_i32_e32 v25, 31, v24
	v_mul_lo_u32 v26, v24, s17
	v_mad_u64_u32 v[22:23], null, v24, s16, 0
	v_cmp_gt_i32_e32 vcc_lo, s10, v24
	v_mul_lo_u32 v25, v25, s16
	s_delay_alu instid0(VALU_DEP_1) | instskip(NEXT) | instid1(VALU_DEP_1)
	v_add3_u32 v23, v23, v26, v25
	v_lshlrev_b64 v[22:23], 2, v[22:23]
	s_delay_alu instid0(VALU_DEP_1) | instskip(NEXT) | instid1(VALU_DEP_1)
	v_add_co_u32 v22, s4, s35, v22
	v_add_co_ci_u32_e64 v23, s4, s40, v23, s4
	s_and_b32 s4, s2, vcc_lo
	s_delay_alu instid0(SALU_CYCLE_1)
	s_and_saveexec_b32 s5, s4
	s_cbranch_execz .LBB2_61
; %bb.60:                               ;   in Loop: Header=BB2_4 Depth=1
	v_add_co_u32 v24, s4, v22, v18
	s_delay_alu instid0(VALU_DEP_1)
	v_add_co_ci_u32_e64 v25, s4, v23, v19, s4
	global_load_b32 v26, v[24:25], off
	s_waitcnt vmcnt(0)
	v_fmac_f32_e32 v26, s33, v42
	global_store_b32 v[24:25], v26, off
.LBB2_61:                               ;   in Loop: Header=BB2_4 Depth=1
	s_or_b32 exec_lo, exec_lo, s5
	s_and_b32 s5, s3, vcc_lo
	s_delay_alu instid0(SALU_CYCLE_1)
	s_and_saveexec_b32 s4, s5
	s_cbranch_execz .LBB2_3
; %bb.62:                               ;   in Loop: Header=BB2_4 Depth=1
	v_lshlrev_b64 v[24:25], 2, v[4:5]
	s_delay_alu instid0(VALU_DEP_1) | instskip(NEXT) | instid1(VALU_DEP_2)
	v_add_co_u32 v22, vcc_lo, v22, v24
	v_add_co_ci_u32_e32 v23, vcc_lo, v23, v25, vcc_lo
	global_load_b32 v24, v[22:23], off
	s_waitcnt vmcnt(0)
	v_fmac_f32_e32 v24, s33, v21
	global_store_b32 v[22:23], v24, off
	s_branch .LBB2_3
.LBB2_63:
	s_nop 0
	s_sendmsg sendmsg(MSG_DEALLOC_VGPRS)
	s_endpgm
	.section	.rodata,"a",@progbits
	.p2align	6, 0x0
	.amdhsa_kernel _ZL30rocblas_trmm_outofplace_kernelIfLi32ELi2ELb1ELb1ELb0ELb0EPKfS0_fEv17rocblas_diagonal_iiT6_lPT7_lllS5_lllPT8_llli
		.amdhsa_group_segment_fixed_size 8192
		.amdhsa_private_segment_fixed_size 0
		.amdhsa_kernarg_size 392
		.amdhsa_user_sgpr_count 13
		.amdhsa_user_sgpr_dispatch_ptr 0
		.amdhsa_user_sgpr_queue_ptr 0
		.amdhsa_user_sgpr_kernarg_segment_ptr 1
		.amdhsa_user_sgpr_dispatch_id 0
		.amdhsa_user_sgpr_private_segment_size 0
		.amdhsa_wavefront_size32 1
		.amdhsa_uses_dynamic_stack 0
		.amdhsa_enable_private_segment 0
		.amdhsa_system_sgpr_workgroup_id_x 1
		.amdhsa_system_sgpr_workgroup_id_y 1
		.amdhsa_system_sgpr_workgroup_id_z 1
		.amdhsa_system_sgpr_workgroup_info 0
		.amdhsa_system_vgpr_workitem_id 1
		.amdhsa_next_free_vgpr 95
		.amdhsa_next_free_sgpr 45
		.amdhsa_reserve_vcc 1
		.amdhsa_float_round_mode_32 0
		.amdhsa_float_round_mode_16_64 0
		.amdhsa_float_denorm_mode_32 3
		.amdhsa_float_denorm_mode_16_64 3
		.amdhsa_dx10_clamp 1
		.amdhsa_ieee_mode 1
		.amdhsa_fp16_overflow 0
		.amdhsa_workgroup_processor_mode 1
		.amdhsa_memory_ordered 1
		.amdhsa_forward_progress 0
		.amdhsa_shared_vgpr_count 0
		.amdhsa_exception_fp_ieee_invalid_op 0
		.amdhsa_exception_fp_denorm_src 0
		.amdhsa_exception_fp_ieee_div_zero 0
		.amdhsa_exception_fp_ieee_overflow 0
		.amdhsa_exception_fp_ieee_underflow 0
		.amdhsa_exception_fp_ieee_inexact 0
		.amdhsa_exception_int_div_zero 0
	.end_amdhsa_kernel
	.section	.text._ZL30rocblas_trmm_outofplace_kernelIfLi32ELi2ELb1ELb1ELb0ELb0EPKfS0_fEv17rocblas_diagonal_iiT6_lPT7_lllS5_lllPT8_llli,"axG",@progbits,_ZL30rocblas_trmm_outofplace_kernelIfLi32ELi2ELb1ELb1ELb0ELb0EPKfS0_fEv17rocblas_diagonal_iiT6_lPT7_lllS5_lllPT8_llli,comdat
.Lfunc_end2:
	.size	_ZL30rocblas_trmm_outofplace_kernelIfLi32ELi2ELb1ELb1ELb0ELb0EPKfS0_fEv17rocblas_diagonal_iiT6_lPT7_lllS5_lllPT8_llli, .Lfunc_end2-_ZL30rocblas_trmm_outofplace_kernelIfLi32ELi2ELb1ELb1ELb0ELb0EPKfS0_fEv17rocblas_diagonal_iiT6_lPT7_lllS5_lllPT8_llli
                                        ; -- End function
	.section	.AMDGPU.csdata,"",@progbits
; Kernel info:
; codeLenInByte = 3532
; NumSgprs: 47
; NumVgprs: 95
; ScratchSize: 0
; MemoryBound: 0
; FloatMode: 240
; IeeeMode: 1
; LDSByteSize: 8192 bytes/workgroup (compile time only)
; SGPRBlocks: 5
; VGPRBlocks: 11
; NumSGPRsForWavesPerEU: 47
; NumVGPRsForWavesPerEU: 95
; Occupancy: 16
; WaveLimiterHint : 0
; COMPUTE_PGM_RSRC2:SCRATCH_EN: 0
; COMPUTE_PGM_RSRC2:USER_SGPR: 13
; COMPUTE_PGM_RSRC2:TRAP_HANDLER: 0
; COMPUTE_PGM_RSRC2:TGID_X_EN: 1
; COMPUTE_PGM_RSRC2:TGID_Y_EN: 1
; COMPUTE_PGM_RSRC2:TGID_Z_EN: 1
; COMPUTE_PGM_RSRC2:TIDIG_COMP_CNT: 1
	.section	.text._ZL30rocblas_trmm_outofplace_kernelIfLi32ELi2ELb1ELb1ELb0ELb0EfKffEv17rocblas_diagonal_iiT6_lPT7_lllS4_lllPT8_llli,"axG",@progbits,_ZL30rocblas_trmm_outofplace_kernelIfLi32ELi2ELb1ELb1ELb0ELb0EfKffEv17rocblas_diagonal_iiT6_lPT7_lllS4_lllPT8_llli,comdat
	.globl	_ZL30rocblas_trmm_outofplace_kernelIfLi32ELi2ELb1ELb1ELb0ELb0EfKffEv17rocblas_diagonal_iiT6_lPT7_lllS4_lllPT8_llli ; -- Begin function _ZL30rocblas_trmm_outofplace_kernelIfLi32ELi2ELb1ELb1ELb0ELb0EfKffEv17rocblas_diagonal_iiT6_lPT7_lllS4_lllPT8_llli
	.p2align	8
	.type	_ZL30rocblas_trmm_outofplace_kernelIfLi32ELi2ELb1ELb1ELb0ELb0EfKffEv17rocblas_diagonal_iiT6_lPT7_lllS4_lllPT8_llli,@function
_ZL30rocblas_trmm_outofplace_kernelIfLi32ELi2ELb1ELb1ELb0ELb0EfKffEv17rocblas_diagonal_iiT6_lPT7_lllS4_lllPT8_llli: ; @_ZL30rocblas_trmm_outofplace_kernelIfLi32ELi2ELb1ELb1ELb0ELb0EfKffEv17rocblas_diagonal_iiT6_lPT7_lllS4_lllPT8_llli
; %bb.0:
	s_load_b128 s[8:11], s[0:1], 0x0
	s_waitcnt lgkmcnt(0)
	v_cmp_eq_f32_e64 s2, s11, 0
	s_delay_alu instid0(VALU_DEP_1)
	s_and_b32 vcc_lo, exec_lo, s2
	s_cbranch_vccnz .LBB3_63
; %bb.1:
	s_add_i32 s2, s10, -1
	s_delay_alu instid0(SALU_CYCLE_1) | instskip(NEXT) | instid1(SALU_CYCLE_1)
	s_ashr_i32 s3, s2, 31
	s_lshr_b32 s3, s3, 27
	s_delay_alu instid0(SALU_CYCLE_1) | instskip(NEXT) | instid1(SALU_CYCLE_1)
	s_add_i32 s2, s2, s3
	s_ashr_i32 s33, s2, 5
	s_delay_alu instid0(SALU_CYCLE_1)
	s_cmp_gt_i32 s14, s33
	s_cbranch_scc1 .LBB3_63
; %bb.2:
	s_clause 0x2
	s_load_b512 s[16:31], s[0:1], 0x18
	s_load_b256 s[36:43], s[0:1], 0x58
	s_load_b32 s34, s[0:1], 0x84
	v_bfe_u32 v34, v0, 10, 10
	v_dual_mov_b32 v40, 1.0 :: v_dual_and_b32 v1, 0x3ff, v0
	v_mov_b32_e32 v39, 0
	s_mov_b32 s12, s9
	s_delay_alu instid0(VALU_DEP_3) | instskip(NEXT) | instid1(VALU_DEP_3)
	v_lshlrev_b32_e32 v0, 7, v34
	v_lshlrev_b32_e32 v35, 2, v1
	v_lshl_add_u32 v20, s14, 5, v34
	s_delay_alu instid0(VALU_DEP_3) | instskip(NEXT) | instid1(VALU_DEP_3)
	v_add_nc_u32_e32 v36, 0x1000, v0
	v_add_nc_u32_e32 v37, v35, v0
	s_delay_alu instid0(VALU_DEP_2)
	v_add_nc_u32_e32 v38, v36, v35
	s_waitcnt lgkmcnt(0)
	s_mul_i32 s1, s15, s23
	s_mul_hi_u32 s2, s15, s22
	s_mul_i32 s0, s15, s22
	s_add_i32 s1, s2, s1
	s_mul_i32 s2, s15, s43
	s_lshl_b64 s[4:5], s[0:1], 2
	s_mul_hi_u32 s1, s15, s42
	s_add_u32 s3, s16, s4
	s_addc_u32 s22, s17, s5
	s_lshl_b64 s[6:7], s[18:19], 2
	s_mul_i32 s0, s15, s42
	s_add_u32 s42, s3, s6
	s_addc_u32 s43, s22, s7
	s_add_i32 s1, s1, s2
	s_delay_alu instid0(SALU_CYCLE_1) | instskip(NEXT) | instid1(SALU_CYCLE_1)
	s_lshl_b64 s[0:1], s[0:1], 2
	s_add_u32 s2, s36, s0
	s_addc_u32 s3, s37, s1
	s_lshl_b64 s[0:1], s[38:39], 2
	s_mul_i32 s39, s31, s15
	s_add_u32 s31, s2, s0
	s_addc_u32 s35, s3, s1
	s_lshl_b32 s0, s13, 5
	s_mul_hi_u32 s2, s30, s15
	v_add_nc_u32_e32 v0, s0, v34
	v_add_nc_u32_e32 v2, s0, v1
	s_sub_i32 s36, s9, s0
	s_mul_i32 s38, s30, s15
	s_cmp_gt_i32 s36, 0
	v_ashrrev_i32_e32 v1, 31, v0
	v_mul_lo_u32 v5, v0, s21
	v_mad_u64_u32 v[8:9], null, v0, s20, 0
	s_cselect_b32 s15, -1, 0
	s_delay_alu instid0(VALU_DEP_3)
	v_mul_lo_u32 v6, v1, s20
	s_cmpk_eq_i32 s8, 0x84
	v_ashrrev_i32_e32 v3, 31, v2
	v_add_nc_u32_e32 v4, 16, v2
	s_cselect_b32 s30, -1, 0
	s_ashr_i32 s13, s9, 31
	s_ashr_i32 s37, s10, 31
	s_lshl_b64 s[18:19], s[20:21], 7
	v_add3_u32 v9, v9, v5, v6
	s_add_u32 s22, s9, -16
	v_add_co_u32 v6, vcc_lo, v2, 16
	s_addc_u32 s23, s13, -1
	s_delay_alu instid0(VALU_DEP_2)
	v_lshlrev_b64 v[8:9], 2, v[8:9]
	s_add_i32 s39, s2, s39
	v_add_co_ci_u32_e32 v7, vcc_lo, 0, v3, vcc_lo
	v_cmp_le_i32_e64 s0, s9, v2
	v_cmp_gt_i32_e64 s1, s9, v2
	v_cmp_gt_i32_e64 s2, s9, v4
	v_add_co_u32 v8, vcc_lo, s42, v8
	s_lshl_b64 s[8:9], s[38:39], 2
	s_lshl_b64 s[26:27], s[26:27], 2
	v_lshlrev_b64 v[12:13], 2, v[0:1]
	v_add_co_ci_u32_e32 v9, vcc_lo, s43, v9, vcc_lo
	s_add_u32 s8, s8, s26
	v_sub_co_u32 v10, vcc_lo, v2, v0
	s_addc_u32 s9, s9, s27
	s_add_u32 s8, s8, s24
	v_sub_co_ci_u32_e32 v11, vcc_lo, v3, v1, vcc_lo
	s_addc_u32 s9, s9, s25
	s_add_u32 s24, s8, 64
	v_add_co_u32 v14, vcc_lo, v12, 64
	s_addc_u32 s25, s9, 0
	s_lshl_b64 s[26:27], s[28:29], 2
	s_lshl_b32 s9, s34, 5
	v_add_co_ci_u32_e32 v15, vcc_lo, 0, v13, vcc_lo
	s_add_u32 s6, s16, s6
	s_addc_u32 s7, s17, s7
	s_add_u32 s4, s6, s4
	s_addc_u32 s5, s7, s5
	v_mul_lo_u32 v21, s20, v15
	v_mad_u64_u32 v[12:13], null, s20, v14, s[4:5]
	v_mul_lo_u32 v22, s21, v14
	v_add_co_u32 v14, vcc_lo, v10, 16
	v_add_co_ci_u32_e32 v15, vcc_lo, 0, v11, vcc_lo
	v_add_co_u32 v16, vcc_lo, v10, -16
	v_cmp_le_i64_e64 s3, s[12:13], v[6:7]
	v_lshlrev_b64 v[18:19], 2, v[2:3]
	v_ashrrev_i32_e32 v5, 31, v4
	v_add_co_ci_u32_e32 v17, vcc_lo, -1, v11, vcc_lo
	v_add3_u32 v13, v22, v13, v21
	s_mov_b32 s20, s10
	s_branch .LBB3_4
.LBB3_3:                                ;   in Loop: Header=BB3_4 Depth=1
	s_or_b32 exec_lo, exec_lo, s4
	v_add_nc_u32_e32 v20, s9, v20
	s_add_i32 s14, s34, s14
	s_delay_alu instid0(SALU_CYCLE_1)
	s_cmp_le_i32 s14, s33
	s_cbranch_scc0 .LBB3_63
.LBB3_4:                                ; =>This Loop Header: Depth=1
                                        ;     Child Loop BB3_7 Depth 2
	v_lshl_add_u32 v41, s14, 5, v34
	v_dual_mov_b32 v45, 0 :: v_dual_mov_b32 v44, 0
	v_dual_mov_b32 v42, 0 :: v_dual_mov_b32 v21, 0
	s_delay_alu instid0(VALU_DEP_3)
	v_ashrrev_i32_e32 v43, 31, v41
	s_and_not1_b32 vcc_lo, exec_lo, s15
	s_cbranch_vccnz .LBB3_55
; %bb.5:                                ;   in Loop: Header=BB3_4 Depth=1
	v_ashrrev_i32_e32 v21, 31, v20
	v_mad_u64_u32 v[22:23], null, s26, v20, s[24:25]
	v_mul_lo_u32 v32, s27, v20
	v_mov_b32_e32 v29, v9
	s_delay_alu instid0(VALU_DEP_4) | instskip(SKIP_4) | instid1(VALU_DEP_4)
	v_lshlrev_b64 v[24:25], 2, v[20:21]
	v_mul_lo_u32 v33, s26, v21
	v_mov_b32_e32 v21, 0
	s_mov_b64 s[16:17], 0
	v_dual_mov_b32 v28, v8 :: v_dual_mov_b32 v45, 0
	v_add_co_u32 v26, vcc_lo, v24, 64
	v_add_co_ci_u32_e32 v24, vcc_lo, 0, v25, vcc_lo
	v_sub_co_u32 v30, vcc_lo, s20, v41
	s_delay_alu instid0(VALU_DEP_3) | instskip(NEXT) | instid1(VALU_DEP_3)
	v_mul_lo_u32 v44, s29, v26
	v_mul_lo_u32 v42, s28, v24
	v_mad_u64_u32 v[24:25], null, s28, v26, s[24:25]
	v_sub_co_ci_u32_e32 v31, vcc_lo, s37, v43, vcc_lo
	v_dual_mov_b32 v27, v13 :: v_dual_mov_b32 v26, v12
	v_add3_u32 v23, v32, v23, v33
	s_delay_alu instid0(VALU_DEP_3)
	v_cmp_lt_i64_e32 vcc_lo, 0, v[30:31]
	v_cmp_lt_i64_e64 s4, 16, v[30:31]
	v_add3_u32 v25, v44, v25, v42
	v_mov_b32_e32 v42, 0
	v_mov_b32_e32 v44, 0
	s_branch .LBB3_7
.LBB3_6:                                ;   in Loop: Header=BB3_7 Depth=2
	s_or_b32 exec_lo, exec_lo, s6
	s_waitcnt lgkmcnt(0)
	s_waitcnt_vscnt null, 0x0
	s_barrier
	buffer_gl0_inv
	ds_load_2addr_b32 v[73:74], v35 offset1:16
	ds_load_b128 v[30:33], v36
	ds_load_b128 v[46:49], v36 offset:2048
	ds_load_2addr_b32 v[75:76], v35 offset0:32 offset1:48
	ds_load_b128 v[50:53], v36 offset:16
	ds_load_2addr_b32 v[81:82], v35 offset0:64 offset1:80
	ds_load_b128 v[54:57], v36 offset:32
	ds_load_b128 v[58:61], v36 offset:48
	ds_load_2addr_b32 v[83:84], v35 offset0:96 offset1:112
	ds_load_2addr_b32 v[85:86], v35 offset0:128 offset1:144
	ds_load_b128 v[62:65], v36 offset:2064
	ds_load_2addr_b32 v[87:88], v35 offset0:160 offset1:176
	ds_load_2addr_b32 v[89:90], v35 offset0:192 offset1:208
	;; [unrolled: 1-line block ×3, first 2 shown]
	v_add_nc_u32_e32 v93, 0x400, v35
	v_add_co_u32 v22, s5, 0x80, v22
	s_delay_alu instid0(VALU_DEP_1)
	v_add_co_ci_u32_e64 v23, s5, 0, v23, s5
	v_add_co_u32 v28, s5, v28, s18
	s_waitcnt lgkmcnt(12)
	v_fmac_f32_e32 v44, v74, v30
	v_fmac_f32_e32 v45, v73, v30
	v_add_co_ci_u32_e64 v29, s5, s19, v29, s5
	v_add_co_u32 v26, s5, v26, s18
	s_waitcnt lgkmcnt(10)
	v_fmac_f32_e32 v44, v76, v31
	v_dual_fmac_f32 v42, v73, v46 :: v_dual_fmac_f32 v45, v75, v31
	v_dual_fmac_f32 v21, v74, v46 :: v_dual_add_nc_u32 v94, 0x800, v35
	s_waitcnt lgkmcnt(8)
	s_delay_alu instid0(VALU_DEP_3) | instskip(NEXT) | instid1(VALU_DEP_3)
	v_fmac_f32_e32 v44, v82, v32
	v_dual_fmac_f32 v42, v75, v47 :: v_dual_fmac_f32 v45, v81, v32
	s_delay_alu instid0(VALU_DEP_3)
	v_fmac_f32_e32 v21, v76, v47
	ds_load_b128 v[66:69], v36 offset:2080
	ds_load_b128 v[70:73], v36 offset:2096
	s_waitcnt lgkmcnt(7)
	v_fmac_f32_e32 v44, v84, v33
	v_dual_fmac_f32 v42, v81, v48 :: v_dual_fmac_f32 v45, v83, v33
	v_fmac_f32_e32 v21, v82, v48
	ds_load_b128 v[74:77], v36 offset:64
	ds_load_b128 v[78:81], v36 offset:80
	ds_load_2addr_b32 v[30:31], v93 offset1:16
	s_waitcnt lgkmcnt(9)
	v_dual_fmac_f32 v42, v83, v49 :: v_dual_fmac_f32 v45, v85, v50
	v_dual_fmac_f32 v21, v84, v49 :: v_dual_fmac_f32 v44, v86, v50
	ds_load_2addr_b32 v[32:33], v93 offset0:32 offset1:48
	s_waitcnt lgkmcnt(8)
	v_dual_fmac_f32 v42, v85, v62 :: v_dual_fmac_f32 v45, v87, v51
	v_dual_fmac_f32 v21, v86, v62 :: v_dual_fmac_f32 v44, v88, v51
	ds_load_2addr_b32 v[46:47], v93 offset0:64 offset1:80
	;; [unrolled: 4-line block ×7, first 2 shown]
	s_waitcnt lgkmcnt(4)
	v_dual_fmac_f32 v42, v46, v68 :: v_dual_fmac_f32 v45, v48, v57
	v_dual_fmac_f32 v21, v47, v68 :: v_dual_fmac_f32 v44, v49, v57
	ds_load_2addr_b32 v[56:57], v94 offset1:16
	s_waitcnt lgkmcnt(4)
	v_dual_fmac_f32 v42, v48, v69 :: v_dual_fmac_f32 v45, v50, v58
	v_dual_fmac_f32 v21, v49, v69 :: v_dual_fmac_f32 v44, v51, v58
	ds_load_b128 v[30:33], v36 offset:2112
	ds_load_b128 v[46:49], v36 offset:2128
	s_waitcnt lgkmcnt(5)
	v_dual_fmac_f32 v42, v50, v70 :: v_dual_fmac_f32 v45, v52, v59
	v_dual_fmac_f32 v21, v51, v70 :: v_dual_fmac_f32 v44, v53, v59
	ds_load_2addr_b32 v[50:51], v94 offset0:32 offset1:48
	s_waitcnt lgkmcnt(5)
	v_dual_fmac_f32 v42, v52, v71 :: v_dual_fmac_f32 v45, v54, v60
	v_dual_fmac_f32 v21, v53, v71 :: v_dual_fmac_f32 v44, v55, v60
	ds_load_2addr_b32 v[52:53], v94 offset0:64 offset1:80
	ds_load_2addr_b32 v[58:59], v94 offset0:128 offset1:144
	v_add_co_ci_u32_e64 v27, s5, s19, v27, s5
	v_fmac_f32_e32 v21, v55, v72
	v_fmac_f32_e32 v42, v54, v72
	s_waitcnt lgkmcnt(6)
	v_fmac_f32_e32 v44, v63, v61
	v_fmac_f32_e32 v45, v62, v61
	ds_load_2addr_b32 v[54:55], v94 offset0:96 offset1:112
	v_fmac_f32_e32 v21, v63, v73
	v_fmac_f32_e32 v42, v62, v73
	s_waitcnt lgkmcnt(6)
	v_fmac_f32_e32 v44, v57, v74
	v_fmac_f32_e32 v45, v56, v74
	ds_load_2addr_b32 v[60:61], v94 offset0:192 offset1:208
	s_waitcnt lgkmcnt(6)
	v_fmac_f32_e32 v21, v57, v30
	v_fmac_f32_e32 v42, v56, v30
	s_waitcnt lgkmcnt(4)
	v_fmac_f32_e32 v44, v51, v75
	v_fmac_f32_e32 v45, v50, v75
	ds_load_2addr_b32 v[56:57], v94 offset0:160 offset1:176
	v_fmac_f32_e32 v21, v51, v31
	v_fmac_f32_e32 v42, v50, v31
	s_waitcnt lgkmcnt(4)
	v_fmac_f32_e32 v44, v53, v76
	v_fmac_f32_e32 v45, v52, v76
	ds_load_2addr_b32 v[62:63], v94 offset0:224 offset1:240
	v_fmac_f32_e32 v21, v53, v32
	v_fmac_f32_e32 v42, v52, v32
	v_add_co_u32 v24, s5, 0x80, v24
	s_waitcnt lgkmcnt(3)
	v_fmac_f32_e32 v45, v54, v77
	v_fmac_f32_e32 v44, v55, v77
	v_dual_fmac_f32 v21, v55, v33 :: v_dual_add_nc_u32 v68, 0xc00, v35
	v_fmac_f32_e32 v42, v54, v33
	ds_load_2addr_b32 v[64:65], v68 offset1:16
	ds_load_b128 v[30:33], v36 offset:96
	v_fmac_f32_e32 v21, v59, v46
	v_fmac_f32_e32 v44, v59, v78
	;; [unrolled: 1-line block ×4, first 2 shown]
	ds_load_b128 v[50:53], v36 offset:2144
	ds_load_2addr_b32 v[58:59], v68 offset0:32 offset1:48
	s_waitcnt lgkmcnt(5)
	v_fmac_f32_e32 v44, v57, v79
	v_fmac_f32_e32 v45, v56, v79
	;; [unrolled: 1-line block ×4, first 2 shown]
	ds_load_2addr_b32 v[66:67], v68 offset0:64 offset1:80
	v_fmac_f32_e32 v44, v61, v80
	v_fmac_f32_e32 v45, v60, v80
	;; [unrolled: 1-line block ×4, first 2 shown]
	ds_load_2addr_b32 v[60:61], v68 offset0:96 offset1:112
	s_waitcnt lgkmcnt(6)
	v_fmac_f32_e32 v44, v63, v81
	v_fmac_f32_e32 v45, v62, v81
	;; [unrolled: 1-line block ×4, first 2 shown]
	ds_load_b128 v[46:49], v36 offset:112
	ds_load_2addr_b32 v[62:63], v68 offset0:128 offset1:144
	ds_load_b128 v[54:57], v36 offset:2160
	s_waitcnt lgkmcnt(7)
	v_fmac_f32_e32 v45, v64, v30
	v_fmac_f32_e32 v44, v65, v30
	v_add_co_ci_u32_e64 v25, s5, 0, v25, s5
	s_add_u32 s16, s16, 32
	s_waitcnt lgkmcnt(5)
	v_fmac_f32_e32 v45, v58, v31
	v_dual_fmac_f32 v21, v65, v50 :: v_dual_fmac_f32 v44, v59, v31
	v_fmac_f32_e32 v42, v64, v50
	ds_load_2addr_b32 v[64:65], v68 offset0:160 offset1:176
	ds_load_2addr_b32 v[30:31], v68 offset0:192 offset1:208
	v_fmac_f32_e32 v21, v59, v51
	s_waitcnt lgkmcnt(6)
	v_fmac_f32_e32 v44, v67, v32
	v_fmac_f32_e32 v42, v58, v51
	;; [unrolled: 1-line block ×3, first 2 shown]
	ds_load_2addr_b32 v[50:51], v68 offset0:224 offset1:240
	s_waitcnt lgkmcnt(6)
	v_dual_fmac_f32 v21, v67, v52 :: v_dual_fmac_f32 v44, v61, v33
	v_dual_fmac_f32 v42, v66, v52 :: v_dual_fmac_f32 v45, v60, v33
	s_addc_u32 s17, s17, 0
	s_delay_alu instid0(VALU_DEP_2)
	v_fmac_f32_e32 v21, v61, v53
	s_cmp_ge_i32 s16, s36
	s_waitcnt lgkmcnt(4)
	v_dual_fmac_f32 v42, v60, v53 :: v_dual_fmac_f32 v45, v62, v46
	v_fmac_f32_e32 v44, v63, v46
	s_waitcnt lgkmcnt(0)
	s_barrier
	buffer_gl0_inv
	v_fmac_f32_e32 v45, v64, v47
	v_dual_fmac_f32 v21, v63, v54 :: v_dual_fmac_f32 v44, v65, v47
	v_fmac_f32_e32 v42, v62, v54
	s_delay_alu instid0(VALU_DEP_3) | instskip(NEXT) | instid1(VALU_DEP_3)
	v_fmac_f32_e32 v45, v30, v48
	v_dual_fmac_f32 v21, v65, v55 :: v_dual_fmac_f32 v44, v31, v48
	s_delay_alu instid0(VALU_DEP_2) | instskip(NEXT) | instid1(VALU_DEP_2)
	v_dual_fmac_f32 v42, v64, v55 :: v_dual_fmac_f32 v45, v50, v49
	v_fmac_f32_e32 v21, v31, v56
	s_delay_alu instid0(VALU_DEP_3) | instskip(NEXT) | instid1(VALU_DEP_2)
	v_fmac_f32_e32 v44, v51, v49
	v_dual_fmac_f32 v42, v30, v56 :: v_dual_fmac_f32 v21, v51, v57
	s_delay_alu instid0(VALU_DEP_1)
	v_fmac_f32_e32 v42, v50, v57
	s_cbranch_scc1 .LBB3_55
.LBB3_7:                                ;   Parent Loop BB3_4 Depth=1
                                        ; =>  This Inner Loop Header: Depth=2
	v_add_co_u32 v30, s5, v0, s16
	s_delay_alu instid0(VALU_DEP_1) | instskip(SKIP_1) | instid1(VALU_DEP_2)
	v_add_co_ci_u32_e64 v31, s5, s17, v1, s5
	v_cmp_eq_u64_e64 s7, s[16:17], v[10:11]
	v_cmp_le_i64_e64 s6, s[12:13], v[30:31]
	v_cmp_lt_i64_e64 s5, v[30:31], v[2:3]
	s_delay_alu instid0(VALU_DEP_3) | instskip(NEXT) | instid1(VALU_DEP_1)
	s_and_b32 s38, s30, s7
	s_or_b32 s7, s6, s5
	s_delay_alu instid0(SALU_CYCLE_1) | instskip(SKIP_1) | instid1(VALU_DEP_1)
	s_or_b32 s8, s7, s38
	v_add_co_u32 v32, s7, v28, v18
	v_add_co_ci_u32_e64 v33, s7, v29, v19, s7
	s_or_b32 s7, s0, s8
	s_delay_alu instid0(SALU_CYCLE_1) | instskip(NEXT) | instid1(SALU_CYCLE_1)
	s_xor_b32 s7, s7, -1
	s_and_saveexec_b32 s8, s7
	s_delay_alu instid0(SALU_CYCLE_1)
	s_xor_b32 s7, exec_lo, s8
	s_cbranch_execz .LBB3_9
; %bb.8:                                ;   in Loop: Header=BB3_7 Depth=2
	global_load_b32 v46, v[32:33], off
	s_waitcnt vmcnt(0)
	ds_store_b32 v37, v46
.LBB3_9:                                ;   in Loop: Header=BB3_7 Depth=2
	s_or_saveexec_b32 s7, s7
	s_xor_b32 s21, s38, -1
	s_xor_b32 exec_lo, exec_lo, s7
	s_cbranch_execz .LBB3_15
; %bb.10:                               ;   in Loop: Header=BB3_7 Depth=2
	s_and_saveexec_b32 s8, s21
	s_delay_alu instid0(SALU_CYCLE_1)
	s_xor_b32 s8, exec_lo, s8
	s_cbranch_execz .LBB3_12
; %bb.11:                               ;   in Loop: Header=BB3_7 Depth=2
	ds_store_b32 v37, v39
.LBB3_12:                               ;   in Loop: Header=BB3_7 Depth=2
	s_and_not1_saveexec_b32 s8, s8
	s_cbranch_execz .LBB3_14
; %bb.13:                               ;   in Loop: Header=BB3_7 Depth=2
	ds_store_b32 v37, v40
.LBB3_14:                               ;   in Loop: Header=BB3_7 Depth=2
	s_or_b32 exec_lo, exec_lo, s8
.LBB3_15:                               ;   in Loop: Header=BB3_7 Depth=2
	s_delay_alu instid0(SALU_CYCLE_1) | instskip(SKIP_2) | instid1(VALU_DEP_2)
	s_or_b32 exec_lo, exec_lo, s7
	v_cmp_eq_u64_e64 s7, s[16:17], v[14:15]
	v_cmp_gt_i64_e64 s8, v[6:7], v[30:31]
	s_and_b32 s7, s30, s7
	s_delay_alu instid0(VALU_DEP_1) | instskip(NEXT) | instid1(SALU_CYCLE_1)
	s_or_b32 s6, s6, s8
	s_or_b32 s6, s6, s7
	s_delay_alu instid0(SALU_CYCLE_1) | instskip(NEXT) | instid1(SALU_CYCLE_1)
	s_or_b32 s6, s3, s6
	s_xor_b32 s6, s6, -1
	s_delay_alu instid0(SALU_CYCLE_1) | instskip(NEXT) | instid1(SALU_CYCLE_1)
	s_and_saveexec_b32 s8, s6
	s_xor_b32 s6, exec_lo, s8
	s_cbranch_execz .LBB3_17
; %bb.16:                               ;   in Loop: Header=BB3_7 Depth=2
	global_load_b32 v32, v[32:33], off offset:64
	s_waitcnt vmcnt(0)
	ds_store_b32 v37, v32 offset:64
.LBB3_17:                               ;   in Loop: Header=BB3_7 Depth=2
	s_and_not1_saveexec_b32 s6, s6
	s_cbranch_execz .LBB3_23
; %bb.18:                               ;   in Loop: Header=BB3_7 Depth=2
	s_xor_b32 s7, s7, -1
	s_delay_alu instid0(SALU_CYCLE_1) | instskip(NEXT) | instid1(SALU_CYCLE_1)
	s_and_saveexec_b32 s8, s7
	s_xor_b32 s7, exec_lo, s8
	s_cbranch_execz .LBB3_20
; %bb.19:                               ;   in Loop: Header=BB3_7 Depth=2
	ds_store_b32 v37, v39 offset:64
.LBB3_20:                               ;   in Loop: Header=BB3_7 Depth=2
	s_and_not1_saveexec_b32 s7, s7
	s_cbranch_execz .LBB3_22
; %bb.21:                               ;   in Loop: Header=BB3_7 Depth=2
	ds_store_b32 v37, v40 offset:64
.LBB3_22:                               ;   in Loop: Header=BB3_7 Depth=2
	s_or_b32 exec_lo, exec_lo, s7
.LBB3_23:                               ;   in Loop: Header=BB3_7 Depth=2
	s_delay_alu instid0(SALU_CYCLE_1) | instskip(SKIP_1) | instid1(VALU_DEP_1)
	s_or_b32 exec_lo, exec_lo, s6
	v_add_co_u32 v30, s6, v30, 16
	v_add_co_ci_u32_e64 v31, s6, 0, v31, s6
	v_cmp_eq_u64_e64 s7, s[16:17], v[16:17]
	s_delay_alu instid0(VALU_DEP_2) | instskip(SKIP_1) | instid1(VALU_DEP_3)
	v_cmp_le_i64_e64 s6, s[12:13], v[30:31]
	v_cmp_lt_i64_e64 s8, v[30:31], v[2:3]
	s_and_b32 s39, s30, s7
	s_delay_alu instid0(VALU_DEP_1) | instskip(NEXT) | instid1(SALU_CYCLE_1)
	s_or_b32 s7, s6, s8
	s_or_b32 s7, s7, s39
	s_delay_alu instid0(SALU_CYCLE_1) | instskip(NEXT) | instid1(SALU_CYCLE_1)
	s_or_b32 s7, s0, s7
	s_xor_b32 s7, s7, -1
	s_delay_alu instid0(SALU_CYCLE_1) | instskip(NEXT) | instid1(SALU_CYCLE_1)
	s_and_saveexec_b32 s8, s7
	s_xor_b32 s8, exec_lo, s8
	s_cbranch_execz .LBB3_25
; %bb.24:                               ;   in Loop: Header=BB3_7 Depth=2
	v_add_co_u32 v30, s7, v26, v18
	s_delay_alu instid0(VALU_DEP_1)
	v_add_co_ci_u32_e64 v31, s7, v27, v19, s7
	global_load_b32 v30, v[30:31], off
	s_waitcnt vmcnt(0)
	ds_store_b32 v37, v30 offset:2048
.LBB3_25:                               ;   in Loop: Header=BB3_7 Depth=2
	s_and_not1_saveexec_b32 s7, s8
	s_cbranch_execz .LBB3_31
; %bb.26:                               ;   in Loop: Header=BB3_7 Depth=2
	s_xor_b32 s8, s39, -1
	s_delay_alu instid0(SALU_CYCLE_1) | instskip(NEXT) | instid1(SALU_CYCLE_1)
	s_and_saveexec_b32 s39, s8
	s_xor_b32 s8, exec_lo, s39
	s_cbranch_execz .LBB3_28
; %bb.27:                               ;   in Loop: Header=BB3_7 Depth=2
	ds_store_b32 v37, v39 offset:2048
.LBB3_28:                               ;   in Loop: Header=BB3_7 Depth=2
	s_and_not1_saveexec_b32 s8, s8
	s_cbranch_execz .LBB3_30
; %bb.29:                               ;   in Loop: Header=BB3_7 Depth=2
	ds_store_b32 v37, v40 offset:2048
.LBB3_30:                               ;   in Loop: Header=BB3_7 Depth=2
	s_or_b32 exec_lo, exec_lo, s8
.LBB3_31:                               ;   in Loop: Header=BB3_7 Depth=2
	s_delay_alu instid0(SALU_CYCLE_1) | instskip(SKIP_1) | instid1(SALU_CYCLE_1)
	s_or_b32 exec_lo, exec_lo, s7
	s_or_b32 s5, s6, s5
	s_or_b32 s5, s5, s38
	s_delay_alu instid0(SALU_CYCLE_1) | instskip(NEXT) | instid1(SALU_CYCLE_1)
	s_or_b32 s5, s3, s5
	s_xor_b32 s5, s5, -1
	s_delay_alu instid0(SALU_CYCLE_1) | instskip(NEXT) | instid1(SALU_CYCLE_1)
	s_and_saveexec_b32 s6, s5
	s_xor_b32 s6, exec_lo, s6
	s_cbranch_execz .LBB3_33
; %bb.32:                               ;   in Loop: Header=BB3_7 Depth=2
	v_add_co_u32 v30, s5, v26, v18
	s_delay_alu instid0(VALU_DEP_1)
	v_add_co_ci_u32_e64 v31, s5, v27, v19, s5
	global_load_b32 v30, v[30:31], off offset:64
	s_waitcnt vmcnt(0)
	ds_store_b32 v37, v30 offset:2112
.LBB3_33:                               ;   in Loop: Header=BB3_7 Depth=2
	s_and_not1_saveexec_b32 s5, s6
	s_cbranch_execz .LBB3_39
; %bb.34:                               ;   in Loop: Header=BB3_7 Depth=2
	s_and_saveexec_b32 s6, s21
	s_delay_alu instid0(SALU_CYCLE_1)
	s_xor_b32 s6, exec_lo, s6
	s_cbranch_execz .LBB3_36
; %bb.35:                               ;   in Loop: Header=BB3_7 Depth=2
	ds_store_b32 v37, v39 offset:2112
.LBB3_36:                               ;   in Loop: Header=BB3_7 Depth=2
	s_and_not1_saveexec_b32 s6, s6
	s_cbranch_execz .LBB3_38
; %bb.37:                               ;   in Loop: Header=BB3_7 Depth=2
	ds_store_b32 v37, v40 offset:2112
.LBB3_38:                               ;   in Loop: Header=BB3_7 Depth=2
	s_or_b32 exec_lo, exec_lo, s6
.LBB3_39:                               ;   in Loop: Header=BB3_7 Depth=2
	s_delay_alu instid0(SALU_CYCLE_1) | instskip(SKIP_1) | instid1(VALU_DEP_1)
	s_or_b32 exec_lo, exec_lo, s5
	v_add_co_u32 v32, s5, v2, s16
	v_add_co_ci_u32_e64 v33, s5, s17, v3, s5
	s_delay_alu instid0(VALU_DEP_1) | instskip(NEXT) | instid1(VALU_DEP_1)
	v_cmp_gt_i64_e64 s5, s[12:13], v[32:33]
	s_and_b32 s6, vcc_lo, s5
	s_delay_alu instid0(SALU_CYCLE_1) | instskip(NEXT) | instid1(SALU_CYCLE_1)
	s_xor_b32 s6, s6, -1
	s_and_saveexec_b32 s7, s6
	s_delay_alu instid0(SALU_CYCLE_1)
	s_xor_b32 s6, exec_lo, s7
	s_cbranch_execz .LBB3_41
; %bb.40:                               ;   in Loop: Header=BB3_7 Depth=2
	ds_store_b32 v38, v39
.LBB3_41:                               ;   in Loop: Header=BB3_7 Depth=2
	s_or_saveexec_b32 s7, s6
	v_add_co_u32 v30, s6, v22, v18
	s_delay_alu instid0(VALU_DEP_1)
	v_add_co_ci_u32_e64 v31, s6, v23, v19, s6
	s_xor_b32 exec_lo, exec_lo, s7
	s_cbranch_execz .LBB3_43
; %bb.42:                               ;   in Loop: Header=BB3_7 Depth=2
	global_load_b32 v46, v[30:31], off offset:-64
	s_waitcnt vmcnt(0)
	ds_store_b32 v38, v46
.LBB3_43:                               ;   in Loop: Header=BB3_7 Depth=2
	s_or_b32 exec_lo, exec_lo, s7
	v_cmp_gt_i64_e64 s6, s[22:23], v[32:33]
	s_delay_alu instid0(VALU_DEP_1) | instskip(NEXT) | instid1(SALU_CYCLE_1)
	s_and_b32 s7, vcc_lo, s6
	s_xor_b32 s7, s7, -1
	s_delay_alu instid0(SALU_CYCLE_1) | instskip(NEXT) | instid1(SALU_CYCLE_1)
	s_and_saveexec_b32 s8, s7
	s_xor_b32 s7, exec_lo, s8
	s_cbranch_execz .LBB3_45
; %bb.44:                               ;   in Loop: Header=BB3_7 Depth=2
	ds_store_b32 v38, v39 offset:64
                                        ; implicit-def: $vgpr30_vgpr31
.LBB3_45:                               ;   in Loop: Header=BB3_7 Depth=2
	s_and_not1_saveexec_b32 s7, s7
	s_cbranch_execz .LBB3_47
; %bb.46:                               ;   in Loop: Header=BB3_7 Depth=2
	global_load_b32 v30, v[30:31], off
	s_waitcnt vmcnt(0)
	ds_store_b32 v38, v30 offset:64
.LBB3_47:                               ;   in Loop: Header=BB3_7 Depth=2
	s_or_b32 exec_lo, exec_lo, s7
	s_and_b32 s5, s4, s5
	s_delay_alu instid0(SALU_CYCLE_1) | instskip(NEXT) | instid1(SALU_CYCLE_1)
	s_xor_b32 s5, s5, -1
	s_and_saveexec_b32 s7, s5
	s_delay_alu instid0(SALU_CYCLE_1)
	s_xor_b32 s5, exec_lo, s7
	s_cbranch_execz .LBB3_49
; %bb.48:                               ;   in Loop: Header=BB3_7 Depth=2
	ds_store_b32 v38, v39 offset:2048
.LBB3_49:                               ;   in Loop: Header=BB3_7 Depth=2
	s_and_not1_saveexec_b32 s7, s5
	s_cbranch_execz .LBB3_51
; %bb.50:                               ;   in Loop: Header=BB3_7 Depth=2
	v_add_co_u32 v30, s5, v24, v18
	s_delay_alu instid0(VALU_DEP_1)
	v_add_co_ci_u32_e64 v31, s5, v25, v19, s5
	global_load_b32 v30, v[30:31], off offset:-64
	s_waitcnt vmcnt(0)
	ds_store_b32 v38, v30 offset:2048
.LBB3_51:                               ;   in Loop: Header=BB3_7 Depth=2
	s_or_b32 exec_lo, exec_lo, s7
	s_and_b32 s5, s4, s6
	s_delay_alu instid0(SALU_CYCLE_1) | instskip(NEXT) | instid1(SALU_CYCLE_1)
	s_xor_b32 s5, s5, -1
	s_and_saveexec_b32 s6, s5
	s_delay_alu instid0(SALU_CYCLE_1)
	s_xor_b32 s5, exec_lo, s6
	s_cbranch_execz .LBB3_53
; %bb.52:                               ;   in Loop: Header=BB3_7 Depth=2
	ds_store_b32 v38, v39 offset:2112
.LBB3_53:                               ;   in Loop: Header=BB3_7 Depth=2
	s_and_not1_saveexec_b32 s6, s5
	s_cbranch_execz .LBB3_6
; %bb.54:                               ;   in Loop: Header=BB3_7 Depth=2
	v_add_co_u32 v30, s5, v24, v18
	s_delay_alu instid0(VALU_DEP_1)
	v_add_co_ci_u32_e64 v31, s5, v25, v19, s5
	global_load_b32 v30, v[30:31], off
	s_waitcnt vmcnt(0)
	ds_store_b32 v38, v30 offset:2112
	s_branch .LBB3_6
.LBB3_55:                               ;   in Loop: Header=BB3_4 Depth=1
	s_delay_alu instid0(VALU_DEP_1) | instskip(SKIP_3) | instid1(VALU_DEP_2)
	v_mul_lo_u32 v24, v43, s40
	v_mul_lo_u32 v25, v41, s41
	v_mad_u64_u32 v[22:23], null, v41, s40, 0
	v_cmp_gt_i32_e32 vcc_lo, s10, v41
	v_add3_u32 v23, v23, v25, v24
	s_delay_alu instid0(VALU_DEP_1) | instskip(NEXT) | instid1(VALU_DEP_1)
	v_lshlrev_b64 v[22:23], 2, v[22:23]
	v_add_co_u32 v22, s4, s31, v22
	s_delay_alu instid0(VALU_DEP_1) | instskip(SKIP_1) | instid1(SALU_CYCLE_1)
	v_add_co_ci_u32_e64 v23, s4, s35, v23, s4
	s_and_b32 s4, s1, vcc_lo
	s_and_saveexec_b32 s5, s4
	s_cbranch_execz .LBB3_57
; %bb.56:                               ;   in Loop: Header=BB3_4 Depth=1
	v_add_co_u32 v24, s4, v22, v18
	s_delay_alu instid0(VALU_DEP_1)
	v_add_co_ci_u32_e64 v25, s4, v23, v19, s4
	global_load_b32 v26, v[24:25], off
	s_waitcnt vmcnt(0)
	v_fmac_f32_e32 v26, s11, v45
	global_store_b32 v[24:25], v26, off
.LBB3_57:                               ;   in Loop: Header=BB3_4 Depth=1
	s_or_b32 exec_lo, exec_lo, s5
	s_and_b32 s5, s2, vcc_lo
	s_delay_alu instid0(SALU_CYCLE_1)
	s_and_saveexec_b32 s4, s5
	s_cbranch_execz .LBB3_59
; %bb.58:                               ;   in Loop: Header=BB3_4 Depth=1
	v_lshlrev_b64 v[24:25], 2, v[4:5]
	s_delay_alu instid0(VALU_DEP_1) | instskip(NEXT) | instid1(VALU_DEP_2)
	v_add_co_u32 v22, vcc_lo, v22, v24
	v_add_co_ci_u32_e32 v23, vcc_lo, v23, v25, vcc_lo
	global_load_b32 v24, v[22:23], off
	s_waitcnt vmcnt(0)
	v_fmac_f32_e32 v24, s11, v44
	global_store_b32 v[22:23], v24, off
.LBB3_59:                               ;   in Loop: Header=BB3_4 Depth=1
	s_or_b32 exec_lo, exec_lo, s4
	v_add_nc_u32_e32 v24, 16, v41
	s_delay_alu instid0(VALU_DEP_1) | instskip(SKIP_3) | instid1(VALU_DEP_4)
	v_ashrrev_i32_e32 v25, 31, v24
	v_mul_lo_u32 v26, v24, s41
	v_mad_u64_u32 v[22:23], null, v24, s40, 0
	v_cmp_gt_i32_e32 vcc_lo, s10, v24
	v_mul_lo_u32 v25, v25, s40
	s_delay_alu instid0(VALU_DEP_1) | instskip(NEXT) | instid1(VALU_DEP_1)
	v_add3_u32 v23, v23, v26, v25
	v_lshlrev_b64 v[22:23], 2, v[22:23]
	s_delay_alu instid0(VALU_DEP_1) | instskip(NEXT) | instid1(VALU_DEP_1)
	v_add_co_u32 v22, s4, s31, v22
	v_add_co_ci_u32_e64 v23, s4, s35, v23, s4
	s_and_b32 s4, s1, vcc_lo
	s_delay_alu instid0(SALU_CYCLE_1)
	s_and_saveexec_b32 s5, s4
	s_cbranch_execz .LBB3_61
; %bb.60:                               ;   in Loop: Header=BB3_4 Depth=1
	v_add_co_u32 v24, s4, v22, v18
	s_delay_alu instid0(VALU_DEP_1)
	v_add_co_ci_u32_e64 v25, s4, v23, v19, s4
	global_load_b32 v26, v[24:25], off
	s_waitcnt vmcnt(0)
	v_fmac_f32_e32 v26, s11, v42
	global_store_b32 v[24:25], v26, off
.LBB3_61:                               ;   in Loop: Header=BB3_4 Depth=1
	s_or_b32 exec_lo, exec_lo, s5
	s_and_b32 s5, s2, vcc_lo
	s_delay_alu instid0(SALU_CYCLE_1)
	s_and_saveexec_b32 s4, s5
	s_cbranch_execz .LBB3_3
; %bb.62:                               ;   in Loop: Header=BB3_4 Depth=1
	v_lshlrev_b64 v[24:25], 2, v[4:5]
	s_delay_alu instid0(VALU_DEP_1) | instskip(NEXT) | instid1(VALU_DEP_2)
	v_add_co_u32 v22, vcc_lo, v22, v24
	v_add_co_ci_u32_e32 v23, vcc_lo, v23, v25, vcc_lo
	global_load_b32 v24, v[22:23], off
	s_waitcnt vmcnt(0)
	v_fmac_f32_e32 v24, s11, v21
	global_store_b32 v[22:23], v24, off
	s_branch .LBB3_3
.LBB3_63:
	s_nop 0
	s_sendmsg sendmsg(MSG_DEALLOC_VGPRS)
	s_endpgm
	.section	.rodata,"a",@progbits
	.p2align	6, 0x0
	.amdhsa_kernel _ZL30rocblas_trmm_outofplace_kernelIfLi32ELi2ELb1ELb1ELb0ELb0EfKffEv17rocblas_diagonal_iiT6_lPT7_lllS4_lllPT8_llli
		.amdhsa_group_segment_fixed_size 8192
		.amdhsa_private_segment_fixed_size 0
		.amdhsa_kernarg_size 384
		.amdhsa_user_sgpr_count 13
		.amdhsa_user_sgpr_dispatch_ptr 0
		.amdhsa_user_sgpr_queue_ptr 0
		.amdhsa_user_sgpr_kernarg_segment_ptr 1
		.amdhsa_user_sgpr_dispatch_id 0
		.amdhsa_user_sgpr_private_segment_size 0
		.amdhsa_wavefront_size32 1
		.amdhsa_uses_dynamic_stack 0
		.amdhsa_enable_private_segment 0
		.amdhsa_system_sgpr_workgroup_id_x 1
		.amdhsa_system_sgpr_workgroup_id_y 1
		.amdhsa_system_sgpr_workgroup_id_z 1
		.amdhsa_system_sgpr_workgroup_info 0
		.amdhsa_system_vgpr_workitem_id 1
		.amdhsa_next_free_vgpr 95
		.amdhsa_next_free_sgpr 44
		.amdhsa_reserve_vcc 1
		.amdhsa_float_round_mode_32 0
		.amdhsa_float_round_mode_16_64 0
		.amdhsa_float_denorm_mode_32 3
		.amdhsa_float_denorm_mode_16_64 3
		.amdhsa_dx10_clamp 1
		.amdhsa_ieee_mode 1
		.amdhsa_fp16_overflow 0
		.amdhsa_workgroup_processor_mode 1
		.amdhsa_memory_ordered 1
		.amdhsa_forward_progress 0
		.amdhsa_shared_vgpr_count 0
		.amdhsa_exception_fp_ieee_invalid_op 0
		.amdhsa_exception_fp_denorm_src 0
		.amdhsa_exception_fp_ieee_div_zero 0
		.amdhsa_exception_fp_ieee_overflow 0
		.amdhsa_exception_fp_ieee_underflow 0
		.amdhsa_exception_fp_ieee_inexact 0
		.amdhsa_exception_int_div_zero 0
	.end_amdhsa_kernel
	.section	.text._ZL30rocblas_trmm_outofplace_kernelIfLi32ELi2ELb1ELb1ELb0ELb0EfKffEv17rocblas_diagonal_iiT6_lPT7_lllS4_lllPT8_llli,"axG",@progbits,_ZL30rocblas_trmm_outofplace_kernelIfLi32ELi2ELb1ELb1ELb0ELb0EfKffEv17rocblas_diagonal_iiT6_lPT7_lllS4_lllPT8_llli,comdat
.Lfunc_end3:
	.size	_ZL30rocblas_trmm_outofplace_kernelIfLi32ELi2ELb1ELb1ELb0ELb0EfKffEv17rocblas_diagonal_iiT6_lPT7_lllS4_lllPT8_llli, .Lfunc_end3-_ZL30rocblas_trmm_outofplace_kernelIfLi32ELi2ELb1ELb1ELb0ELb0EfKffEv17rocblas_diagonal_iiT6_lPT7_lllS4_lllPT8_llli
                                        ; -- End function
	.section	.AMDGPU.csdata,"",@progbits
; Kernel info:
; codeLenInByte = 3492
; NumSgprs: 46
; NumVgprs: 95
; ScratchSize: 0
; MemoryBound: 0
; FloatMode: 240
; IeeeMode: 1
; LDSByteSize: 8192 bytes/workgroup (compile time only)
; SGPRBlocks: 5
; VGPRBlocks: 11
; NumSGPRsForWavesPerEU: 46
; NumVGPRsForWavesPerEU: 95
; Occupancy: 16
; WaveLimiterHint : 0
; COMPUTE_PGM_RSRC2:SCRATCH_EN: 0
; COMPUTE_PGM_RSRC2:USER_SGPR: 13
; COMPUTE_PGM_RSRC2:TRAP_HANDLER: 0
; COMPUTE_PGM_RSRC2:TGID_X_EN: 1
; COMPUTE_PGM_RSRC2:TGID_Y_EN: 1
; COMPUTE_PGM_RSRC2:TGID_Z_EN: 1
; COMPUTE_PGM_RSRC2:TIDIG_COMP_CNT: 1
	.section	.text._ZL30rocblas_trmm_outofplace_kernelIfLi32ELi2ELb1ELb0ELb1ELb0EPKfS0_fEv17rocblas_diagonal_iiT6_lPT7_lllS5_lllPT8_llli,"axG",@progbits,_ZL30rocblas_trmm_outofplace_kernelIfLi32ELi2ELb1ELb0ELb1ELb0EPKfS0_fEv17rocblas_diagonal_iiT6_lPT7_lllS5_lllPT8_llli,comdat
	.globl	_ZL30rocblas_trmm_outofplace_kernelIfLi32ELi2ELb1ELb0ELb1ELb0EPKfS0_fEv17rocblas_diagonal_iiT6_lPT7_lllS5_lllPT8_llli ; -- Begin function _ZL30rocblas_trmm_outofplace_kernelIfLi32ELi2ELb1ELb0ELb1ELb0EPKfS0_fEv17rocblas_diagonal_iiT6_lPT7_lllS5_lllPT8_llli
	.p2align	8
	.type	_ZL30rocblas_trmm_outofplace_kernelIfLi32ELi2ELb1ELb0ELb1ELb0EPKfS0_fEv17rocblas_diagonal_iiT6_lPT7_lllS5_lllPT8_llli,@function
_ZL30rocblas_trmm_outofplace_kernelIfLi32ELi2ELb1ELb0ELb1ELb0EPKfS0_fEv17rocblas_diagonal_iiT6_lPT7_lllS5_lllPT8_llli: ; @_ZL30rocblas_trmm_outofplace_kernelIfLi32ELi2ELb1ELb0ELb1ELb0EPKfS0_fEv17rocblas_diagonal_iiT6_lPT7_lllS5_lllPT8_llli
; %bb.0:
	s_load_b512 s[16:31], s[0:1], 0x10
	s_waitcnt lgkmcnt(0)
	s_mul_i32 s2, s15, s19
	s_mul_hi_u32 s3, s15, s18
	s_delay_alu instid0(SALU_CYCLE_1) | instskip(SKIP_1) | instid1(SALU_CYCLE_1)
	s_add_i32 s3, s3, s2
	s_mul_i32 s2, s15, s18
	s_lshl_b64 s[2:3], s[2:3], 2
	s_delay_alu instid0(SALU_CYCLE_1) | instskip(SKIP_4) | instid1(VALU_DEP_1)
	s_add_u32 s2, s16, s2
	s_addc_u32 s3, s17, s3
	s_load_b32 s33, s[2:3], 0x0
	s_waitcnt lgkmcnt(0)
	v_cmp_eq_f32_e64 s2, s33, 0
	s_and_b32 vcc_lo, exec_lo, s2
	s_cbranch_vccnz .LBB4_63
; %bb.1:
	s_load_b128 s[8:11], s[0:1], 0x0
	s_waitcnt lgkmcnt(0)
	s_add_i32 s2, s10, -1
	s_delay_alu instid0(SALU_CYCLE_1) | instskip(NEXT) | instid1(SALU_CYCLE_1)
	s_ashr_i32 s3, s2, 31
	s_lshr_b32 s3, s3, 27
	s_delay_alu instid0(SALU_CYCLE_1) | instskip(NEXT) | instid1(SALU_CYCLE_1)
	s_add_i32 s2, s2, s3
	s_ashr_i32 s11, s2, 5
	s_delay_alu instid0(SALU_CYCLE_1)
	s_cmp_gt_i32 s14, s11
	s_cbranch_scc1 .LBB4_63
; %bb.2:
	s_clause 0x1
	s_load_b128 s[16:19], s[0:1], 0x70
	s_load_b256 s[36:43], s[0:1], 0x50
	s_mul_i32 s3, s15, s27
	s_mul_hi_u32 s4, s15, s26
	s_mul_i32 s2, s15, s26
	s_add_i32 s3, s4, s3
	s_load_b32 s26, s[0:1], 0x8c
	s_lshl_b64 s[4:5], s[2:3], 2
	v_bfe_u32 v28, v0, 10, 10
	s_add_u32 s2, s20, s4
	s_addc_u32 s3, s21, s5
	s_lshl_b64 s[6:7], s[22:23], 2
	v_dual_mov_b32 v37, 0 :: v_dual_and_b32 v0, 0x3ff, v0
	s_add_u32 s2, s2, s6
	s_addc_u32 s3, s3, s7
	v_dual_mov_b32 v38, 1.0 :: v_dual_lshlrev_b32 v1, 7, v28
	s_delay_alu instid0(VALU_DEP_2)
	v_lshlrev_b32_e32 v29, 2, v0
	s_waitcnt lgkmcnt(0)
	s_mul_i32 s1, s15, s19
	s_mul_hi_u32 s12, s15, s18
	s_mul_i32 s0, s15, s18
	s_add_i32 s1, s12, s1
	v_add_nc_u32_e32 v30, 0x1000, v1
	s_lshl_b64 s[0:1], s[0:1], 2
	v_add_nc_u32_e32 v31, v29, v1
	s_add_u32 s12, s40, s0
	s_addc_u32 s18, s41, s1
	s_lshl_b64 s[0:1], s[42:43], 2
	s_mul_hi_u32 s22, s38, s15
	s_add_u32 s27, s12, s0
	s_addc_u32 s34, s18, s1
	s_lshl_b32 s0, s13, 5
	s_mov_b32 s12, s9
	v_add_nc_u32_e32 v0, s0, v0
	v_add_nc_u32_e32 v2, s0, v28
	s_sub_i32 s35, s9, s0
	v_add_nc_u32_e32 v32, v30, v29
	s_cmp_gt_i32 s35, 0
	v_ashrrev_i32_e32 v1, 31, v0
	v_mul_lo_u32 v7, v0, s25
	v_mad_u64_u32 v[5:6], null, v0, s24, 0
	v_ashrrev_i32_e32 v3, 31, v2
	s_delay_alu instid0(VALU_DEP_4)
	v_mul_lo_u32 v8, v1, s24
	v_add_nc_u32_e32 v4, 16, v0
	s_cselect_b32 s40, -1, 0
	s_cmpk_eq_i32 s8, 0x84
	v_lshlrev_b64 v[18:19], 2, v[2:3]
	s_cselect_b32 s41, -1, 0
	s_ashr_i32 s13, s9, 31
	s_ashr_i32 s42, s10, 31
	v_add3_u32 v6, v6, v7, v8
	s_mul_i32 s8, s39, s15
	s_add_u32 s18, s9, -16
	v_cmp_le_i32_e64 s0, s9, v0
	s_addc_u32 s19, s13, -1
	v_lshlrev_b64 v[8:9], 2, v[5:6]
	v_add_co_u32 v6, vcc_lo, v0, 16
	v_add_co_ci_u32_e32 v7, vcc_lo, 0, v1, vcc_lo
	s_delay_alu instid0(VALU_DEP_3) | instskip(NEXT) | instid1(VALU_DEP_4)
	v_add_co_u32 v5, vcc_lo, s2, v8
	v_add_co_ci_u32_e32 v8, vcc_lo, s3, v9, vcc_lo
	v_cmp_gt_i32_e64 s2, s9, v0
	s_delay_alu instid0(VALU_DEP_3) | instskip(NEXT) | instid1(VALU_DEP_3)
	v_add_co_u32 v33, vcc_lo, v5, v18
	v_add_co_ci_u32_e32 v34, vcc_lo, v8, v19, vcc_lo
	v_lshlrev_b64 v[8:9], 2, v[0:1]
	v_cmp_gt_i32_e64 s3, s9, v4
	s_add_i32 s9, s22, s8
	s_mul_i32 s8, s38, s15
	v_sub_co_u32 v10, vcc_lo, v0, v2
	s_lshl_b64 s[8:9], s[8:9], 2
	s_lshl_b64 s[22:23], s[30:31], 2
	v_sub_co_ci_u32_e32 v11, vcc_lo, v1, v3, vcc_lo
	s_add_u32 s8, s8, s22
	v_add_co_u32 v16, vcc_lo, v8, 64
	s_addc_u32 s9, s9, s23
	v_add_co_ci_u32_e32 v17, vcc_lo, 0, v9, vcc_lo
	s_add_u32 s8, s28, s8
	s_addc_u32 s15, s29, s9
	s_lshl_b64 s[22:23], s[36:37], 2
	s_lshl_b32 s9, s26, 5
	s_add_u32 s4, s6, s4
	s_addc_u32 s5, s7, s5
	v_mul_lo_u32 v22, s24, v17
	v_mul_lo_u32 v23, s25, v16
	v_mad_u64_u32 v[20:21], null, s24, v16, s[4:5]
	v_add_co_u32 v12, vcc_lo, v10, 16
	v_add_co_ci_u32_e32 v13, vcc_lo, 0, v11, vcc_lo
	v_add_co_u32 v14, vcc_lo, v10, -16
	v_add_co_ci_u32_e32 v15, vcc_lo, -1, v11, vcc_lo
	v_add3_u32 v21, v23, v21, v22
	v_add_co_u32 v16, vcc_lo, v16, s8
	v_add_co_ci_u32_e32 v17, vcc_lo, s15, v17, vcc_lo
	v_add_co_u32 v20, vcc_lo, v20, v18
	s_delay_alu instid0(VALU_DEP_4) | instskip(SKIP_1) | instid1(VALU_DEP_3)
	v_add_co_ci_u32_e32 v19, vcc_lo, v21, v19, vcc_lo
	v_cmp_le_i64_e64 s1, s[12:13], v[6:7]
	v_add_co_u32 v35, vcc_lo, s20, v20
	v_ashrrev_i32_e32 v5, 31, v4
	v_lshl_add_u32 v18, s14, 5, v28
	v_add_co_ci_u32_e32 v36, vcc_lo, s21, v19, vcc_lo
	s_branch .LBB4_4
.LBB4_3:                                ;   in Loop: Header=BB4_4 Depth=1
	s_or_b32 exec_lo, exec_lo, s4
	v_add_nc_u32_e32 v18, s9, v18
	s_add_i32 s14, s26, s14
	s_delay_alu instid0(SALU_CYCLE_1)
	s_cmp_le_i32 s14, s11
	s_cbranch_scc0 .LBB4_63
.LBB4_4:                                ; =>This Loop Header: Depth=1
                                        ;     Child Loop BB4_7 Depth 2
	v_lshl_add_u32 v39, s14, 5, v28
	v_dual_mov_b32 v43, 0 :: v_dual_mov_b32 v40, 0
	v_mov_b32_e32 v41, 0
	v_mov_b32_e32 v19, 0
	s_delay_alu instid0(VALU_DEP_4)
	v_ashrrev_i32_e32 v42, 31, v39
	s_and_not1_b32 vcc_lo, exec_lo, s40
	s_cbranch_vccnz .LBB4_55
; %bb.5:                                ;   in Loop: Header=BB4_4 Depth=1
	v_ashrrev_i32_e32 v19, 31, v18
	v_mad_u64_u32 v[20:21], null, s22, v18, v[16:17]
	v_mul_lo_u32 v26, s23, v18
	v_mov_b32_e32 v41, 0
	s_delay_alu instid0(VALU_DEP_4) | instskip(SKIP_4) | instid1(VALU_DEP_3)
	v_lshlrev_b64 v[22:23], 2, v[18:19]
	v_mul_lo_u32 v43, s22, v19
	v_dual_mov_b32 v19, 0 :: v_dual_mov_b32 v40, 0
	s_mov_b64 s[20:21], 0
	s_mov_b64 s[24:25], 0
	v_add_co_u32 v27, vcc_lo, v22, 64
	v_add_co_ci_u32_e32 v22, vcc_lo, 0, v23, vcc_lo
	v_sub_co_u32 v24, vcc_lo, s10, v39
	s_delay_alu instid0(VALU_DEP_3) | instskip(NEXT) | instid1(VALU_DEP_3)
	v_mul_lo_u32 v45, s37, v27
	v_mul_lo_u32 v44, s36, v22
	v_mad_u64_u32 v[22:23], null, s36, v27, v[16:17]
	v_sub_co_ci_u32_e32 v25, vcc_lo, s42, v42, vcc_lo
	v_add3_u32 v21, v26, v21, v43
	v_mov_b32_e32 v43, 0
	s_delay_alu instid0(VALU_DEP_3)
	v_cmp_lt_i64_e32 vcc_lo, 0, v[24:25]
	v_cmp_lt_i64_e64 s4, 16, v[24:25]
	v_add3_u32 v23, v45, v23, v44
	s_branch .LBB4_7
.LBB4_6:                                ;   in Loop: Header=BB4_7 Depth=2
	s_or_b32 exec_lo, exec_lo, s6
	s_waitcnt lgkmcnt(0)
	s_waitcnt_vscnt null, 0x0
	s_barrier
	buffer_gl0_inv
	ds_load_2addr_b32 v[71:72], v29 offset1:16
	ds_load_b128 v[24:27], v30
	ds_load_b128 v[44:47], v30 offset:2048
	ds_load_2addr_b32 v[73:74], v29 offset0:32 offset1:48
	ds_load_b128 v[48:51], v30 offset:16
	ds_load_2addr_b32 v[79:80], v29 offset0:64 offset1:80
	ds_load_b128 v[52:55], v30 offset:32
	ds_load_b128 v[56:59], v30 offset:48
	ds_load_2addr_b32 v[81:82], v29 offset0:96 offset1:112
	ds_load_2addr_b32 v[83:84], v29 offset0:128 offset1:144
	ds_load_b128 v[60:63], v30 offset:2064
	ds_load_2addr_b32 v[85:86], v29 offset0:160 offset1:176
	ds_load_2addr_b32 v[87:88], v29 offset0:192 offset1:208
	;; [unrolled: 1-line block ×3, first 2 shown]
	v_add_nc_u32_e32 v91, 0x400, v29
	s_add_u32 s24, s24, 32
	s_addc_u32 s25, s25, 0
	s_add_u32 s20, s20, 0x80
	v_add_nc_u32_e32 v92, 0x800, v29
	s_addc_u32 s21, s21, 0
	s_cmp_ge_i32 s24, s35
	s_waitcnt lgkmcnt(12)
	v_fmac_f32_e32 v41, v72, v24
	s_waitcnt lgkmcnt(11)
	v_fmac_f32_e32 v40, v71, v44
	v_fmac_f32_e32 v43, v71, v24
	ds_load_b128 v[64:67], v30 offset:2080
	ds_load_b128 v[68:71], v30 offset:2096
	s_waitcnt lgkmcnt(12)
	v_dual_fmac_f32 v40, v73, v45 :: v_dual_fmac_f32 v19, v72, v44
	s_waitcnt lgkmcnt(10)
	s_delay_alu instid0(VALU_DEP_1) | instskip(SKIP_1) | instid1(VALU_DEP_1)
	v_dual_fmac_f32 v40, v79, v46 :: v_dual_fmac_f32 v41, v74, v25
	s_waitcnt lgkmcnt(7)
	v_fmac_f32_e32 v40, v81, v47
	s_waitcnt lgkmcnt(5)
	s_delay_alu instid0(VALU_DEP_1) | instskip(SKIP_1) | instid1(VALU_DEP_1)
	v_dual_fmac_f32 v43, v73, v25 :: v_dual_fmac_f32 v40, v83, v60
	s_waitcnt lgkmcnt(4)
	v_dual_fmac_f32 v43, v79, v26 :: v_dual_fmac_f32 v40, v85, v61
	v_fmac_f32_e32 v19, v74, v45
	ds_load_b128 v[72:75], v30 offset:64
	ds_load_b128 v[76:79], v30 offset:80
	ds_load_2addr_b32 v[24:25], v91 offset1:16
	ds_load_2addr_b32 v[44:45], v91 offset0:64 offset1:80
	s_waitcnt lgkmcnt(7)
	v_fmac_f32_e32 v40, v87, v62
	s_waitcnt lgkmcnt(6)
	s_delay_alu instid0(VALU_DEP_1) | instskip(SKIP_1) | instid1(VALU_DEP_2)
	v_dual_fmac_f32 v41, v80, v26 :: v_dual_fmac_f32 v40, v89, v63
	v_fmac_f32_e32 v43, v81, v27
	v_fmac_f32_e32 v41, v82, v27
	ds_load_2addr_b32 v[26:27], v91 offset0:32 offset1:48
	s_waitcnt lgkmcnt(2)
	v_fmac_f32_e32 v40, v24, v64
	s_waitcnt lgkmcnt(0)
	s_delay_alu instid0(VALU_DEP_1) | instskip(NEXT) | instid1(VALU_DEP_1)
	v_dual_fmac_f32 v19, v80, v46 :: v_dual_fmac_f32 v40, v26, v65
	v_dual_fmac_f32 v40, v44, v66 :: v_dual_fmac_f32 v43, v83, v48
	v_fmac_f32_e32 v41, v84, v48
	s_delay_alu instid0(VALU_DEP_2) | instskip(NEXT) | instid1(VALU_DEP_2)
	v_fmac_f32_e32 v43, v85, v49
	v_fmac_f32_e32 v41, v86, v49
	ds_load_2addr_b32 v[48:49], v91 offset0:128 offset1:144
	v_fmac_f32_e32 v19, v82, v47
	ds_load_2addr_b32 v[46:47], v91 offset0:96 offset1:112
	v_fmac_f32_e32 v43, v87, v50
	v_fmac_f32_e32 v41, v88, v50
	s_delay_alu instid0(VALU_DEP_2) | instskip(NEXT) | instid1(VALU_DEP_1)
	v_fmac_f32_e32 v43, v89, v51
	v_fmac_f32_e32 v43, v24, v52
	s_delay_alu instid0(VALU_DEP_1) | instskip(SKIP_1) | instid1(VALU_DEP_1)
	v_fmac_f32_e32 v43, v26, v53
	s_waitcnt lgkmcnt(0)
	v_dual_fmac_f32 v40, v46, v67 :: v_dual_fmac_f32 v43, v44, v54
	s_delay_alu instid0(VALU_DEP_1) | instskip(SKIP_1) | instid1(VALU_DEP_3)
	v_fmac_f32_e32 v40, v48, v68
	v_fmac_f32_e32 v19, v84, v60
	;; [unrolled: 1-line block ×3, first 2 shown]
	s_delay_alu instid0(VALU_DEP_2) | instskip(SKIP_3) | instid1(VALU_DEP_1)
	v_fmac_f32_e32 v19, v86, v61
	ds_load_2addr_b32 v[60:61], v91 offset0:224 offset1:240
	v_fmac_f32_e32 v43, v48, v56
	v_fmac_f32_e32 v19, v88, v62
	v_fmac_f32_e32 v19, v90, v63
	s_delay_alu instid0(VALU_DEP_1) | instskip(NEXT) | instid1(VALU_DEP_1)
	v_fmac_f32_e32 v19, v25, v64
	v_fmac_f32_e32 v19, v27, v65
	s_delay_alu instid0(VALU_DEP_1) | instskip(SKIP_4) | instid1(VALU_DEP_2)
	v_dual_fmac_f32 v19, v45, v66 :: v_dual_add_nc_u32 v66, 0xc00, v29
	v_fmac_f32_e32 v41, v90, v51
	ds_load_2addr_b32 v[50:51], v91 offset0:160 offset1:176
	v_fmac_f32_e32 v19, v47, v67
	v_fmac_f32_e32 v41, v25, v52
	;; [unrolled: 1-line block ×3, first 2 shown]
	s_delay_alu instid0(VALU_DEP_2) | instskip(SKIP_3) | instid1(VALU_DEP_1)
	v_fmac_f32_e32 v41, v27, v53
	ds_load_2addr_b32 v[52:53], v91 offset0:192 offset1:208
	ds_load_b128 v[24:27], v30 offset:2112
	v_fmac_f32_e32 v41, v45, v54
	v_fmac_f32_e32 v41, v47, v55
	ds_load_2addr_b32 v[54:55], v92 offset1:16
	s_waitcnt lgkmcnt(3)
	v_fmac_f32_e32 v43, v50, v57
	v_fmac_f32_e32 v40, v50, v69
	;; [unrolled: 1-line block ×4, first 2 shown]
	ds_load_2addr_b32 v[48:49], v92 offset0:32 offset1:48
	ds_load_b128 v[44:47], v30 offset:2128
	v_fmac_f32_e32 v41, v51, v57
	s_waitcnt lgkmcnt(4)
	v_fmac_f32_e32 v43, v52, v58
	ds_load_2addr_b32 v[50:51], v92 offset0:64 offset1:80
	v_fmac_f32_e32 v40, v52, v70
	v_fmac_f32_e32 v19, v53, v70
	;; [unrolled: 1-line block ×4, first 2 shown]
	ds_load_2addr_b32 v[52:53], v92 offset0:96 offset1:112
	v_fmac_f32_e32 v40, v60, v71
	v_fmac_f32_e32 v19, v61, v71
	;; [unrolled: 1-line block ×3, first 2 shown]
	s_waitcnt lgkmcnt(4)
	v_fmac_f32_e32 v43, v54, v72
	ds_load_2addr_b32 v[56:57], v92 offset0:128 offset1:144
	v_fmac_f32_e32 v40, v54, v24
	v_fmac_f32_e32 v19, v55, v24
	;; [unrolled: 1-line block ×3, first 2 shown]
	s_waitcnt lgkmcnt(4)
	v_fmac_f32_e32 v43, v48, v73
	ds_load_2addr_b32 v[54:55], v92 offset0:160 offset1:176
	v_fmac_f32_e32 v40, v48, v25
	v_fmac_f32_e32 v19, v49, v25
	;; [unrolled: 1-line block ×3, first 2 shown]
	ds_load_2addr_b32 v[58:59], v92 offset0:192 offset1:208
	s_waitcnt lgkmcnt(4)
	v_fmac_f32_e32 v43, v50, v74
	v_fmac_f32_e32 v40, v50, v26
	;; [unrolled: 1-line block ×4, first 2 shown]
	ds_load_2addr_b32 v[60:61], v92 offset0:224 offset1:240
	s_waitcnt lgkmcnt(4)
	v_fmac_f32_e32 v43, v52, v75
	v_fmac_f32_e32 v40, v52, v27
	v_fmac_f32_e32 v19, v53, v27
	v_fmac_f32_e32 v41, v53, v75
	ds_load_2addr_b32 v[62:63], v66 offset1:16
	ds_load_b128 v[24:27], v30 offset:96
	s_waitcnt lgkmcnt(5)
	v_fmac_f32_e32 v43, v56, v76
	v_fmac_f32_e32 v40, v56, v44
	;; [unrolled: 1-line block ×4, first 2 shown]
	ds_load_b128 v[48:51], v30 offset:2144
	s_waitcnt lgkmcnt(5)
	v_fmac_f32_e32 v43, v54, v77
	ds_load_2addr_b32 v[56:57], v66 offset0:32 offset1:48
	v_fmac_f32_e32 v40, v54, v45
	v_fmac_f32_e32 v41, v55, v77
	v_fmac_f32_e32 v19, v55, v45
	s_waitcnt lgkmcnt(5)
	v_fmac_f32_e32 v43, v58, v78
	ds_load_2addr_b32 v[64:65], v66 offset0:64 offset1:80
	v_fmac_f32_e32 v40, v58, v46
	v_fmac_f32_e32 v41, v59, v78
	v_fmac_f32_e32 v19, v59, v46
	;; [unrolled: 6-line block ×3, first 2 shown]
	ds_load_b128 v[44:47], v30 offset:112
	s_waitcnt lgkmcnt(5)
	v_fmac_f32_e32 v43, v62, v24
	ds_load_2addr_b32 v[60:61], v66 offset0:128 offset1:144
	ds_load_b128 v[52:55], v30 offset:2160
	v_fmac_f32_e32 v41, v63, v24
	s_waitcnt lgkmcnt(6)
	v_fmac_f32_e32 v40, v62, v48
	v_fmac_f32_e32 v19, v63, v48
	s_waitcnt lgkmcnt(5)
	v_fmac_f32_e32 v43, v56, v25
	ds_load_2addr_b32 v[62:63], v66 offset0:160 offset1:176
	v_fmac_f32_e32 v41, v57, v25
	v_fmac_f32_e32 v40, v56, v49
	v_fmac_f32_e32 v19, v57, v49
	s_waitcnt lgkmcnt(5)
	v_fmac_f32_e32 v43, v64, v26
	ds_load_2addr_b32 v[24:25], v66 offset0:192 offset1:208
	v_fmac_f32_e32 v41, v65, v26
	;; [unrolled: 6-line block ×3, first 2 shown]
	v_fmac_f32_e32 v40, v58, v51
	v_fmac_f32_e32 v19, v59, v51
	s_waitcnt lgkmcnt(4)
	v_fmac_f32_e32 v43, v60, v44
	s_waitcnt lgkmcnt(0)
	v_fmac_f32_e32 v41, v61, v44
	v_fmac_f32_e32 v40, v60, v52
	;; [unrolled: 1-line block ×3, first 2 shown]
	s_barrier
	v_fmac_f32_e32 v43, v62, v45
	v_fmac_f32_e32 v41, v63, v45
	;; [unrolled: 1-line block ×4, first 2 shown]
	buffer_gl0_inv
	v_fmac_f32_e32 v43, v24, v46
	v_fmac_f32_e32 v41, v25, v46
	;; [unrolled: 1-line block ×4, first 2 shown]
	s_delay_alu instid0(VALU_DEP_4) | instskip(NEXT) | instid1(VALU_DEP_4)
	v_fmac_f32_e32 v43, v48, v47
	v_fmac_f32_e32 v41, v49, v47
	s_delay_alu instid0(VALU_DEP_4) | instskip(NEXT) | instid1(VALU_DEP_4)
	v_fmac_f32_e32 v40, v48, v55
	v_fmac_f32_e32 v19, v49, v55
	s_cbranch_scc1 .LBB4_55
.LBB4_7:                                ;   Parent Loop BB4_4 Depth=1
                                        ; =>  This Inner Loop Header: Depth=2
	v_add_co_u32 v26, s5, v2, s24
	s_delay_alu instid0(VALU_DEP_1) | instskip(SKIP_1) | instid1(VALU_DEP_2)
	v_add_co_ci_u32_e64 v27, s5, s25, v3, s5
	v_cmp_eq_u64_e64 s7, s[24:25], v[10:11]
	v_cmp_le_i64_e64 s6, s[12:13], v[26:27]
	v_cmp_lt_i64_e64 s5, v[26:27], v[0:1]
	s_delay_alu instid0(VALU_DEP_3) | instskip(NEXT) | instid1(VALU_DEP_1)
	s_and_b32 s28, s41, s7
	s_or_b32 s7, s6, s5
	s_delay_alu instid0(SALU_CYCLE_1) | instskip(SKIP_1) | instid1(VALU_DEP_1)
	s_or_b32 s8, s7, s28
	v_add_co_u32 v24, s7, v33, s20
	v_add_co_ci_u32_e64 v25, s7, s21, v34, s7
	s_or_b32 s7, s0, s8
	s_delay_alu instid0(SALU_CYCLE_1) | instskip(NEXT) | instid1(SALU_CYCLE_1)
	s_xor_b32 s7, s7, -1
	s_and_saveexec_b32 s8, s7
	s_delay_alu instid0(SALU_CYCLE_1)
	s_xor_b32 s7, exec_lo, s8
	s_cbranch_execz .LBB4_9
; %bb.8:                                ;   in Loop: Header=BB4_7 Depth=2
	global_load_b32 v44, v[24:25], off
	s_waitcnt vmcnt(0)
	ds_store_b32 v31, v44
.LBB4_9:                                ;   in Loop: Header=BB4_7 Depth=2
	s_or_saveexec_b32 s7, s7
	s_xor_b32 s15, s28, -1
	s_xor_b32 exec_lo, exec_lo, s7
	s_cbranch_execz .LBB4_15
; %bb.10:                               ;   in Loop: Header=BB4_7 Depth=2
	s_and_saveexec_b32 s8, s15
	s_delay_alu instid0(SALU_CYCLE_1)
	s_xor_b32 s8, exec_lo, s8
	s_cbranch_execz .LBB4_12
; %bb.11:                               ;   in Loop: Header=BB4_7 Depth=2
	ds_store_b32 v31, v37
.LBB4_12:                               ;   in Loop: Header=BB4_7 Depth=2
	s_and_not1_saveexec_b32 s8, s8
	s_cbranch_execz .LBB4_14
; %bb.13:                               ;   in Loop: Header=BB4_7 Depth=2
	ds_store_b32 v31, v38
.LBB4_14:                               ;   in Loop: Header=BB4_7 Depth=2
	s_or_b32 exec_lo, exec_lo, s8
.LBB4_15:                               ;   in Loop: Header=BB4_7 Depth=2
	s_delay_alu instid0(SALU_CYCLE_1) | instskip(SKIP_2) | instid1(VALU_DEP_2)
	s_or_b32 exec_lo, exec_lo, s7
	v_cmp_eq_u64_e64 s7, s[24:25], v[12:13]
	v_cmp_gt_i64_e64 s8, v[6:7], v[26:27]
	s_and_b32 s7, s41, s7
	s_delay_alu instid0(VALU_DEP_1) | instskip(NEXT) | instid1(SALU_CYCLE_1)
	s_or_b32 s6, s6, s8
	s_or_b32 s6, s6, s7
	s_delay_alu instid0(SALU_CYCLE_1) | instskip(NEXT) | instid1(SALU_CYCLE_1)
	s_or_b32 s6, s1, s6
	s_xor_b32 s6, s6, -1
	s_delay_alu instid0(SALU_CYCLE_1) | instskip(NEXT) | instid1(SALU_CYCLE_1)
	s_and_saveexec_b32 s8, s6
	s_xor_b32 s8, exec_lo, s8
	s_cbranch_execz .LBB4_17
; %bb.16:                               ;   in Loop: Header=BB4_7 Depth=2
	v_add_co_u32 v44, s6, v35, s20
	s_delay_alu instid0(VALU_DEP_1)
	v_add_co_ci_u32_e64 v45, s6, s21, v36, s6
	global_load_b32 v44, v[44:45], off
	s_waitcnt vmcnt(0)
	ds_store_b32 v31, v44 offset:64
.LBB4_17:                               ;   in Loop: Header=BB4_7 Depth=2
	s_and_not1_saveexec_b32 s6, s8
	s_cbranch_execz .LBB4_23
; %bb.18:                               ;   in Loop: Header=BB4_7 Depth=2
	s_xor_b32 s7, s7, -1
	s_delay_alu instid0(SALU_CYCLE_1) | instskip(NEXT) | instid1(SALU_CYCLE_1)
	s_and_saveexec_b32 s8, s7
	s_xor_b32 s7, exec_lo, s8
	s_cbranch_execz .LBB4_20
; %bb.19:                               ;   in Loop: Header=BB4_7 Depth=2
	ds_store_b32 v31, v37 offset:64
.LBB4_20:                               ;   in Loop: Header=BB4_7 Depth=2
	s_and_not1_saveexec_b32 s7, s7
	s_cbranch_execz .LBB4_22
; %bb.21:                               ;   in Loop: Header=BB4_7 Depth=2
	ds_store_b32 v31, v38 offset:64
.LBB4_22:                               ;   in Loop: Header=BB4_7 Depth=2
	s_or_b32 exec_lo, exec_lo, s7
.LBB4_23:                               ;   in Loop: Header=BB4_7 Depth=2
	s_delay_alu instid0(SALU_CYCLE_1) | instskip(SKIP_1) | instid1(VALU_DEP_1)
	s_or_b32 exec_lo, exec_lo, s6
	v_add_co_u32 v26, s6, v26, 16
	v_add_co_ci_u32_e64 v27, s6, 0, v27, s6
	v_cmp_eq_u64_e64 s7, s[24:25], v[14:15]
	s_delay_alu instid0(VALU_DEP_2) | instskip(SKIP_1) | instid1(VALU_DEP_3)
	v_cmp_le_i64_e64 s6, s[12:13], v[26:27]
	v_cmp_lt_i64_e64 s8, v[26:27], v[0:1]
	s_and_b32 s29, s41, s7
	s_delay_alu instid0(VALU_DEP_1) | instskip(NEXT) | instid1(SALU_CYCLE_1)
	s_or_b32 s7, s6, s8
	s_or_b32 s7, s7, s29
	s_delay_alu instid0(SALU_CYCLE_1) | instskip(NEXT) | instid1(SALU_CYCLE_1)
	s_or_b32 s7, s0, s7
	s_xor_b32 s7, s7, -1
	s_delay_alu instid0(SALU_CYCLE_1) | instskip(NEXT) | instid1(SALU_CYCLE_1)
	s_and_saveexec_b32 s8, s7
	s_xor_b32 s7, exec_lo, s8
	s_cbranch_execz .LBB4_25
; %bb.24:                               ;   in Loop: Header=BB4_7 Depth=2
	global_load_b32 v24, v[24:25], off offset:64
	s_waitcnt vmcnt(0)
	ds_store_b32 v31, v24 offset:2048
.LBB4_25:                               ;   in Loop: Header=BB4_7 Depth=2
	s_and_not1_saveexec_b32 s7, s7
	s_cbranch_execz .LBB4_31
; %bb.26:                               ;   in Loop: Header=BB4_7 Depth=2
	s_xor_b32 s8, s29, -1
	s_delay_alu instid0(SALU_CYCLE_1) | instskip(NEXT) | instid1(SALU_CYCLE_1)
	s_and_saveexec_b32 s29, s8
	s_xor_b32 s8, exec_lo, s29
	s_cbranch_execz .LBB4_28
; %bb.27:                               ;   in Loop: Header=BB4_7 Depth=2
	ds_store_b32 v31, v37 offset:2048
.LBB4_28:                               ;   in Loop: Header=BB4_7 Depth=2
	s_and_not1_saveexec_b32 s8, s8
	s_cbranch_execz .LBB4_30
; %bb.29:                               ;   in Loop: Header=BB4_7 Depth=2
	ds_store_b32 v31, v38 offset:2048
.LBB4_30:                               ;   in Loop: Header=BB4_7 Depth=2
	s_or_b32 exec_lo, exec_lo, s8
.LBB4_31:                               ;   in Loop: Header=BB4_7 Depth=2
	s_delay_alu instid0(SALU_CYCLE_1) | instskip(SKIP_1) | instid1(SALU_CYCLE_1)
	s_or_b32 exec_lo, exec_lo, s7
	s_or_b32 s5, s6, s5
	s_or_b32 s5, s5, s28
	s_delay_alu instid0(SALU_CYCLE_1) | instskip(NEXT) | instid1(SALU_CYCLE_1)
	s_or_b32 s5, s1, s5
	s_xor_b32 s5, s5, -1
	s_delay_alu instid0(SALU_CYCLE_1) | instskip(NEXT) | instid1(SALU_CYCLE_1)
	s_and_saveexec_b32 s6, s5
	s_xor_b32 s6, exec_lo, s6
	s_cbranch_execz .LBB4_33
; %bb.32:                               ;   in Loop: Header=BB4_7 Depth=2
	v_add_co_u32 v24, s5, v35, s20
	s_delay_alu instid0(VALU_DEP_1)
	v_add_co_ci_u32_e64 v25, s5, s21, v36, s5
	global_load_b32 v24, v[24:25], off offset:64
	s_waitcnt vmcnt(0)
	ds_store_b32 v31, v24 offset:2112
.LBB4_33:                               ;   in Loop: Header=BB4_7 Depth=2
	s_and_not1_saveexec_b32 s5, s6
	s_cbranch_execz .LBB4_39
; %bb.34:                               ;   in Loop: Header=BB4_7 Depth=2
	s_and_saveexec_b32 s6, s15
	s_delay_alu instid0(SALU_CYCLE_1)
	s_xor_b32 s6, exec_lo, s6
	s_cbranch_execz .LBB4_36
; %bb.35:                               ;   in Loop: Header=BB4_7 Depth=2
	ds_store_b32 v31, v37 offset:2112
.LBB4_36:                               ;   in Loop: Header=BB4_7 Depth=2
	s_and_not1_saveexec_b32 s6, s6
	s_cbranch_execz .LBB4_38
; %bb.37:                               ;   in Loop: Header=BB4_7 Depth=2
	ds_store_b32 v31, v38 offset:2112
.LBB4_38:                               ;   in Loop: Header=BB4_7 Depth=2
	s_or_b32 exec_lo, exec_lo, s6
.LBB4_39:                               ;   in Loop: Header=BB4_7 Depth=2
	s_delay_alu instid0(SALU_CYCLE_1) | instskip(SKIP_1) | instid1(VALU_DEP_1)
	s_or_b32 exec_lo, exec_lo, s5
	v_add_co_u32 v26, s5, v0, s24
	v_add_co_ci_u32_e64 v27, s5, s25, v1, s5
	s_delay_alu instid0(VALU_DEP_1) | instskip(NEXT) | instid1(VALU_DEP_1)
	v_cmp_gt_i64_e64 s5, s[12:13], v[26:27]
	s_and_b32 s6, vcc_lo, s5
	s_delay_alu instid0(SALU_CYCLE_1) | instskip(NEXT) | instid1(SALU_CYCLE_1)
	s_xor_b32 s6, s6, -1
	s_and_saveexec_b32 s7, s6
	s_delay_alu instid0(SALU_CYCLE_1)
	s_xor_b32 s6, exec_lo, s7
	s_cbranch_execz .LBB4_41
; %bb.40:                               ;   in Loop: Header=BB4_7 Depth=2
	ds_store_b32 v32, v37
.LBB4_41:                               ;   in Loop: Header=BB4_7 Depth=2
	s_or_saveexec_b32 s7, s6
	v_add_co_u32 v24, s6, v20, s20
	s_delay_alu instid0(VALU_DEP_1)
	v_add_co_ci_u32_e64 v25, s6, s21, v21, s6
	s_xor_b32 exec_lo, exec_lo, s7
	s_cbranch_execz .LBB4_43
; %bb.42:                               ;   in Loop: Header=BB4_7 Depth=2
	global_load_b32 v44, v[24:25], off offset:-64
	s_waitcnt vmcnt(0)
	ds_store_b32 v32, v44
.LBB4_43:                               ;   in Loop: Header=BB4_7 Depth=2
	s_or_b32 exec_lo, exec_lo, s7
	v_cmp_gt_i64_e64 s6, s[18:19], v[26:27]
	s_delay_alu instid0(VALU_DEP_1) | instskip(NEXT) | instid1(SALU_CYCLE_1)
	s_and_b32 s7, vcc_lo, s6
	s_xor_b32 s7, s7, -1
	s_delay_alu instid0(SALU_CYCLE_1) | instskip(NEXT) | instid1(SALU_CYCLE_1)
	s_and_saveexec_b32 s8, s7
	s_xor_b32 s7, exec_lo, s8
	s_cbranch_execz .LBB4_45
; %bb.44:                               ;   in Loop: Header=BB4_7 Depth=2
	ds_store_b32 v32, v37 offset:64
                                        ; implicit-def: $vgpr24_vgpr25
.LBB4_45:                               ;   in Loop: Header=BB4_7 Depth=2
	s_and_not1_saveexec_b32 s7, s7
	s_cbranch_execz .LBB4_47
; %bb.46:                               ;   in Loop: Header=BB4_7 Depth=2
	global_load_b32 v24, v[24:25], off
	s_waitcnt vmcnt(0)
	ds_store_b32 v32, v24 offset:64
.LBB4_47:                               ;   in Loop: Header=BB4_7 Depth=2
	s_or_b32 exec_lo, exec_lo, s7
	s_and_b32 s5, s4, s5
	s_delay_alu instid0(SALU_CYCLE_1) | instskip(NEXT) | instid1(SALU_CYCLE_1)
	s_xor_b32 s5, s5, -1
	s_and_saveexec_b32 s7, s5
	s_delay_alu instid0(SALU_CYCLE_1)
	s_xor_b32 s5, exec_lo, s7
	s_cbranch_execz .LBB4_49
; %bb.48:                               ;   in Loop: Header=BB4_7 Depth=2
	ds_store_b32 v32, v37 offset:2048
.LBB4_49:                               ;   in Loop: Header=BB4_7 Depth=2
	s_and_not1_saveexec_b32 s7, s5
	s_cbranch_execz .LBB4_51
; %bb.50:                               ;   in Loop: Header=BB4_7 Depth=2
	v_add_co_u32 v24, s5, v22, s20
	s_delay_alu instid0(VALU_DEP_1)
	v_add_co_ci_u32_e64 v25, s5, s21, v23, s5
	global_load_b32 v24, v[24:25], off offset:-64
	s_waitcnt vmcnt(0)
	ds_store_b32 v32, v24 offset:2048
.LBB4_51:                               ;   in Loop: Header=BB4_7 Depth=2
	s_or_b32 exec_lo, exec_lo, s7
	s_and_b32 s5, s4, s6
	s_delay_alu instid0(SALU_CYCLE_1) | instskip(NEXT) | instid1(SALU_CYCLE_1)
	s_xor_b32 s5, s5, -1
	s_and_saveexec_b32 s6, s5
	s_delay_alu instid0(SALU_CYCLE_1)
	s_xor_b32 s5, exec_lo, s6
	s_cbranch_execz .LBB4_53
; %bb.52:                               ;   in Loop: Header=BB4_7 Depth=2
	ds_store_b32 v32, v37 offset:2112
.LBB4_53:                               ;   in Loop: Header=BB4_7 Depth=2
	s_and_not1_saveexec_b32 s6, s5
	s_cbranch_execz .LBB4_6
; %bb.54:                               ;   in Loop: Header=BB4_7 Depth=2
	v_add_co_u32 v24, s5, v22, s20
	s_delay_alu instid0(VALU_DEP_1)
	v_add_co_ci_u32_e64 v25, s5, s21, v23, s5
	global_load_b32 v24, v[24:25], off
	s_waitcnt vmcnt(0)
	ds_store_b32 v32, v24 offset:2112
	s_branch .LBB4_6
.LBB4_55:                               ;   in Loop: Header=BB4_4 Depth=1
	s_delay_alu instid0(VALU_DEP_1) | instskip(SKIP_3) | instid1(VALU_DEP_2)
	v_mul_lo_u32 v22, v42, s16
	v_mul_lo_u32 v23, v39, s17
	v_mad_u64_u32 v[20:21], null, v39, s16, 0
	v_cmp_gt_i32_e32 vcc_lo, s10, v39
	v_add3_u32 v21, v21, v23, v22
	s_delay_alu instid0(VALU_DEP_1) | instskip(NEXT) | instid1(VALU_DEP_1)
	v_lshlrev_b64 v[20:21], 2, v[20:21]
	v_add_co_u32 v20, s4, s27, v20
	s_delay_alu instid0(VALU_DEP_1) | instskip(SKIP_1) | instid1(SALU_CYCLE_1)
	v_add_co_ci_u32_e64 v21, s4, s34, v21, s4
	s_and_b32 s4, s2, vcc_lo
	s_and_saveexec_b32 s5, s4
	s_cbranch_execz .LBB4_57
; %bb.56:                               ;   in Loop: Header=BB4_4 Depth=1
	v_add_co_u32 v22, s4, v20, v8
	s_delay_alu instid0(VALU_DEP_1)
	v_add_co_ci_u32_e64 v23, s4, v21, v9, s4
	global_load_b32 v24, v[22:23], off
	s_waitcnt vmcnt(0)
	v_fmac_f32_e32 v24, s33, v43
	global_store_b32 v[22:23], v24, off
.LBB4_57:                               ;   in Loop: Header=BB4_4 Depth=1
	s_or_b32 exec_lo, exec_lo, s5
	s_and_b32 s5, s3, vcc_lo
	s_delay_alu instid0(SALU_CYCLE_1)
	s_and_saveexec_b32 s4, s5
	s_cbranch_execz .LBB4_59
; %bb.58:                               ;   in Loop: Header=BB4_4 Depth=1
	v_lshlrev_b64 v[22:23], 2, v[4:5]
	s_delay_alu instid0(VALU_DEP_1) | instskip(NEXT) | instid1(VALU_DEP_2)
	v_add_co_u32 v20, vcc_lo, v20, v22
	v_add_co_ci_u32_e32 v21, vcc_lo, v21, v23, vcc_lo
	global_load_b32 v22, v[20:21], off
	s_waitcnt vmcnt(0)
	v_fmac_f32_e32 v22, s33, v41
	global_store_b32 v[20:21], v22, off
.LBB4_59:                               ;   in Loop: Header=BB4_4 Depth=1
	s_or_b32 exec_lo, exec_lo, s4
	v_add_nc_u32_e32 v22, 16, v39
	s_delay_alu instid0(VALU_DEP_1) | instskip(SKIP_3) | instid1(VALU_DEP_4)
	v_ashrrev_i32_e32 v23, 31, v22
	v_mul_lo_u32 v24, v22, s17
	v_mad_u64_u32 v[20:21], null, v22, s16, 0
	v_cmp_gt_i32_e32 vcc_lo, s10, v22
	v_mul_lo_u32 v23, v23, s16
	s_delay_alu instid0(VALU_DEP_1) | instskip(NEXT) | instid1(VALU_DEP_1)
	v_add3_u32 v21, v21, v24, v23
	v_lshlrev_b64 v[20:21], 2, v[20:21]
	s_delay_alu instid0(VALU_DEP_1) | instskip(NEXT) | instid1(VALU_DEP_1)
	v_add_co_u32 v20, s4, s27, v20
	v_add_co_ci_u32_e64 v21, s4, s34, v21, s4
	s_and_b32 s4, s2, vcc_lo
	s_delay_alu instid0(SALU_CYCLE_1)
	s_and_saveexec_b32 s5, s4
	s_cbranch_execz .LBB4_61
; %bb.60:                               ;   in Loop: Header=BB4_4 Depth=1
	v_add_co_u32 v22, s4, v20, v8
	s_delay_alu instid0(VALU_DEP_1)
	v_add_co_ci_u32_e64 v23, s4, v21, v9, s4
	global_load_b32 v24, v[22:23], off
	s_waitcnt vmcnt(0)
	v_fmac_f32_e32 v24, s33, v40
	global_store_b32 v[22:23], v24, off
.LBB4_61:                               ;   in Loop: Header=BB4_4 Depth=1
	s_or_b32 exec_lo, exec_lo, s5
	s_and_b32 s5, s3, vcc_lo
	s_delay_alu instid0(SALU_CYCLE_1)
	s_and_saveexec_b32 s4, s5
	s_cbranch_execz .LBB4_3
; %bb.62:                               ;   in Loop: Header=BB4_4 Depth=1
	v_lshlrev_b64 v[22:23], 2, v[4:5]
	s_delay_alu instid0(VALU_DEP_1) | instskip(NEXT) | instid1(VALU_DEP_2)
	v_add_co_u32 v20, vcc_lo, v20, v22
	v_add_co_ci_u32_e32 v21, vcc_lo, v21, v23, vcc_lo
	global_load_b32 v22, v[20:21], off
	s_waitcnt vmcnt(0)
	v_fmac_f32_e32 v22, s33, v19
	global_store_b32 v[20:21], v22, off
	s_branch .LBB4_3
.LBB4_63:
	s_nop 0
	s_sendmsg sendmsg(MSG_DEALLOC_VGPRS)
	s_endpgm
	.section	.rodata,"a",@progbits
	.p2align	6, 0x0
	.amdhsa_kernel _ZL30rocblas_trmm_outofplace_kernelIfLi32ELi2ELb1ELb0ELb1ELb0EPKfS0_fEv17rocblas_diagonal_iiT6_lPT7_lllS5_lllPT8_llli
		.amdhsa_group_segment_fixed_size 8192
		.amdhsa_private_segment_fixed_size 0
		.amdhsa_kernarg_size 392
		.amdhsa_user_sgpr_count 13
		.amdhsa_user_sgpr_dispatch_ptr 0
		.amdhsa_user_sgpr_queue_ptr 0
		.amdhsa_user_sgpr_kernarg_segment_ptr 1
		.amdhsa_user_sgpr_dispatch_id 0
		.amdhsa_user_sgpr_private_segment_size 0
		.amdhsa_wavefront_size32 1
		.amdhsa_uses_dynamic_stack 0
		.amdhsa_enable_private_segment 0
		.amdhsa_system_sgpr_workgroup_id_x 1
		.amdhsa_system_sgpr_workgroup_id_y 1
		.amdhsa_system_sgpr_workgroup_id_z 1
		.amdhsa_system_sgpr_workgroup_info 0
		.amdhsa_system_vgpr_workitem_id 1
		.amdhsa_next_free_vgpr 93
		.amdhsa_next_free_sgpr 44
		.amdhsa_reserve_vcc 1
		.amdhsa_float_round_mode_32 0
		.amdhsa_float_round_mode_16_64 0
		.amdhsa_float_denorm_mode_32 3
		.amdhsa_float_denorm_mode_16_64 3
		.amdhsa_dx10_clamp 1
		.amdhsa_ieee_mode 1
		.amdhsa_fp16_overflow 0
		.amdhsa_workgroup_processor_mode 1
		.amdhsa_memory_ordered 1
		.amdhsa_forward_progress 0
		.amdhsa_shared_vgpr_count 0
		.amdhsa_exception_fp_ieee_invalid_op 0
		.amdhsa_exception_fp_denorm_src 0
		.amdhsa_exception_fp_ieee_div_zero 0
		.amdhsa_exception_fp_ieee_overflow 0
		.amdhsa_exception_fp_ieee_underflow 0
		.amdhsa_exception_fp_ieee_inexact 0
		.amdhsa_exception_int_div_zero 0
	.end_amdhsa_kernel
	.section	.text._ZL30rocblas_trmm_outofplace_kernelIfLi32ELi2ELb1ELb0ELb1ELb0EPKfS0_fEv17rocblas_diagonal_iiT6_lPT7_lllS5_lllPT8_llli,"axG",@progbits,_ZL30rocblas_trmm_outofplace_kernelIfLi32ELi2ELb1ELb0ELb1ELb0EPKfS0_fEv17rocblas_diagonal_iiT6_lPT7_lllS5_lllPT8_llli,comdat
.Lfunc_end4:
	.size	_ZL30rocblas_trmm_outofplace_kernelIfLi32ELi2ELb1ELb0ELb1ELb0EPKfS0_fEv17rocblas_diagonal_iiT6_lPT7_lllS5_lllPT8_llli, .Lfunc_end4-_ZL30rocblas_trmm_outofplace_kernelIfLi32ELi2ELb1ELb0ELb1ELb0EPKfS0_fEv17rocblas_diagonal_iiT6_lPT7_lllS5_lllPT8_llli
                                        ; -- End function
	.section	.AMDGPU.csdata,"",@progbits
; Kernel info:
; codeLenInByte = 3520
; NumSgprs: 46
; NumVgprs: 93
; ScratchSize: 0
; MemoryBound: 0
; FloatMode: 240
; IeeeMode: 1
; LDSByteSize: 8192 bytes/workgroup (compile time only)
; SGPRBlocks: 5
; VGPRBlocks: 11
; NumSGPRsForWavesPerEU: 46
; NumVGPRsForWavesPerEU: 93
; Occupancy: 16
; WaveLimiterHint : 0
; COMPUTE_PGM_RSRC2:SCRATCH_EN: 0
; COMPUTE_PGM_RSRC2:USER_SGPR: 13
; COMPUTE_PGM_RSRC2:TRAP_HANDLER: 0
; COMPUTE_PGM_RSRC2:TGID_X_EN: 1
; COMPUTE_PGM_RSRC2:TGID_Y_EN: 1
; COMPUTE_PGM_RSRC2:TGID_Z_EN: 1
; COMPUTE_PGM_RSRC2:TIDIG_COMP_CNT: 1
	.section	.text._ZL30rocblas_trmm_outofplace_kernelIfLi32ELi2ELb1ELb0ELb1ELb0EfKffEv17rocblas_diagonal_iiT6_lPT7_lllS4_lllPT8_llli,"axG",@progbits,_ZL30rocblas_trmm_outofplace_kernelIfLi32ELi2ELb1ELb0ELb1ELb0EfKffEv17rocblas_diagonal_iiT6_lPT7_lllS4_lllPT8_llli,comdat
	.globl	_ZL30rocblas_trmm_outofplace_kernelIfLi32ELi2ELb1ELb0ELb1ELb0EfKffEv17rocblas_diagonal_iiT6_lPT7_lllS4_lllPT8_llli ; -- Begin function _ZL30rocblas_trmm_outofplace_kernelIfLi32ELi2ELb1ELb0ELb1ELb0EfKffEv17rocblas_diagonal_iiT6_lPT7_lllS4_lllPT8_llli
	.p2align	8
	.type	_ZL30rocblas_trmm_outofplace_kernelIfLi32ELi2ELb1ELb0ELb1ELb0EfKffEv17rocblas_diagonal_iiT6_lPT7_lllS4_lllPT8_llli,@function
_ZL30rocblas_trmm_outofplace_kernelIfLi32ELi2ELb1ELb0ELb1ELb0EfKffEv17rocblas_diagonal_iiT6_lPT7_lllS4_lllPT8_llli: ; @_ZL30rocblas_trmm_outofplace_kernelIfLi32ELi2ELb1ELb0ELb1ELb0EfKffEv17rocblas_diagonal_iiT6_lPT7_lllS4_lllPT8_llli
; %bb.0:
	s_load_b128 s[8:11], s[0:1], 0x0
	s_waitcnt lgkmcnt(0)
	v_cmp_eq_f32_e64 s2, s11, 0
	s_delay_alu instid0(VALU_DEP_1)
	s_and_b32 vcc_lo, exec_lo, s2
	s_cbranch_vccnz .LBB5_63
; %bb.1:
	s_add_i32 s2, s10, -1
	s_delay_alu instid0(SALU_CYCLE_1) | instskip(NEXT) | instid1(SALU_CYCLE_1)
	s_ashr_i32 s3, s2, 31
	s_lshr_b32 s3, s3, 27
	s_delay_alu instid0(SALU_CYCLE_1) | instskip(NEXT) | instid1(SALU_CYCLE_1)
	s_add_i32 s2, s2, s3
	s_ashr_i32 s33, s2, 5
	s_delay_alu instid0(SALU_CYCLE_1)
	s_cmp_gt_i32 s14, s33
	s_cbranch_scc1 .LBB5_63
; %bb.2:
	s_clause 0x2
	s_load_b512 s[16:31], s[0:1], 0x18
	s_load_b256 s[36:43], s[0:1], 0x58
	s_load_b32 s34, s[0:1], 0x84
	v_bfe_u32 v28, v0, 10, 10
	v_dual_mov_b32 v37, 0 :: v_dual_and_b32 v0, 0x3ff, v0
	v_mov_b32_e32 v38, 1.0
	s_mov_b32 s12, s9
	s_delay_alu instid0(VALU_DEP_3) | instskip(NEXT) | instid1(VALU_DEP_3)
	v_lshlrev_b32_e32 v1, 7, v28
	v_lshlrev_b32_e32 v29, 2, v0
	s_delay_alu instid0(VALU_DEP_2) | instskip(NEXT) | instid1(VALU_DEP_2)
	v_add_nc_u32_e32 v30, 0x1000, v1
	v_add_nc_u32_e32 v31, v29, v1
	s_delay_alu instid0(VALU_DEP_2)
	v_add_nc_u32_e32 v32, v30, v29
	s_waitcnt lgkmcnt(0)
	s_mul_i32 s1, s15, s23
	s_mul_hi_u32 s2, s15, s22
	s_mul_i32 s0, s15, s22
	s_add_i32 s1, s2, s1
	s_mul_i32 s2, s15, s43
	s_lshl_b64 s[4:5], s[0:1], 2
	s_mul_hi_u32 s1, s15, s42
	s_add_u32 s3, s16, s4
	s_addc_u32 s22, s17, s5
	s_lshl_b64 s[6:7], s[18:19], 2
	s_mul_i32 s0, s15, s42
	s_add_u32 s3, s3, s6
	s_addc_u32 s42, s22, s7
	s_add_i32 s1, s1, s2
	s_mul_i32 s23, s31, s15
	s_lshl_b64 s[0:1], s[0:1], 2
	s_mul_i32 s22, s30, s15
	s_add_u32 s2, s36, s0
	s_addc_u32 s18, s37, s1
	s_lshl_b64 s[0:1], s[38:39], 2
	s_delay_alu instid0(SALU_CYCLE_1)
	s_add_u32 s31, s2, s0
	s_addc_u32 s35, s18, s1
	s_lshl_b32 s0, s13, 5
	s_mul_hi_u32 s2, s30, s15
	v_add_nc_u32_e32 v0, s0, v0
	v_add_nc_u32_e32 v2, s0, v28
	s_sub_i32 s36, s9, s0
	s_delay_alu instid0(SALU_CYCLE_1) | instskip(NEXT) | instid1(VALU_DEP_2)
	s_cmp_gt_i32 s36, 0
	v_ashrrev_i32_e32 v1, 31, v0
	v_mul_lo_u32 v7, v0, s21
	v_mad_u64_u32 v[5:6], null, v0, s20, 0
	v_ashrrev_i32_e32 v3, 31, v2
	s_delay_alu instid0(VALU_DEP_4)
	v_mul_lo_u32 v8, v1, s20
	s_cselect_b32 s15, -1, 0
	s_cmpk_eq_i32 s8, 0x84
	v_add_nc_u32_e32 v4, 16, v0
	v_lshlrev_b64 v[18:19], 2, v[2:3]
	s_cselect_b32 s30, -1, 0
	s_ashr_i32 s13, s9, 31
	s_ashr_i32 s37, s10, 31
	v_add3_u32 v6, v6, v7, v8
	s_add_u32 s18, s9, -16
	s_addc_u32 s19, s13, -1
	s_add_i32 s23, s2, s23
	v_cmp_le_i32_e64 s0, s9, v0
	v_lshlrev_b64 v[8:9], 2, v[5:6]
	v_add_co_u32 v6, vcc_lo, v0, 16
	v_add_co_ci_u32_e32 v7, vcc_lo, 0, v1, vcc_lo
	v_cmp_gt_i32_e64 s1, s9, v0
	s_delay_alu instid0(VALU_DEP_4) | instskip(SKIP_2) | instid1(VALU_DEP_3)
	v_add_co_u32 v8, vcc_lo, s3, v8
	v_add_co_ci_u32_e32 v9, vcc_lo, s42, v9, vcc_lo
	v_cmp_gt_i32_e64 s2, s9, v4
	v_add_co_u32 v33, vcc_lo, v8, v18
	s_delay_alu instid0(VALU_DEP_3)
	v_add_co_ci_u32_e32 v34, vcc_lo, v9, v19, vcc_lo
	v_lshlrev_b64 v[8:9], 2, v[0:1]
	v_sub_co_u32 v10, vcc_lo, v0, v2
	s_lshl_b64 s[8:9], s[22:23], 2
	s_lshl_b64 s[22:23], s[26:27], 2
	v_sub_co_ci_u32_e32 v11, vcc_lo, v1, v3, vcc_lo
	s_add_u32 s8, s8, s22
	v_add_co_u32 v16, vcc_lo, v8, 64
	s_addc_u32 s9, s9, s23
	v_add_co_ci_u32_e32 v17, vcc_lo, 0, v9, vcc_lo
	s_add_u32 s8, s24, s8
	s_addc_u32 s24, s25, s9
	s_lshl_b64 s[22:23], s[28:29], 2
	s_lshl_b32 s9, s34, 5
	s_add_u32 s4, s6, s4
	s_addc_u32 s5, s7, s5
	v_mul_lo_u32 v22, s20, v17
	v_mul_lo_u32 v23, s21, v16
	v_mad_u64_u32 v[20:21], null, s20, v16, s[4:5]
	v_add_co_u32 v12, vcc_lo, v10, 16
	v_add_co_ci_u32_e32 v13, vcc_lo, 0, v11, vcc_lo
	v_add_co_u32 v14, vcc_lo, v10, -16
	v_add_co_ci_u32_e32 v15, vcc_lo, -1, v11, vcc_lo
	v_add3_u32 v21, v23, v21, v22
	v_add_co_u32 v16, vcc_lo, v16, s8
	v_add_co_ci_u32_e32 v17, vcc_lo, s24, v17, vcc_lo
	v_add_co_u32 v20, vcc_lo, v20, v18
	s_delay_alu instid0(VALU_DEP_4) | instskip(SKIP_1) | instid1(VALU_DEP_3)
	v_add_co_ci_u32_e32 v19, vcc_lo, v21, v19, vcc_lo
	v_cmp_le_i64_e64 s3, s[12:13], v[6:7]
	v_add_co_u32 v35, vcc_lo, s16, v20
	v_ashrrev_i32_e32 v5, 31, v4
	v_lshl_add_u32 v18, s14, 5, v28
	v_add_co_ci_u32_e32 v36, vcc_lo, s17, v19, vcc_lo
	s_mov_b32 s24, s10
	s_branch .LBB5_4
.LBB5_3:                                ;   in Loop: Header=BB5_4 Depth=1
	s_or_b32 exec_lo, exec_lo, s4
	v_add_nc_u32_e32 v18, s9, v18
	s_add_i32 s14, s34, s14
	s_delay_alu instid0(SALU_CYCLE_1)
	s_cmp_le_i32 s14, s33
	s_cbranch_scc0 .LBB5_63
.LBB5_4:                                ; =>This Loop Header: Depth=1
                                        ;     Child Loop BB5_7 Depth 2
	v_lshl_add_u32 v39, s14, 5, v28
	v_dual_mov_b32 v43, 0 :: v_dual_mov_b32 v40, 0
	v_mov_b32_e32 v41, 0
	v_mov_b32_e32 v19, 0
	s_delay_alu instid0(VALU_DEP_4)
	v_ashrrev_i32_e32 v42, 31, v39
	s_and_not1_b32 vcc_lo, exec_lo, s15
	s_cbranch_vccnz .LBB5_55
; %bb.5:                                ;   in Loop: Header=BB5_4 Depth=1
	v_ashrrev_i32_e32 v19, 31, v18
	v_mad_u64_u32 v[20:21], null, s22, v18, v[16:17]
	v_mul_lo_u32 v26, s23, v18
	v_mov_b32_e32 v41, 0
	s_delay_alu instid0(VALU_DEP_4) | instskip(SKIP_4) | instid1(VALU_DEP_3)
	v_lshlrev_b64 v[22:23], 2, v[18:19]
	v_mul_lo_u32 v43, s22, v19
	v_dual_mov_b32 v19, 0 :: v_dual_mov_b32 v40, 0
	s_mov_b64 s[16:17], 0
	s_mov_b64 s[20:21], 0
	v_add_co_u32 v27, vcc_lo, v22, 64
	v_add_co_ci_u32_e32 v22, vcc_lo, 0, v23, vcc_lo
	v_sub_co_u32 v24, vcc_lo, s24, v39
	s_delay_alu instid0(VALU_DEP_3) | instskip(NEXT) | instid1(VALU_DEP_3)
	v_mul_lo_u32 v45, s29, v27
	v_mul_lo_u32 v44, s28, v22
	v_mad_u64_u32 v[22:23], null, s28, v27, v[16:17]
	v_sub_co_ci_u32_e32 v25, vcc_lo, s37, v42, vcc_lo
	v_add3_u32 v21, v26, v21, v43
	v_mov_b32_e32 v43, 0
	s_delay_alu instid0(VALU_DEP_3)
	v_cmp_lt_i64_e32 vcc_lo, 0, v[24:25]
	v_cmp_lt_i64_e64 s4, 16, v[24:25]
	v_add3_u32 v23, v45, v23, v44
	s_branch .LBB5_7
.LBB5_6:                                ;   in Loop: Header=BB5_7 Depth=2
	s_or_b32 exec_lo, exec_lo, s6
	s_waitcnt lgkmcnt(0)
	s_waitcnt_vscnt null, 0x0
	s_barrier
	buffer_gl0_inv
	ds_load_2addr_b32 v[71:72], v29 offset1:16
	ds_load_b128 v[24:27], v30
	ds_load_b128 v[44:47], v30 offset:2048
	ds_load_2addr_b32 v[73:74], v29 offset0:32 offset1:48
	ds_load_b128 v[48:51], v30 offset:16
	ds_load_2addr_b32 v[79:80], v29 offset0:64 offset1:80
	ds_load_b128 v[52:55], v30 offset:32
	ds_load_b128 v[56:59], v30 offset:48
	ds_load_2addr_b32 v[81:82], v29 offset0:96 offset1:112
	ds_load_2addr_b32 v[83:84], v29 offset0:128 offset1:144
	ds_load_b128 v[60:63], v30 offset:2064
	ds_load_2addr_b32 v[85:86], v29 offset0:160 offset1:176
	ds_load_2addr_b32 v[87:88], v29 offset0:192 offset1:208
	;; [unrolled: 1-line block ×3, first 2 shown]
	v_add_nc_u32_e32 v91, 0x400, v29
	s_add_u32 s20, s20, 32
	s_addc_u32 s21, s21, 0
	s_add_u32 s16, s16, 0x80
	v_add_nc_u32_e32 v92, 0x800, v29
	s_addc_u32 s17, s17, 0
	s_cmp_ge_i32 s20, s36
	s_waitcnt lgkmcnt(12)
	v_fmac_f32_e32 v41, v72, v24
	s_waitcnt lgkmcnt(11)
	v_fmac_f32_e32 v40, v71, v44
	v_fmac_f32_e32 v43, v71, v24
	ds_load_b128 v[64:67], v30 offset:2080
	ds_load_b128 v[68:71], v30 offset:2096
	s_waitcnt lgkmcnt(12)
	v_dual_fmac_f32 v40, v73, v45 :: v_dual_fmac_f32 v19, v72, v44
	s_waitcnt lgkmcnt(10)
	s_delay_alu instid0(VALU_DEP_1) | instskip(SKIP_1) | instid1(VALU_DEP_1)
	v_dual_fmac_f32 v40, v79, v46 :: v_dual_fmac_f32 v41, v74, v25
	s_waitcnt lgkmcnt(7)
	v_fmac_f32_e32 v40, v81, v47
	s_waitcnt lgkmcnt(5)
	s_delay_alu instid0(VALU_DEP_1) | instskip(SKIP_1) | instid1(VALU_DEP_1)
	v_dual_fmac_f32 v43, v73, v25 :: v_dual_fmac_f32 v40, v83, v60
	s_waitcnt lgkmcnt(4)
	v_dual_fmac_f32 v43, v79, v26 :: v_dual_fmac_f32 v40, v85, v61
	v_fmac_f32_e32 v19, v74, v45
	ds_load_b128 v[72:75], v30 offset:64
	ds_load_b128 v[76:79], v30 offset:80
	ds_load_2addr_b32 v[24:25], v91 offset1:16
	ds_load_2addr_b32 v[44:45], v91 offset0:64 offset1:80
	s_waitcnt lgkmcnt(7)
	v_fmac_f32_e32 v40, v87, v62
	s_waitcnt lgkmcnt(6)
	s_delay_alu instid0(VALU_DEP_1) | instskip(SKIP_1) | instid1(VALU_DEP_2)
	v_dual_fmac_f32 v41, v80, v26 :: v_dual_fmac_f32 v40, v89, v63
	v_fmac_f32_e32 v43, v81, v27
	v_fmac_f32_e32 v41, v82, v27
	ds_load_2addr_b32 v[26:27], v91 offset0:32 offset1:48
	s_waitcnt lgkmcnt(2)
	v_fmac_f32_e32 v40, v24, v64
	s_waitcnt lgkmcnt(0)
	s_delay_alu instid0(VALU_DEP_1) | instskip(NEXT) | instid1(VALU_DEP_1)
	v_dual_fmac_f32 v19, v80, v46 :: v_dual_fmac_f32 v40, v26, v65
	v_dual_fmac_f32 v40, v44, v66 :: v_dual_fmac_f32 v43, v83, v48
	v_fmac_f32_e32 v41, v84, v48
	s_delay_alu instid0(VALU_DEP_2) | instskip(NEXT) | instid1(VALU_DEP_2)
	v_fmac_f32_e32 v43, v85, v49
	v_fmac_f32_e32 v41, v86, v49
	ds_load_2addr_b32 v[48:49], v91 offset0:128 offset1:144
	v_fmac_f32_e32 v19, v82, v47
	ds_load_2addr_b32 v[46:47], v91 offset0:96 offset1:112
	v_fmac_f32_e32 v43, v87, v50
	v_fmac_f32_e32 v41, v88, v50
	s_delay_alu instid0(VALU_DEP_2) | instskip(NEXT) | instid1(VALU_DEP_1)
	v_fmac_f32_e32 v43, v89, v51
	v_fmac_f32_e32 v43, v24, v52
	s_delay_alu instid0(VALU_DEP_1) | instskip(SKIP_1) | instid1(VALU_DEP_1)
	v_fmac_f32_e32 v43, v26, v53
	s_waitcnt lgkmcnt(0)
	v_dual_fmac_f32 v40, v46, v67 :: v_dual_fmac_f32 v43, v44, v54
	s_delay_alu instid0(VALU_DEP_1) | instskip(SKIP_1) | instid1(VALU_DEP_3)
	v_fmac_f32_e32 v40, v48, v68
	v_fmac_f32_e32 v19, v84, v60
	;; [unrolled: 1-line block ×3, first 2 shown]
	s_delay_alu instid0(VALU_DEP_2) | instskip(SKIP_3) | instid1(VALU_DEP_1)
	v_fmac_f32_e32 v19, v86, v61
	ds_load_2addr_b32 v[60:61], v91 offset0:224 offset1:240
	v_fmac_f32_e32 v43, v48, v56
	v_fmac_f32_e32 v19, v88, v62
	;; [unrolled: 1-line block ×3, first 2 shown]
	s_delay_alu instid0(VALU_DEP_1) | instskip(NEXT) | instid1(VALU_DEP_1)
	v_fmac_f32_e32 v19, v25, v64
	v_fmac_f32_e32 v19, v27, v65
	s_delay_alu instid0(VALU_DEP_1) | instskip(SKIP_4) | instid1(VALU_DEP_2)
	v_dual_fmac_f32 v19, v45, v66 :: v_dual_add_nc_u32 v66, 0xc00, v29
	v_fmac_f32_e32 v41, v90, v51
	ds_load_2addr_b32 v[50:51], v91 offset0:160 offset1:176
	v_fmac_f32_e32 v19, v47, v67
	v_fmac_f32_e32 v41, v25, v52
	;; [unrolled: 1-line block ×3, first 2 shown]
	s_delay_alu instid0(VALU_DEP_2) | instskip(SKIP_3) | instid1(VALU_DEP_1)
	v_fmac_f32_e32 v41, v27, v53
	ds_load_2addr_b32 v[52:53], v91 offset0:192 offset1:208
	ds_load_b128 v[24:27], v30 offset:2112
	v_fmac_f32_e32 v41, v45, v54
	v_fmac_f32_e32 v41, v47, v55
	ds_load_2addr_b32 v[54:55], v92 offset1:16
	s_waitcnt lgkmcnt(3)
	v_fmac_f32_e32 v43, v50, v57
	v_fmac_f32_e32 v40, v50, v69
	;; [unrolled: 1-line block ×4, first 2 shown]
	ds_load_2addr_b32 v[48:49], v92 offset0:32 offset1:48
	ds_load_b128 v[44:47], v30 offset:2128
	v_fmac_f32_e32 v41, v51, v57
	s_waitcnt lgkmcnt(4)
	v_fmac_f32_e32 v43, v52, v58
	ds_load_2addr_b32 v[50:51], v92 offset0:64 offset1:80
	v_fmac_f32_e32 v40, v52, v70
	v_fmac_f32_e32 v19, v53, v70
	;; [unrolled: 1-line block ×4, first 2 shown]
	ds_load_2addr_b32 v[52:53], v92 offset0:96 offset1:112
	v_fmac_f32_e32 v40, v60, v71
	v_fmac_f32_e32 v19, v61, v71
	;; [unrolled: 1-line block ×3, first 2 shown]
	s_waitcnt lgkmcnt(4)
	v_fmac_f32_e32 v43, v54, v72
	ds_load_2addr_b32 v[56:57], v92 offset0:128 offset1:144
	v_fmac_f32_e32 v40, v54, v24
	v_fmac_f32_e32 v19, v55, v24
	;; [unrolled: 1-line block ×3, first 2 shown]
	s_waitcnt lgkmcnt(4)
	v_fmac_f32_e32 v43, v48, v73
	ds_load_2addr_b32 v[54:55], v92 offset0:160 offset1:176
	v_fmac_f32_e32 v40, v48, v25
	v_fmac_f32_e32 v19, v49, v25
	;; [unrolled: 1-line block ×3, first 2 shown]
	ds_load_2addr_b32 v[58:59], v92 offset0:192 offset1:208
	s_waitcnt lgkmcnt(4)
	v_fmac_f32_e32 v43, v50, v74
	v_fmac_f32_e32 v40, v50, v26
	;; [unrolled: 1-line block ×4, first 2 shown]
	ds_load_2addr_b32 v[60:61], v92 offset0:224 offset1:240
	s_waitcnt lgkmcnt(4)
	v_fmac_f32_e32 v43, v52, v75
	v_fmac_f32_e32 v40, v52, v27
	;; [unrolled: 1-line block ×4, first 2 shown]
	ds_load_2addr_b32 v[62:63], v66 offset1:16
	ds_load_b128 v[24:27], v30 offset:96
	s_waitcnt lgkmcnt(5)
	v_fmac_f32_e32 v43, v56, v76
	v_fmac_f32_e32 v40, v56, v44
	v_fmac_f32_e32 v19, v57, v44
	v_fmac_f32_e32 v41, v57, v76
	ds_load_b128 v[48:51], v30 offset:2144
	s_waitcnt lgkmcnt(5)
	v_fmac_f32_e32 v43, v54, v77
	ds_load_2addr_b32 v[56:57], v66 offset0:32 offset1:48
	v_fmac_f32_e32 v40, v54, v45
	v_fmac_f32_e32 v41, v55, v77
	v_fmac_f32_e32 v19, v55, v45
	s_waitcnt lgkmcnt(5)
	v_fmac_f32_e32 v43, v58, v78
	ds_load_2addr_b32 v[64:65], v66 offset0:64 offset1:80
	v_fmac_f32_e32 v40, v58, v46
	v_fmac_f32_e32 v41, v59, v78
	v_fmac_f32_e32 v19, v59, v46
	;; [unrolled: 6-line block ×3, first 2 shown]
	ds_load_b128 v[44:47], v30 offset:112
	s_waitcnt lgkmcnt(5)
	v_fmac_f32_e32 v43, v62, v24
	ds_load_2addr_b32 v[60:61], v66 offset0:128 offset1:144
	ds_load_b128 v[52:55], v30 offset:2160
	v_fmac_f32_e32 v41, v63, v24
	s_waitcnt lgkmcnt(6)
	v_fmac_f32_e32 v40, v62, v48
	v_fmac_f32_e32 v19, v63, v48
	s_waitcnt lgkmcnt(5)
	v_fmac_f32_e32 v43, v56, v25
	ds_load_2addr_b32 v[62:63], v66 offset0:160 offset1:176
	v_fmac_f32_e32 v41, v57, v25
	v_fmac_f32_e32 v40, v56, v49
	v_fmac_f32_e32 v19, v57, v49
	s_waitcnt lgkmcnt(5)
	v_fmac_f32_e32 v43, v64, v26
	ds_load_2addr_b32 v[24:25], v66 offset0:192 offset1:208
	v_fmac_f32_e32 v41, v65, v26
	;; [unrolled: 6-line block ×3, first 2 shown]
	v_fmac_f32_e32 v40, v58, v51
	v_fmac_f32_e32 v19, v59, v51
	s_waitcnt lgkmcnt(4)
	v_fmac_f32_e32 v43, v60, v44
	s_waitcnt lgkmcnt(0)
	v_fmac_f32_e32 v41, v61, v44
	v_fmac_f32_e32 v40, v60, v52
	;; [unrolled: 1-line block ×3, first 2 shown]
	s_barrier
	v_fmac_f32_e32 v43, v62, v45
	v_fmac_f32_e32 v41, v63, v45
	;; [unrolled: 1-line block ×4, first 2 shown]
	buffer_gl0_inv
	v_fmac_f32_e32 v43, v24, v46
	v_fmac_f32_e32 v41, v25, v46
	;; [unrolled: 1-line block ×4, first 2 shown]
	s_delay_alu instid0(VALU_DEP_4) | instskip(NEXT) | instid1(VALU_DEP_4)
	v_fmac_f32_e32 v43, v48, v47
	v_fmac_f32_e32 v41, v49, v47
	s_delay_alu instid0(VALU_DEP_4) | instskip(NEXT) | instid1(VALU_DEP_4)
	v_fmac_f32_e32 v40, v48, v55
	v_fmac_f32_e32 v19, v49, v55
	s_cbranch_scc1 .LBB5_55
.LBB5_7:                                ;   Parent Loop BB5_4 Depth=1
                                        ; =>  This Inner Loop Header: Depth=2
	v_add_co_u32 v26, s5, v2, s20
	s_delay_alu instid0(VALU_DEP_1) | instskip(SKIP_1) | instid1(VALU_DEP_2)
	v_add_co_ci_u32_e64 v27, s5, s21, v3, s5
	v_cmp_eq_u64_e64 s7, s[20:21], v[10:11]
	v_cmp_le_i64_e64 s6, s[12:13], v[26:27]
	v_cmp_lt_i64_e64 s5, v[26:27], v[0:1]
	s_delay_alu instid0(VALU_DEP_3) | instskip(NEXT) | instid1(VALU_DEP_1)
	s_and_b32 s26, s30, s7
	s_or_b32 s7, s6, s5
	s_delay_alu instid0(SALU_CYCLE_1) | instskip(SKIP_1) | instid1(VALU_DEP_1)
	s_or_b32 s8, s7, s26
	v_add_co_u32 v24, s7, v33, s16
	v_add_co_ci_u32_e64 v25, s7, s17, v34, s7
	s_or_b32 s7, s0, s8
	s_delay_alu instid0(SALU_CYCLE_1) | instskip(NEXT) | instid1(SALU_CYCLE_1)
	s_xor_b32 s7, s7, -1
	s_and_saveexec_b32 s8, s7
	s_delay_alu instid0(SALU_CYCLE_1)
	s_xor_b32 s7, exec_lo, s8
	s_cbranch_execz .LBB5_9
; %bb.8:                                ;   in Loop: Header=BB5_7 Depth=2
	global_load_b32 v44, v[24:25], off
	s_waitcnt vmcnt(0)
	ds_store_b32 v31, v44
.LBB5_9:                                ;   in Loop: Header=BB5_7 Depth=2
	s_or_saveexec_b32 s7, s7
	s_xor_b32 s25, s26, -1
	s_xor_b32 exec_lo, exec_lo, s7
	s_cbranch_execz .LBB5_15
; %bb.10:                               ;   in Loop: Header=BB5_7 Depth=2
	s_and_saveexec_b32 s8, s25
	s_delay_alu instid0(SALU_CYCLE_1)
	s_xor_b32 s8, exec_lo, s8
	s_cbranch_execz .LBB5_12
; %bb.11:                               ;   in Loop: Header=BB5_7 Depth=2
	ds_store_b32 v31, v37
.LBB5_12:                               ;   in Loop: Header=BB5_7 Depth=2
	s_and_not1_saveexec_b32 s8, s8
	s_cbranch_execz .LBB5_14
; %bb.13:                               ;   in Loop: Header=BB5_7 Depth=2
	ds_store_b32 v31, v38
.LBB5_14:                               ;   in Loop: Header=BB5_7 Depth=2
	s_or_b32 exec_lo, exec_lo, s8
.LBB5_15:                               ;   in Loop: Header=BB5_7 Depth=2
	s_delay_alu instid0(SALU_CYCLE_1) | instskip(SKIP_2) | instid1(VALU_DEP_2)
	s_or_b32 exec_lo, exec_lo, s7
	v_cmp_eq_u64_e64 s7, s[20:21], v[12:13]
	v_cmp_gt_i64_e64 s8, v[6:7], v[26:27]
	s_and_b32 s7, s30, s7
	s_delay_alu instid0(VALU_DEP_1) | instskip(NEXT) | instid1(SALU_CYCLE_1)
	s_or_b32 s6, s6, s8
	s_or_b32 s6, s6, s7
	s_delay_alu instid0(SALU_CYCLE_1) | instskip(NEXT) | instid1(SALU_CYCLE_1)
	s_or_b32 s6, s3, s6
	s_xor_b32 s6, s6, -1
	s_delay_alu instid0(SALU_CYCLE_1) | instskip(NEXT) | instid1(SALU_CYCLE_1)
	s_and_saveexec_b32 s8, s6
	s_xor_b32 s8, exec_lo, s8
	s_cbranch_execz .LBB5_17
; %bb.16:                               ;   in Loop: Header=BB5_7 Depth=2
	v_add_co_u32 v44, s6, v35, s16
	s_delay_alu instid0(VALU_DEP_1)
	v_add_co_ci_u32_e64 v45, s6, s17, v36, s6
	global_load_b32 v44, v[44:45], off
	s_waitcnt vmcnt(0)
	ds_store_b32 v31, v44 offset:64
.LBB5_17:                               ;   in Loop: Header=BB5_7 Depth=2
	s_and_not1_saveexec_b32 s6, s8
	s_cbranch_execz .LBB5_23
; %bb.18:                               ;   in Loop: Header=BB5_7 Depth=2
	s_xor_b32 s7, s7, -1
	s_delay_alu instid0(SALU_CYCLE_1) | instskip(NEXT) | instid1(SALU_CYCLE_1)
	s_and_saveexec_b32 s8, s7
	s_xor_b32 s7, exec_lo, s8
	s_cbranch_execz .LBB5_20
; %bb.19:                               ;   in Loop: Header=BB5_7 Depth=2
	ds_store_b32 v31, v37 offset:64
.LBB5_20:                               ;   in Loop: Header=BB5_7 Depth=2
	s_and_not1_saveexec_b32 s7, s7
	s_cbranch_execz .LBB5_22
; %bb.21:                               ;   in Loop: Header=BB5_7 Depth=2
	ds_store_b32 v31, v38 offset:64
.LBB5_22:                               ;   in Loop: Header=BB5_7 Depth=2
	s_or_b32 exec_lo, exec_lo, s7
.LBB5_23:                               ;   in Loop: Header=BB5_7 Depth=2
	s_delay_alu instid0(SALU_CYCLE_1) | instskip(SKIP_1) | instid1(VALU_DEP_1)
	s_or_b32 exec_lo, exec_lo, s6
	v_add_co_u32 v26, s6, v26, 16
	v_add_co_ci_u32_e64 v27, s6, 0, v27, s6
	v_cmp_eq_u64_e64 s7, s[20:21], v[14:15]
	s_delay_alu instid0(VALU_DEP_2) | instskip(SKIP_1) | instid1(VALU_DEP_3)
	v_cmp_le_i64_e64 s6, s[12:13], v[26:27]
	v_cmp_lt_i64_e64 s8, v[26:27], v[0:1]
	s_and_b32 s27, s30, s7
	s_delay_alu instid0(VALU_DEP_1) | instskip(NEXT) | instid1(SALU_CYCLE_1)
	s_or_b32 s7, s6, s8
	s_or_b32 s7, s7, s27
	s_delay_alu instid0(SALU_CYCLE_1) | instskip(NEXT) | instid1(SALU_CYCLE_1)
	s_or_b32 s7, s0, s7
	s_xor_b32 s7, s7, -1
	s_delay_alu instid0(SALU_CYCLE_1) | instskip(NEXT) | instid1(SALU_CYCLE_1)
	s_and_saveexec_b32 s8, s7
	s_xor_b32 s7, exec_lo, s8
	s_cbranch_execz .LBB5_25
; %bb.24:                               ;   in Loop: Header=BB5_7 Depth=2
	global_load_b32 v24, v[24:25], off offset:64
	s_waitcnt vmcnt(0)
	ds_store_b32 v31, v24 offset:2048
.LBB5_25:                               ;   in Loop: Header=BB5_7 Depth=2
	s_and_not1_saveexec_b32 s7, s7
	s_cbranch_execz .LBB5_31
; %bb.26:                               ;   in Loop: Header=BB5_7 Depth=2
	s_xor_b32 s8, s27, -1
	s_delay_alu instid0(SALU_CYCLE_1) | instskip(NEXT) | instid1(SALU_CYCLE_1)
	s_and_saveexec_b32 s27, s8
	s_xor_b32 s8, exec_lo, s27
	s_cbranch_execz .LBB5_28
; %bb.27:                               ;   in Loop: Header=BB5_7 Depth=2
	ds_store_b32 v31, v37 offset:2048
.LBB5_28:                               ;   in Loop: Header=BB5_7 Depth=2
	s_and_not1_saveexec_b32 s8, s8
	s_cbranch_execz .LBB5_30
; %bb.29:                               ;   in Loop: Header=BB5_7 Depth=2
	ds_store_b32 v31, v38 offset:2048
.LBB5_30:                               ;   in Loop: Header=BB5_7 Depth=2
	s_or_b32 exec_lo, exec_lo, s8
.LBB5_31:                               ;   in Loop: Header=BB5_7 Depth=2
	s_delay_alu instid0(SALU_CYCLE_1) | instskip(SKIP_1) | instid1(SALU_CYCLE_1)
	s_or_b32 exec_lo, exec_lo, s7
	s_or_b32 s5, s6, s5
	s_or_b32 s5, s5, s26
	s_delay_alu instid0(SALU_CYCLE_1) | instskip(NEXT) | instid1(SALU_CYCLE_1)
	s_or_b32 s5, s3, s5
	s_xor_b32 s5, s5, -1
	s_delay_alu instid0(SALU_CYCLE_1) | instskip(NEXT) | instid1(SALU_CYCLE_1)
	s_and_saveexec_b32 s6, s5
	s_xor_b32 s6, exec_lo, s6
	s_cbranch_execz .LBB5_33
; %bb.32:                               ;   in Loop: Header=BB5_7 Depth=2
	v_add_co_u32 v24, s5, v35, s16
	s_delay_alu instid0(VALU_DEP_1)
	v_add_co_ci_u32_e64 v25, s5, s17, v36, s5
	global_load_b32 v24, v[24:25], off offset:64
	s_waitcnt vmcnt(0)
	ds_store_b32 v31, v24 offset:2112
.LBB5_33:                               ;   in Loop: Header=BB5_7 Depth=2
	s_and_not1_saveexec_b32 s5, s6
	s_cbranch_execz .LBB5_39
; %bb.34:                               ;   in Loop: Header=BB5_7 Depth=2
	s_and_saveexec_b32 s6, s25
	s_delay_alu instid0(SALU_CYCLE_1)
	s_xor_b32 s6, exec_lo, s6
	s_cbranch_execz .LBB5_36
; %bb.35:                               ;   in Loop: Header=BB5_7 Depth=2
	ds_store_b32 v31, v37 offset:2112
.LBB5_36:                               ;   in Loop: Header=BB5_7 Depth=2
	s_and_not1_saveexec_b32 s6, s6
	s_cbranch_execz .LBB5_38
; %bb.37:                               ;   in Loop: Header=BB5_7 Depth=2
	ds_store_b32 v31, v38 offset:2112
.LBB5_38:                               ;   in Loop: Header=BB5_7 Depth=2
	s_or_b32 exec_lo, exec_lo, s6
.LBB5_39:                               ;   in Loop: Header=BB5_7 Depth=2
	s_delay_alu instid0(SALU_CYCLE_1) | instskip(SKIP_1) | instid1(VALU_DEP_1)
	s_or_b32 exec_lo, exec_lo, s5
	v_add_co_u32 v26, s5, v0, s20
	v_add_co_ci_u32_e64 v27, s5, s21, v1, s5
	s_delay_alu instid0(VALU_DEP_1) | instskip(NEXT) | instid1(VALU_DEP_1)
	v_cmp_gt_i64_e64 s5, s[12:13], v[26:27]
	s_and_b32 s6, vcc_lo, s5
	s_delay_alu instid0(SALU_CYCLE_1) | instskip(NEXT) | instid1(SALU_CYCLE_1)
	s_xor_b32 s6, s6, -1
	s_and_saveexec_b32 s7, s6
	s_delay_alu instid0(SALU_CYCLE_1)
	s_xor_b32 s6, exec_lo, s7
	s_cbranch_execz .LBB5_41
; %bb.40:                               ;   in Loop: Header=BB5_7 Depth=2
	ds_store_b32 v32, v37
.LBB5_41:                               ;   in Loop: Header=BB5_7 Depth=2
	s_or_saveexec_b32 s7, s6
	v_add_co_u32 v24, s6, v20, s16
	s_delay_alu instid0(VALU_DEP_1)
	v_add_co_ci_u32_e64 v25, s6, s17, v21, s6
	s_xor_b32 exec_lo, exec_lo, s7
	s_cbranch_execz .LBB5_43
; %bb.42:                               ;   in Loop: Header=BB5_7 Depth=2
	global_load_b32 v44, v[24:25], off offset:-64
	s_waitcnt vmcnt(0)
	ds_store_b32 v32, v44
.LBB5_43:                               ;   in Loop: Header=BB5_7 Depth=2
	s_or_b32 exec_lo, exec_lo, s7
	v_cmp_gt_i64_e64 s6, s[18:19], v[26:27]
	s_delay_alu instid0(VALU_DEP_1) | instskip(NEXT) | instid1(SALU_CYCLE_1)
	s_and_b32 s7, vcc_lo, s6
	s_xor_b32 s7, s7, -1
	s_delay_alu instid0(SALU_CYCLE_1) | instskip(NEXT) | instid1(SALU_CYCLE_1)
	s_and_saveexec_b32 s8, s7
	s_xor_b32 s7, exec_lo, s8
	s_cbranch_execz .LBB5_45
; %bb.44:                               ;   in Loop: Header=BB5_7 Depth=2
	ds_store_b32 v32, v37 offset:64
                                        ; implicit-def: $vgpr24_vgpr25
.LBB5_45:                               ;   in Loop: Header=BB5_7 Depth=2
	s_and_not1_saveexec_b32 s7, s7
	s_cbranch_execz .LBB5_47
; %bb.46:                               ;   in Loop: Header=BB5_7 Depth=2
	global_load_b32 v24, v[24:25], off
	s_waitcnt vmcnt(0)
	ds_store_b32 v32, v24 offset:64
.LBB5_47:                               ;   in Loop: Header=BB5_7 Depth=2
	s_or_b32 exec_lo, exec_lo, s7
	s_and_b32 s5, s4, s5
	s_delay_alu instid0(SALU_CYCLE_1) | instskip(NEXT) | instid1(SALU_CYCLE_1)
	s_xor_b32 s5, s5, -1
	s_and_saveexec_b32 s7, s5
	s_delay_alu instid0(SALU_CYCLE_1)
	s_xor_b32 s5, exec_lo, s7
	s_cbranch_execz .LBB5_49
; %bb.48:                               ;   in Loop: Header=BB5_7 Depth=2
	ds_store_b32 v32, v37 offset:2048
.LBB5_49:                               ;   in Loop: Header=BB5_7 Depth=2
	s_and_not1_saveexec_b32 s7, s5
	s_cbranch_execz .LBB5_51
; %bb.50:                               ;   in Loop: Header=BB5_7 Depth=2
	v_add_co_u32 v24, s5, v22, s16
	s_delay_alu instid0(VALU_DEP_1)
	v_add_co_ci_u32_e64 v25, s5, s17, v23, s5
	global_load_b32 v24, v[24:25], off offset:-64
	s_waitcnt vmcnt(0)
	ds_store_b32 v32, v24 offset:2048
.LBB5_51:                               ;   in Loop: Header=BB5_7 Depth=2
	s_or_b32 exec_lo, exec_lo, s7
	s_and_b32 s5, s4, s6
	s_delay_alu instid0(SALU_CYCLE_1) | instskip(NEXT) | instid1(SALU_CYCLE_1)
	s_xor_b32 s5, s5, -1
	s_and_saveexec_b32 s6, s5
	s_delay_alu instid0(SALU_CYCLE_1)
	s_xor_b32 s5, exec_lo, s6
	s_cbranch_execz .LBB5_53
; %bb.52:                               ;   in Loop: Header=BB5_7 Depth=2
	ds_store_b32 v32, v37 offset:2112
.LBB5_53:                               ;   in Loop: Header=BB5_7 Depth=2
	s_and_not1_saveexec_b32 s6, s5
	s_cbranch_execz .LBB5_6
; %bb.54:                               ;   in Loop: Header=BB5_7 Depth=2
	v_add_co_u32 v24, s5, v22, s16
	s_delay_alu instid0(VALU_DEP_1)
	v_add_co_ci_u32_e64 v25, s5, s17, v23, s5
	global_load_b32 v24, v[24:25], off
	s_waitcnt vmcnt(0)
	ds_store_b32 v32, v24 offset:2112
	s_branch .LBB5_6
.LBB5_55:                               ;   in Loop: Header=BB5_4 Depth=1
	s_delay_alu instid0(VALU_DEP_1) | instskip(SKIP_3) | instid1(VALU_DEP_2)
	v_mul_lo_u32 v22, v42, s40
	v_mul_lo_u32 v23, v39, s41
	v_mad_u64_u32 v[20:21], null, v39, s40, 0
	v_cmp_gt_i32_e32 vcc_lo, s10, v39
	v_add3_u32 v21, v21, v23, v22
	s_delay_alu instid0(VALU_DEP_1) | instskip(NEXT) | instid1(VALU_DEP_1)
	v_lshlrev_b64 v[20:21], 2, v[20:21]
	v_add_co_u32 v20, s4, s31, v20
	s_delay_alu instid0(VALU_DEP_1) | instskip(SKIP_1) | instid1(SALU_CYCLE_1)
	v_add_co_ci_u32_e64 v21, s4, s35, v21, s4
	s_and_b32 s4, s1, vcc_lo
	s_and_saveexec_b32 s5, s4
	s_cbranch_execz .LBB5_57
; %bb.56:                               ;   in Loop: Header=BB5_4 Depth=1
	v_add_co_u32 v22, s4, v20, v8
	s_delay_alu instid0(VALU_DEP_1)
	v_add_co_ci_u32_e64 v23, s4, v21, v9, s4
	global_load_b32 v24, v[22:23], off
	s_waitcnt vmcnt(0)
	v_fmac_f32_e32 v24, s11, v43
	global_store_b32 v[22:23], v24, off
.LBB5_57:                               ;   in Loop: Header=BB5_4 Depth=1
	s_or_b32 exec_lo, exec_lo, s5
	s_and_b32 s5, s2, vcc_lo
	s_delay_alu instid0(SALU_CYCLE_1)
	s_and_saveexec_b32 s4, s5
	s_cbranch_execz .LBB5_59
; %bb.58:                               ;   in Loop: Header=BB5_4 Depth=1
	v_lshlrev_b64 v[22:23], 2, v[4:5]
	s_delay_alu instid0(VALU_DEP_1) | instskip(NEXT) | instid1(VALU_DEP_2)
	v_add_co_u32 v20, vcc_lo, v20, v22
	v_add_co_ci_u32_e32 v21, vcc_lo, v21, v23, vcc_lo
	global_load_b32 v22, v[20:21], off
	s_waitcnt vmcnt(0)
	v_fmac_f32_e32 v22, s11, v41
	global_store_b32 v[20:21], v22, off
.LBB5_59:                               ;   in Loop: Header=BB5_4 Depth=1
	s_or_b32 exec_lo, exec_lo, s4
	v_add_nc_u32_e32 v22, 16, v39
	s_delay_alu instid0(VALU_DEP_1) | instskip(SKIP_3) | instid1(VALU_DEP_4)
	v_ashrrev_i32_e32 v23, 31, v22
	v_mul_lo_u32 v24, v22, s41
	v_mad_u64_u32 v[20:21], null, v22, s40, 0
	v_cmp_gt_i32_e32 vcc_lo, s10, v22
	v_mul_lo_u32 v23, v23, s40
	s_delay_alu instid0(VALU_DEP_1) | instskip(NEXT) | instid1(VALU_DEP_1)
	v_add3_u32 v21, v21, v24, v23
	v_lshlrev_b64 v[20:21], 2, v[20:21]
	s_delay_alu instid0(VALU_DEP_1) | instskip(NEXT) | instid1(VALU_DEP_1)
	v_add_co_u32 v20, s4, s31, v20
	v_add_co_ci_u32_e64 v21, s4, s35, v21, s4
	s_and_b32 s4, s1, vcc_lo
	s_delay_alu instid0(SALU_CYCLE_1)
	s_and_saveexec_b32 s5, s4
	s_cbranch_execz .LBB5_61
; %bb.60:                               ;   in Loop: Header=BB5_4 Depth=1
	v_add_co_u32 v22, s4, v20, v8
	s_delay_alu instid0(VALU_DEP_1)
	v_add_co_ci_u32_e64 v23, s4, v21, v9, s4
	global_load_b32 v24, v[22:23], off
	s_waitcnt vmcnt(0)
	v_fmac_f32_e32 v24, s11, v40
	global_store_b32 v[22:23], v24, off
.LBB5_61:                               ;   in Loop: Header=BB5_4 Depth=1
	s_or_b32 exec_lo, exec_lo, s5
	s_and_b32 s5, s2, vcc_lo
	s_delay_alu instid0(SALU_CYCLE_1)
	s_and_saveexec_b32 s4, s5
	s_cbranch_execz .LBB5_3
; %bb.62:                               ;   in Loop: Header=BB5_4 Depth=1
	v_lshlrev_b64 v[22:23], 2, v[4:5]
	s_delay_alu instid0(VALU_DEP_1) | instskip(NEXT) | instid1(VALU_DEP_2)
	v_add_co_u32 v20, vcc_lo, v20, v22
	v_add_co_ci_u32_e32 v21, vcc_lo, v21, v23, vcc_lo
	global_load_b32 v22, v[20:21], off
	s_waitcnt vmcnt(0)
	v_fmac_f32_e32 v22, s11, v19
	global_store_b32 v[20:21], v22, off
	s_branch .LBB5_3
.LBB5_63:
	s_nop 0
	s_sendmsg sendmsg(MSG_DEALLOC_VGPRS)
	s_endpgm
	.section	.rodata,"a",@progbits
	.p2align	6, 0x0
	.amdhsa_kernel _ZL30rocblas_trmm_outofplace_kernelIfLi32ELi2ELb1ELb0ELb1ELb0EfKffEv17rocblas_diagonal_iiT6_lPT7_lllS4_lllPT8_llli
		.amdhsa_group_segment_fixed_size 8192
		.amdhsa_private_segment_fixed_size 0
		.amdhsa_kernarg_size 384
		.amdhsa_user_sgpr_count 13
		.amdhsa_user_sgpr_dispatch_ptr 0
		.amdhsa_user_sgpr_queue_ptr 0
		.amdhsa_user_sgpr_kernarg_segment_ptr 1
		.amdhsa_user_sgpr_dispatch_id 0
		.amdhsa_user_sgpr_private_segment_size 0
		.amdhsa_wavefront_size32 1
		.amdhsa_uses_dynamic_stack 0
		.amdhsa_enable_private_segment 0
		.amdhsa_system_sgpr_workgroup_id_x 1
		.amdhsa_system_sgpr_workgroup_id_y 1
		.amdhsa_system_sgpr_workgroup_id_z 1
		.amdhsa_system_sgpr_workgroup_info 0
		.amdhsa_system_vgpr_workitem_id 1
		.amdhsa_next_free_vgpr 93
		.amdhsa_next_free_sgpr 44
		.amdhsa_reserve_vcc 1
		.amdhsa_float_round_mode_32 0
		.amdhsa_float_round_mode_16_64 0
		.amdhsa_float_denorm_mode_32 3
		.amdhsa_float_denorm_mode_16_64 3
		.amdhsa_dx10_clamp 1
		.amdhsa_ieee_mode 1
		.amdhsa_fp16_overflow 0
		.amdhsa_workgroup_processor_mode 1
		.amdhsa_memory_ordered 1
		.amdhsa_forward_progress 0
		.amdhsa_shared_vgpr_count 0
		.amdhsa_exception_fp_ieee_invalid_op 0
		.amdhsa_exception_fp_denorm_src 0
		.amdhsa_exception_fp_ieee_div_zero 0
		.amdhsa_exception_fp_ieee_overflow 0
		.amdhsa_exception_fp_ieee_underflow 0
		.amdhsa_exception_fp_ieee_inexact 0
		.amdhsa_exception_int_div_zero 0
	.end_amdhsa_kernel
	.section	.text._ZL30rocblas_trmm_outofplace_kernelIfLi32ELi2ELb1ELb0ELb1ELb0EfKffEv17rocblas_diagonal_iiT6_lPT7_lllS4_lllPT8_llli,"axG",@progbits,_ZL30rocblas_trmm_outofplace_kernelIfLi32ELi2ELb1ELb0ELb1ELb0EfKffEv17rocblas_diagonal_iiT6_lPT7_lllS4_lllPT8_llli,comdat
.Lfunc_end5:
	.size	_ZL30rocblas_trmm_outofplace_kernelIfLi32ELi2ELb1ELb0ELb1ELb0EfKffEv17rocblas_diagonal_iiT6_lPT7_lllS4_lllPT8_llli, .Lfunc_end5-_ZL30rocblas_trmm_outofplace_kernelIfLi32ELi2ELb1ELb0ELb1ELb0EfKffEv17rocblas_diagonal_iiT6_lPT7_lllS4_lllPT8_llli
                                        ; -- End function
	.section	.AMDGPU.csdata,"",@progbits
; Kernel info:
; codeLenInByte = 3484
; NumSgprs: 46
; NumVgprs: 93
; ScratchSize: 0
; MemoryBound: 0
; FloatMode: 240
; IeeeMode: 1
; LDSByteSize: 8192 bytes/workgroup (compile time only)
; SGPRBlocks: 5
; VGPRBlocks: 11
; NumSGPRsForWavesPerEU: 46
; NumVGPRsForWavesPerEU: 93
; Occupancy: 16
; WaveLimiterHint : 0
; COMPUTE_PGM_RSRC2:SCRATCH_EN: 0
; COMPUTE_PGM_RSRC2:USER_SGPR: 13
; COMPUTE_PGM_RSRC2:TRAP_HANDLER: 0
; COMPUTE_PGM_RSRC2:TGID_X_EN: 1
; COMPUTE_PGM_RSRC2:TGID_Y_EN: 1
; COMPUTE_PGM_RSRC2:TGID_Z_EN: 1
; COMPUTE_PGM_RSRC2:TIDIG_COMP_CNT: 1
	.section	.text._ZL30rocblas_trmm_outofplace_kernelIfLi32ELi2ELb1ELb1ELb1ELb0EPKfS0_fEv17rocblas_diagonal_iiT6_lPT7_lllS5_lllPT8_llli,"axG",@progbits,_ZL30rocblas_trmm_outofplace_kernelIfLi32ELi2ELb1ELb1ELb1ELb0EPKfS0_fEv17rocblas_diagonal_iiT6_lPT7_lllS5_lllPT8_llli,comdat
	.globl	_ZL30rocblas_trmm_outofplace_kernelIfLi32ELi2ELb1ELb1ELb1ELb0EPKfS0_fEv17rocblas_diagonal_iiT6_lPT7_lllS5_lllPT8_llli ; -- Begin function _ZL30rocblas_trmm_outofplace_kernelIfLi32ELi2ELb1ELb1ELb1ELb0EPKfS0_fEv17rocblas_diagonal_iiT6_lPT7_lllS5_lllPT8_llli
	.p2align	8
	.type	_ZL30rocblas_trmm_outofplace_kernelIfLi32ELi2ELb1ELb1ELb1ELb0EPKfS0_fEv17rocblas_diagonal_iiT6_lPT7_lllS5_lllPT8_llli,@function
_ZL30rocblas_trmm_outofplace_kernelIfLi32ELi2ELb1ELb1ELb1ELb0EPKfS0_fEv17rocblas_diagonal_iiT6_lPT7_lllS5_lllPT8_llli: ; @_ZL30rocblas_trmm_outofplace_kernelIfLi32ELi2ELb1ELb1ELb1ELb0EPKfS0_fEv17rocblas_diagonal_iiT6_lPT7_lllS5_lllPT8_llli
; %bb.0:
	s_load_b512 s[16:31], s[0:1], 0x10
	s_waitcnt lgkmcnt(0)
	s_mul_i32 s2, s15, s19
	s_mul_hi_u32 s3, s15, s18
	s_delay_alu instid0(SALU_CYCLE_1) | instskip(SKIP_1) | instid1(SALU_CYCLE_1)
	s_add_i32 s3, s3, s2
	s_mul_i32 s2, s15, s18
	s_lshl_b64 s[2:3], s[2:3], 2
	s_delay_alu instid0(SALU_CYCLE_1) | instskip(SKIP_4) | instid1(VALU_DEP_1)
	s_add_u32 s2, s16, s2
	s_addc_u32 s3, s17, s3
	s_load_b32 s33, s[2:3], 0x0
	s_waitcnt lgkmcnt(0)
	v_cmp_eq_f32_e64 s2, s33, 0
	s_and_b32 vcc_lo, exec_lo, s2
	s_cbranch_vccnz .LBB6_63
; %bb.1:
	s_load_b128 s[8:11], s[0:1], 0x0
	s_waitcnt lgkmcnt(0)
	s_add_i32 s2, s10, -1
	s_delay_alu instid0(SALU_CYCLE_1) | instskip(NEXT) | instid1(SALU_CYCLE_1)
	s_ashr_i32 s3, s2, 31
	s_lshr_b32 s3, s3, 27
	s_delay_alu instid0(SALU_CYCLE_1) | instskip(NEXT) | instid1(SALU_CYCLE_1)
	s_add_i32 s2, s2, s3
	s_ashr_i32 s11, s2, 5
	s_delay_alu instid0(SALU_CYCLE_1)
	s_cmp_gt_i32 s14, s11
	s_cbranch_scc1 .LBB6_63
; %bb.2:
	s_clause 0x1
	s_load_b128 s[16:19], s[0:1], 0x70
	s_load_b256 s[36:43], s[0:1], 0x50
	s_mul_i32 s3, s15, s27
	s_mul_hi_u32 s4, s15, s26
	s_mul_i32 s2, s15, s26
	s_add_i32 s3, s4, s3
	s_load_b32 s26, s[0:1], 0x8c
	s_lshl_b64 s[4:5], s[2:3], 2
	v_bfe_u32 v26, v0, 10, 10
	s_add_u32 s2, s20, s4
	s_addc_u32 s3, s21, s5
	s_lshl_b64 s[6:7], s[22:23], 2
	v_and_b32_e32 v27, 0x3ff, v0
	s_add_u32 s22, s2, s6
	s_addc_u32 s3, s3, s7
	v_lshlrev_b32_e32 v1, 7, v26
	s_delay_alu instid0(VALU_DEP_2)
	v_dual_mov_b32 v29, 0 :: v_dual_lshlrev_b32 v28, 2, v27
	v_dual_mov_b32 v37, 1.0 :: v_dual_lshlrev_b32 v18, 2, v26
	s_waitcnt lgkmcnt(0)
	s_mul_i32 s1, s15, s19
	s_mul_hi_u32 s2, s15, s18
	s_mul_i32 s0, s15, s18
	s_add_i32 s1, s2, s1
	v_add_nc_u32_e32 v30, v28, v1
	s_lshl_b64 s[0:1], s[0:1], 2
	v_add_nc_u32_e32 v31, 0x1000, v1
	s_add_u32 s2, s40, s0
	s_addc_u32 s12, s41, s1
	s_lshl_b64 s[0:1], s[42:43], 2
	v_add_nc_u32_e32 v38, 0x400, v28
	s_add_u32 s27, s2, s0
	s_addc_u32 s34, s12, s1
	s_lshl_b32 s35, s13, 5
	s_cmp_gt_i32 s13, -1
	v_add_nc_u32_e32 v0, s35, v27
	s_cselect_b32 s40, -1, 0
	s_cmpk_eq_i32 s8, 0x84
	s_mov_b32 s12, s9
	s_cselect_b32 s41, -1, 0
	v_ashrrev_i32_e32 v1, 31, v0
	v_mul_lo_u32 v2, v0, s25
	v_mad_u64_u32 v[3:4], null, v0, s24, 0
	s_ashr_i32 s13, s9, 31
	s_delay_alu instid0(VALU_DEP_3)
	v_mul_lo_u32 v5, v1, s24
	s_ashr_i32 s42, s10, 31
	s_add_u32 s18, s9, -16
	v_cmp_le_i32_e64 s0, s9, v0
	v_cmp_gt_i32_e64 s1, s9, v0
	s_mul_i32 s8, s39, s15
	v_lshlrev_b64 v[8:9], 2, v[0:1]
	s_addc_u32 s19, s13, -1
	v_add3_u32 v4, v4, v2, v5
	v_add_nc_u32_e32 v2, 16, v0
	v_add_nc_u32_e32 v32, v31, v28
	s_delay_alu instid0(VALU_DEP_3) | instskip(SKIP_3) | instid1(VALU_DEP_4)
	v_lshlrev_b64 v[6:7], 2, v[3:4]
	v_add_co_u32 v4, vcc_lo, v0, 16
	v_add_co_ci_u32_e32 v5, vcc_lo, 0, v1, vcc_lo
	v_cmp_gt_i32_e64 s2, s9, v2
	v_add_co_u32 v3, vcc_lo, s22, v6
	v_add_co_ci_u32_e32 v6, vcc_lo, s3, v7, vcc_lo
	s_mul_hi_u32 s9, s38, s15
	s_delay_alu instid0(VALU_DEP_2) | instskip(NEXT) | instid1(VALU_DEP_2)
	v_add_co_u32 v33, vcc_lo, v3, v18
	v_add_co_ci_u32_e32 v34, vcc_lo, 0, v6, vcc_lo
	v_sub_co_u32 v6, vcc_lo, v0, v26
	v_subrev_co_ci_u32_e32 v7, vcc_lo, 0, v1, vcc_lo
	s_add_i32 s9, s9, s8
	s_mul_i32 s8, s38, s15
	s_delay_alu instid0(VALU_DEP_2)
	v_add_co_u32 v10, vcc_lo, v6, 16
	s_lshl_b64 s[8:9], s[8:9], 2
	s_lshl_b64 s[22:23], s[30:31], 2
	v_add_co_ci_u32_e32 v11, vcc_lo, 0, v7, vcc_lo
	s_add_u32 s8, s8, s22
	v_add_co_u32 v12, vcc_lo, v8, 64
	s_addc_u32 s9, s9, s23
	v_add_co_ci_u32_e32 v13, vcc_lo, 0, v9, vcc_lo
	s_add_u32 s8, s28, s8
	s_addc_u32 s15, s29, s9
	s_lshl_b64 s[22:23], s[36:37], 2
	s_lshl_b32 s9, s26, 5
	s_add_u32 s4, s6, s4
	s_addc_u32 s5, s7, s5
	v_mul_lo_u32 v14, s24, v13
	v_mul_lo_u32 v15, s25, v12
	v_mad_u64_u32 v[16:17], null, s24, v12, s[4:5]
	v_add_co_u32 v19, s4, s8, v28
	v_add_co_u32 v12, vcc_lo, v6, -16
	v_add_co_ci_u32_e64 v20, null, s15, 0, s4
	v_add_co_ci_u32_e32 v13, vcc_lo, -1, v7, vcc_lo
	v_add3_u32 v17, v15, v17, v14
	v_add_co_u32 v14, vcc_lo, v19, 64
	s_delay_alu instid0(VALU_DEP_4) | instskip(SKIP_1) | instid1(VALU_DEP_4)
	v_add_co_ci_u32_e32 v15, vcc_lo, 0, v20, vcc_lo
	v_add_co_u32 v18, vcc_lo, v16, v18
	v_add_co_ci_u32_e32 v17, vcc_lo, 0, v17, vcc_lo
	v_cmp_le_i64_e64 s3, s[12:13], v[4:5]
	s_delay_alu instid0(VALU_DEP_3)
	v_add_co_u32 v35, vcc_lo, s20, v18
	v_ashrrev_i32_e32 v3, 31, v2
	v_lshl_add_u32 v16, s14, 5, v26
	v_add_co_ci_u32_e32 v36, vcc_lo, s21, v17, vcc_lo
	s_branch .LBB6_4
.LBB6_3:                                ;   in Loop: Header=BB6_4 Depth=1
	s_or_b32 exec_lo, exec_lo, s4
	v_add_nc_u32_e32 v16, s9, v16
	s_add_i32 s14, s26, s14
	s_delay_alu instid0(SALU_CYCLE_1)
	s_cmp_le_i32 s14, s11
	s_cbranch_scc0 .LBB6_63
.LBB6_4:                                ; =>This Loop Header: Depth=1
                                        ;     Child Loop BB6_7 Depth 2
	v_lshl_add_u32 v39, s14, 5, v26
	v_dual_mov_b32 v43, 0 :: v_dual_mov_b32 v40, 0
	v_mov_b32_e32 v41, 0
	v_mov_b32_e32 v17, 0
	s_delay_alu instid0(VALU_DEP_4)
	v_ashrrev_i32_e32 v42, 31, v39
	s_and_not1_b32 vcc_lo, exec_lo, s40
	s_cbranch_vccnz .LBB6_55
; %bb.5:                                ;   in Loop: Header=BB6_4 Depth=1
	v_ashrrev_i32_e32 v17, 31, v16
	v_mad_u64_u32 v[18:19], null, s22, v16, v[14:15]
	v_mul_lo_u32 v24, s23, v16
	v_mov_b32_e32 v41, 0
	s_delay_alu instid0(VALU_DEP_4) | instskip(SKIP_4) | instid1(VALU_DEP_3)
	v_lshlrev_b64 v[20:21], 2, v[16:17]
	v_mul_lo_u32 v43, s22, v17
	v_dual_mov_b32 v17, 0 :: v_dual_mov_b32 v40, 0
	s_mov_b64 s[20:21], 0
	s_mov_b64 s[24:25], 0
	v_add_co_u32 v25, vcc_lo, v20, 64
	v_add_co_ci_u32_e32 v20, vcc_lo, 0, v21, vcc_lo
	v_sub_co_u32 v22, vcc_lo, s10, v39
	s_delay_alu instid0(VALU_DEP_3) | instskip(NEXT) | instid1(VALU_DEP_3)
	v_mul_lo_u32 v45, s37, v25
	v_mul_lo_u32 v44, s36, v20
	v_mad_u64_u32 v[20:21], null, s36, v25, v[14:15]
	v_sub_co_ci_u32_e32 v23, vcc_lo, s42, v42, vcc_lo
	v_add3_u32 v19, v24, v19, v43
	v_mov_b32_e32 v43, 0
	s_delay_alu instid0(VALU_DEP_3)
	v_cmp_lt_i64_e32 vcc_lo, 0, v[22:23]
	v_cmp_lt_i64_e64 s4, 16, v[22:23]
	v_add3_u32 v21, v45, v21, v44
	s_branch .LBB6_7
.LBB6_6:                                ;   in Loop: Header=BB6_7 Depth=2
	s_or_b32 exec_lo, exec_lo, s6
	s_waitcnt lgkmcnt(0)
	s_waitcnt_vscnt null, 0x0
	s_barrier
	buffer_gl0_inv
	ds_load_2addr_b32 v[64:65], v28 offset1:16
	ds_load_b128 v[22:25], v31
	ds_load_b128 v[44:47], v31 offset:2048
	ds_load_2addr_b32 v[66:67], v28 offset0:32 offset1:48
	ds_load_b128 v[48:51], v31 offset:16
	ds_load_2addr_b32 v[68:69], v28 offset0:64 offset1:80
	ds_load_b128 v[52:55], v31 offset:32
	ds_load_b128 v[56:59], v31 offset:48
	ds_load_2addr_b32 v[70:71], v28 offset0:96 offset1:112
	ds_load_2addr_b32 v[72:73], v28 offset0:128 offset1:144
	ds_load_b128 v[60:63], v31 offset:2064
	ds_load_2addr_b32 v[74:75], v28 offset0:160 offset1:176
	ds_load_2addr_b32 v[76:77], v28 offset0:192 offset1:208
	;; [unrolled: 1-line block ×3, first 2 shown]
	ds_load_2addr_b32 v[80:81], v38 offset1:16
	ds_load_2addr_b32 v[82:83], v38 offset0:32 offset1:48
	s_add_u32 s24, s24, 32
	s_addc_u32 s25, s25, 0
	s_sub_i32 s5, s24, 32
	s_add_u32 s20, s20, 0x80
	s_addc_u32 s21, s21, 0
	s_waitcnt lgkmcnt(13)
	v_dual_fmac_f32 v41, v65, v22 :: v_dual_fmac_f32 v40, v64, v44
	v_fmac_f32_e32 v43, v64, v22
	s_cmp_ge_i32 s5, s35
	s_waitcnt lgkmcnt(12)
	s_delay_alu instid0(VALU_DEP_2) | instskip(SKIP_4) | instid1(VALU_DEP_1)
	v_dual_fmac_f32 v40, v66, v45 :: v_dual_fmac_f32 v17, v65, v44
	ds_load_2addr_b32 v[64:65], v38 offset0:64 offset1:80
	s_waitcnt lgkmcnt(11)
	v_dual_fmac_f32 v40, v68, v46 :: v_dual_fmac_f32 v17, v67, v45
	s_waitcnt lgkmcnt(8)
	v_fmac_f32_e32 v40, v70, v47
	v_fmac_f32_e32 v43, v66, v23
	s_waitcnt lgkmcnt(6)
	s_delay_alu instid0(VALU_DEP_2)
	v_dual_fmac_f32 v17, v69, v46 :: v_dual_fmac_f32 v40, v72, v60
	v_fmac_f32_e32 v41, v67, v23
	ds_load_2addr_b32 v[66:67], v38 offset0:96 offset1:112
	s_waitcnt lgkmcnt(6)
	v_dual_fmac_f32 v40, v74, v61 :: v_dual_fmac_f32 v41, v69, v24
	s_waitcnt lgkmcnt(5)
	s_delay_alu instid0(VALU_DEP_1)
	v_fmac_f32_e32 v40, v76, v62
	v_fmac_f32_e32 v43, v68, v24
	ds_load_2addr_b32 v[68:69], v38 offset0:128 offset1:144
	s_waitcnt lgkmcnt(5)
	v_dual_fmac_f32 v41, v71, v25 :: v_dual_fmac_f32 v40, v78, v63
	v_fmac_f32_e32 v43, v70, v25
	s_delay_alu instid0(VALU_DEP_1) | instskip(NEXT) | instid1(VALU_DEP_1)
	v_fmac_f32_e32 v43, v72, v48
	v_fmac_f32_e32 v43, v74, v49
	s_delay_alu instid0(VALU_DEP_1)
	v_dual_fmac_f32 v43, v76, v50 :: v_dual_add_nc_u32 v76, 0x800, v28
	v_fmac_f32_e32 v17, v71, v47
	ds_load_b128 v[22:25], v31 offset:2080
	ds_load_b128 v[44:47], v31 offset:2096
	ds_load_2addr_b32 v[70:71], v38 offset0:160 offset1:176
	v_fmac_f32_e32 v43, v78, v51
	s_waitcnt lgkmcnt(7)
	s_delay_alu instid0(VALU_DEP_1) | instskip(SKIP_1) | instid1(VALU_DEP_1)
	v_fmac_f32_e32 v43, v80, v52
	s_waitcnt lgkmcnt(6)
	v_fmac_f32_e32 v43, v82, v53
	s_waitcnt lgkmcnt(5)
	s_delay_alu instid0(VALU_DEP_1) | instskip(SKIP_1) | instid1(VALU_DEP_1)
	v_fmac_f32_e32 v43, v64, v54
	s_waitcnt lgkmcnt(2)
	v_dual_fmac_f32 v40, v80, v22 :: v_dual_fmac_f32 v43, v66, v55
	s_delay_alu instid0(VALU_DEP_1) | instskip(SKIP_1) | instid1(VALU_DEP_1)
	v_dual_fmac_f32 v40, v82, v23 :: v_dual_fmac_f32 v43, v68, v56
	s_waitcnt lgkmcnt(0)
	v_dual_fmac_f32 v40, v64, v24 :: v_dual_fmac_f32 v43, v70, v57
	s_delay_alu instid0(VALU_DEP_1) | instskip(SKIP_1) | instid1(VALU_DEP_2)
	v_fmac_f32_e32 v40, v66, v25
	v_add_nc_u32_e32 v66, 0xc00, v28
	v_fmac_f32_e32 v40, v68, v44
	s_delay_alu instid0(VALU_DEP_1)
	v_dual_fmac_f32 v41, v73, v48 :: v_dual_fmac_f32 v40, v70, v45
	v_fmac_f32_e32 v17, v73, v60
	ds_load_2addr_b32 v[72:73], v38 offset0:192 offset1:208
	s_waitcnt lgkmcnt(0)
	v_dual_fmac_f32 v40, v72, v46 :: v_dual_fmac_f32 v17, v75, v61
	v_fmac_f32_e32 v41, v75, v49
	ds_load_2addr_b32 v[74:75], v38 offset0:224 offset1:240
	v_fmac_f32_e32 v43, v72, v58
	v_fmac_f32_e32 v17, v77, v62
	s_delay_alu instid0(VALU_DEP_1) | instskip(NEXT) | instid1(VALU_DEP_1)
	v_fmac_f32_e32 v17, v79, v63
	v_fmac_f32_e32 v17, v81, v22
	s_delay_alu instid0(VALU_DEP_1) | instskip(SKIP_3) | instid1(VALU_DEP_3)
	v_fmac_f32_e32 v17, v83, v23
	s_waitcnt lgkmcnt(0)
	v_dual_fmac_f32 v40, v74, v47 :: v_dual_fmac_f32 v41, v77, v50
	v_fmac_f32_e32 v43, v74, v59
	v_fmac_f32_e32 v17, v65, v24
	s_delay_alu instid0(VALU_DEP_3)
	v_fmac_f32_e32 v41, v79, v51
	ds_load_b128 v[48:51], v31 offset:64
	ds_load_b128 v[60:63], v31 offset:80
	v_fmac_f32_e32 v17, v67, v25
	ds_load_b128 v[22:25], v31 offset:2112
	v_fmac_f32_e32 v17, v69, v44
	s_delay_alu instid0(VALU_DEP_1) | instskip(NEXT) | instid1(VALU_DEP_1)
	v_fmac_f32_e32 v17, v71, v45
	v_fmac_f32_e32 v17, v73, v46
	s_delay_alu instid0(VALU_DEP_1) | instskip(SKIP_2) | instid1(VALU_DEP_1)
	v_fmac_f32_e32 v17, v75, v47
	ds_load_b128 v[44:47], v31 offset:2128
	v_fmac_f32_e32 v41, v81, v52
	v_fmac_f32_e32 v41, v83, v53
	ds_load_2addr_b32 v[52:53], v76 offset1:16
	v_fmac_f32_e32 v41, v65, v54
	ds_load_2addr_b32 v[64:65], v76 offset0:96 offset1:112
	v_fmac_f32_e32 v41, v67, v55
	ds_load_2addr_b32 v[54:55], v76 offset0:32 offset1:48
	v_fmac_f32_e32 v41, v69, v56
	s_delay_alu instid0(VALU_DEP_1)
	v_fmac_f32_e32 v41, v71, v57
	ds_load_2addr_b32 v[56:57], v76 offset0:64 offset1:80
	s_waitcnt lgkmcnt(3)
	v_fmac_f32_e32 v43, v52, v48
	v_fmac_f32_e32 v40, v52, v22
	;; [unrolled: 1-line block ×4, first 2 shown]
	s_delay_alu instid0(VALU_DEP_1)
	v_fmac_f32_e32 v41, v75, v59
	ds_load_2addr_b32 v[58:59], v76 offset0:128 offset1:144
	s_waitcnt lgkmcnt(2)
	v_fmac_f32_e32 v43, v54, v49
	v_fmac_f32_e32 v40, v54, v23
	;; [unrolled: 1-line block ×4, first 2 shown]
	ds_load_2addr_b32 v[52:53], v76 offset0:160 offset1:176
	v_fmac_f32_e32 v41, v55, v49
	s_waitcnt lgkmcnt(2)
	v_fmac_f32_e32 v43, v56, v50
	ds_load_2addr_b32 v[54:55], v76 offset0:192 offset1:208
	v_fmac_f32_e32 v40, v56, v24
	v_fmac_f32_e32 v17, v57, v24
	;; [unrolled: 1-line block ×4, first 2 shown]
	ds_load_2addr_b32 v[56:57], v76 offset0:224 offset1:240
	v_fmac_f32_e32 v40, v64, v25
	v_fmac_f32_e32 v17, v65, v25
	;; [unrolled: 1-line block ×3, first 2 shown]
	s_waitcnt lgkmcnt(3)
	v_fmac_f32_e32 v43, v58, v60
	ds_load_2addr_b32 v[64:65], v66 offset1:16
	ds_load_b128 v[22:25], v31 offset:96
	v_fmac_f32_e32 v40, v58, v44
	v_fmac_f32_e32 v17, v59, v44
	;; [unrolled: 1-line block ×3, first 2 shown]
	ds_load_b128 v[48:51], v31 offset:2144
	s_waitcnt lgkmcnt(5)
	v_fmac_f32_e32 v43, v52, v61
	ds_load_2addr_b32 v[58:59], v66 offset0:32 offset1:48
	v_fmac_f32_e32 v40, v52, v45
	v_fmac_f32_e32 v41, v53, v61
	v_fmac_f32_e32 v17, v53, v45
	s_waitcnt lgkmcnt(5)
	v_fmac_f32_e32 v43, v54, v62
	ds_load_2addr_b32 v[60:61], v66 offset0:64 offset1:80
	v_fmac_f32_e32 v40, v54, v46
	v_fmac_f32_e32 v41, v55, v62
	;; [unrolled: 1-line block ×3, first 2 shown]
	s_waitcnt lgkmcnt(5)
	v_fmac_f32_e32 v43, v56, v63
	v_fmac_f32_e32 v40, v56, v47
	;; [unrolled: 1-line block ×3, first 2 shown]
	ds_load_2addr_b32 v[62:63], v66 offset0:96 offset1:112
	v_fmac_f32_e32 v17, v57, v47
	ds_load_b128 v[44:47], v31 offset:112
	s_waitcnt lgkmcnt(5)
	v_fmac_f32_e32 v43, v64, v22
	v_fmac_f32_e32 v41, v65, v22
	ds_load_2addr_b32 v[56:57], v66 offset0:128 offset1:144
	ds_load_b128 v[52:55], v31 offset:2160
	s_waitcnt lgkmcnt(6)
	v_fmac_f32_e32 v40, v64, v48
	v_fmac_f32_e32 v17, v65, v48
	s_waitcnt lgkmcnt(5)
	v_fmac_f32_e32 v43, v58, v23
	ds_load_2addr_b32 v[64:65], v66 offset0:160 offset1:176
	v_dual_fmac_f32 v41, v59, v23 :: v_dual_fmac_f32 v40, v58, v49
	v_fmac_f32_e32 v17, v59, v49
	s_waitcnt lgkmcnt(5)
	v_fmac_f32_e32 v43, v60, v24
	ds_load_2addr_b32 v[22:23], v66 offset0:192 offset1:208
	v_dual_fmac_f32 v41, v61, v24 :: v_dual_fmac_f32 v40, v60, v50
	v_fmac_f32_e32 v17, v61, v50
	ds_load_2addr_b32 v[48:49], v66 offset0:224 offset1:240
	s_waitcnt lgkmcnt(0)
	v_fmac_f32_e32 v43, v62, v25
	v_dual_fmac_f32 v41, v63, v25 :: v_dual_fmac_f32 v40, v62, v51
	v_fmac_f32_e32 v17, v63, v51
	s_barrier
	s_delay_alu instid0(VALU_DEP_3) | instskip(NEXT) | instid1(VALU_DEP_3)
	v_fmac_f32_e32 v43, v56, v44
	v_fmac_f32_e32 v41, v57, v44
	;; [unrolled: 1-line block ×4, first 2 shown]
	buffer_gl0_inv
	v_fmac_f32_e32 v43, v64, v45
	v_fmac_f32_e32 v41, v65, v45
	;; [unrolled: 1-line block ×4, first 2 shown]
	s_delay_alu instid0(VALU_DEP_4) | instskip(NEXT) | instid1(VALU_DEP_4)
	v_fmac_f32_e32 v43, v22, v46
	v_fmac_f32_e32 v41, v23, v46
	s_delay_alu instid0(VALU_DEP_4) | instskip(NEXT) | instid1(VALU_DEP_4)
	v_fmac_f32_e32 v40, v22, v54
	v_fmac_f32_e32 v17, v23, v54
	;; [unrolled: 3-line block ×4, first 2 shown]
	s_cbranch_scc1 .LBB6_55
.LBB6_7:                                ;   Parent Loop BB6_4 Depth=1
                                        ; =>  This Inner Loop Header: Depth=2
	v_add_co_u32 v24, s5, v26, s24
	s_delay_alu instid0(VALU_DEP_1) | instskip(SKIP_1) | instid1(VALU_DEP_2)
	v_add_co_ci_u32_e64 v25, null, 0, s25, s5
	v_cmp_eq_u64_e64 s7, s[24:25], v[6:7]
	v_cmp_le_i64_e64 s6, s[12:13], v[24:25]
	v_cmp_gt_i64_e64 s5, v[24:25], v[0:1]
	s_delay_alu instid0(VALU_DEP_3) | instskip(NEXT) | instid1(VALU_DEP_1)
	s_and_b32 s28, s41, s7
	s_or_b32 s7, s6, s5
	s_delay_alu instid0(SALU_CYCLE_1) | instskip(SKIP_1) | instid1(VALU_DEP_1)
	s_or_b32 s8, s7, s28
	v_add_co_u32 v22, s7, v33, s20
	v_add_co_ci_u32_e64 v23, s7, s21, v34, s7
	s_or_b32 s7, s0, s8
	s_delay_alu instid0(SALU_CYCLE_1) | instskip(NEXT) | instid1(SALU_CYCLE_1)
	s_xor_b32 s7, s7, -1
	s_and_saveexec_b32 s8, s7
	s_delay_alu instid0(SALU_CYCLE_1)
	s_xor_b32 s7, exec_lo, s8
	s_cbranch_execz .LBB6_9
; %bb.8:                                ;   in Loop: Header=BB6_7 Depth=2
	global_load_b32 v44, v[22:23], off
	s_waitcnt vmcnt(0)
	ds_store_b32 v30, v44
.LBB6_9:                                ;   in Loop: Header=BB6_7 Depth=2
	s_or_saveexec_b32 s7, s7
	s_xor_b32 s15, s28, -1
	s_xor_b32 exec_lo, exec_lo, s7
	s_cbranch_execz .LBB6_15
; %bb.10:                               ;   in Loop: Header=BB6_7 Depth=2
	s_and_saveexec_b32 s8, s15
	s_delay_alu instid0(SALU_CYCLE_1)
	s_xor_b32 s8, exec_lo, s8
	s_cbranch_execz .LBB6_12
; %bb.11:                               ;   in Loop: Header=BB6_7 Depth=2
	ds_store_b32 v30, v29
.LBB6_12:                               ;   in Loop: Header=BB6_7 Depth=2
	s_and_not1_saveexec_b32 s8, s8
	s_cbranch_execz .LBB6_14
; %bb.13:                               ;   in Loop: Header=BB6_7 Depth=2
	ds_store_b32 v30, v37
.LBB6_14:                               ;   in Loop: Header=BB6_7 Depth=2
	s_or_b32 exec_lo, exec_lo, s8
.LBB6_15:                               ;   in Loop: Header=BB6_7 Depth=2
	s_delay_alu instid0(SALU_CYCLE_1) | instskip(SKIP_2) | instid1(VALU_DEP_2)
	s_or_b32 exec_lo, exec_lo, s7
	v_cmp_eq_u64_e64 s7, s[24:25], v[10:11]
	v_cmp_lt_i64_e64 s8, v[4:5], v[24:25]
	s_and_b32 s7, s41, s7
	s_delay_alu instid0(VALU_DEP_1) | instskip(NEXT) | instid1(SALU_CYCLE_1)
	s_or_b32 s6, s6, s8
	s_or_b32 s6, s6, s7
	s_delay_alu instid0(SALU_CYCLE_1) | instskip(NEXT) | instid1(SALU_CYCLE_1)
	s_or_b32 s6, s3, s6
	s_xor_b32 s6, s6, -1
	s_delay_alu instid0(SALU_CYCLE_1) | instskip(NEXT) | instid1(SALU_CYCLE_1)
	s_and_saveexec_b32 s8, s6
	s_xor_b32 s8, exec_lo, s8
	s_cbranch_execz .LBB6_17
; %bb.16:                               ;   in Loop: Header=BB6_7 Depth=2
	v_add_co_u32 v44, s6, v35, s20
	s_delay_alu instid0(VALU_DEP_1)
	v_add_co_ci_u32_e64 v45, s6, s21, v36, s6
	global_load_b32 v44, v[44:45], off
	s_waitcnt vmcnt(0)
	ds_store_b32 v30, v44 offset:64
.LBB6_17:                               ;   in Loop: Header=BB6_7 Depth=2
	s_and_not1_saveexec_b32 s6, s8
	s_cbranch_execz .LBB6_23
; %bb.18:                               ;   in Loop: Header=BB6_7 Depth=2
	s_xor_b32 s7, s7, -1
	s_delay_alu instid0(SALU_CYCLE_1) | instskip(NEXT) | instid1(SALU_CYCLE_1)
	s_and_saveexec_b32 s8, s7
	s_xor_b32 s7, exec_lo, s8
	s_cbranch_execz .LBB6_20
; %bb.19:                               ;   in Loop: Header=BB6_7 Depth=2
	ds_store_b32 v30, v29 offset:64
.LBB6_20:                               ;   in Loop: Header=BB6_7 Depth=2
	s_and_not1_saveexec_b32 s7, s7
	s_cbranch_execz .LBB6_22
; %bb.21:                               ;   in Loop: Header=BB6_7 Depth=2
	ds_store_b32 v30, v37 offset:64
.LBB6_22:                               ;   in Loop: Header=BB6_7 Depth=2
	s_or_b32 exec_lo, exec_lo, s7
.LBB6_23:                               ;   in Loop: Header=BB6_7 Depth=2
	s_delay_alu instid0(SALU_CYCLE_1) | instskip(SKIP_1) | instid1(VALU_DEP_1)
	s_or_b32 exec_lo, exec_lo, s6
	v_add_co_u32 v24, s6, v24, 16
	v_add_co_ci_u32_e64 v25, s6, 0, v25, s6
	v_cmp_eq_u64_e64 s7, s[24:25], v[12:13]
	s_delay_alu instid0(VALU_DEP_2) | instskip(SKIP_1) | instid1(VALU_DEP_3)
	v_cmp_le_i64_e64 s6, s[12:13], v[24:25]
	v_cmp_gt_i64_e64 s8, v[24:25], v[0:1]
	s_and_b32 s29, s41, s7
	s_delay_alu instid0(VALU_DEP_1) | instskip(NEXT) | instid1(SALU_CYCLE_1)
	s_or_b32 s7, s6, s8
	s_or_b32 s7, s7, s29
	s_delay_alu instid0(SALU_CYCLE_1) | instskip(NEXT) | instid1(SALU_CYCLE_1)
	s_or_b32 s7, s0, s7
	s_xor_b32 s7, s7, -1
	s_delay_alu instid0(SALU_CYCLE_1) | instskip(NEXT) | instid1(SALU_CYCLE_1)
	s_and_saveexec_b32 s8, s7
	s_xor_b32 s7, exec_lo, s8
	s_cbranch_execz .LBB6_25
; %bb.24:                               ;   in Loop: Header=BB6_7 Depth=2
	global_load_b32 v22, v[22:23], off offset:64
	s_waitcnt vmcnt(0)
	ds_store_b32 v30, v22 offset:2048
.LBB6_25:                               ;   in Loop: Header=BB6_7 Depth=2
	s_and_not1_saveexec_b32 s7, s7
	s_cbranch_execz .LBB6_31
; %bb.26:                               ;   in Loop: Header=BB6_7 Depth=2
	s_xor_b32 s8, s29, -1
	s_delay_alu instid0(SALU_CYCLE_1) | instskip(NEXT) | instid1(SALU_CYCLE_1)
	s_and_saveexec_b32 s29, s8
	s_xor_b32 s8, exec_lo, s29
	s_cbranch_execz .LBB6_28
; %bb.27:                               ;   in Loop: Header=BB6_7 Depth=2
	ds_store_b32 v30, v29 offset:2048
.LBB6_28:                               ;   in Loop: Header=BB6_7 Depth=2
	s_and_not1_saveexec_b32 s8, s8
	s_cbranch_execz .LBB6_30
; %bb.29:                               ;   in Loop: Header=BB6_7 Depth=2
	ds_store_b32 v30, v37 offset:2048
.LBB6_30:                               ;   in Loop: Header=BB6_7 Depth=2
	s_or_b32 exec_lo, exec_lo, s8
.LBB6_31:                               ;   in Loop: Header=BB6_7 Depth=2
	s_delay_alu instid0(SALU_CYCLE_1) | instskip(SKIP_1) | instid1(SALU_CYCLE_1)
	s_or_b32 exec_lo, exec_lo, s7
	s_or_b32 s5, s6, s5
	s_or_b32 s5, s5, s28
	s_delay_alu instid0(SALU_CYCLE_1) | instskip(NEXT) | instid1(SALU_CYCLE_1)
	s_or_b32 s5, s3, s5
	s_xor_b32 s5, s5, -1
	s_delay_alu instid0(SALU_CYCLE_1) | instskip(NEXT) | instid1(SALU_CYCLE_1)
	s_and_saveexec_b32 s6, s5
	s_xor_b32 s6, exec_lo, s6
	s_cbranch_execz .LBB6_33
; %bb.32:                               ;   in Loop: Header=BB6_7 Depth=2
	v_add_co_u32 v22, s5, v35, s20
	s_delay_alu instid0(VALU_DEP_1)
	v_add_co_ci_u32_e64 v23, s5, s21, v36, s5
	global_load_b32 v22, v[22:23], off offset:64
	s_waitcnt vmcnt(0)
	ds_store_b32 v30, v22 offset:2112
.LBB6_33:                               ;   in Loop: Header=BB6_7 Depth=2
	s_and_not1_saveexec_b32 s5, s6
	s_cbranch_execz .LBB6_39
; %bb.34:                               ;   in Loop: Header=BB6_7 Depth=2
	s_and_saveexec_b32 s6, s15
	s_delay_alu instid0(SALU_CYCLE_1)
	s_xor_b32 s6, exec_lo, s6
	s_cbranch_execz .LBB6_36
; %bb.35:                               ;   in Loop: Header=BB6_7 Depth=2
	ds_store_b32 v30, v29 offset:2112
.LBB6_36:                               ;   in Loop: Header=BB6_7 Depth=2
	s_and_not1_saveexec_b32 s6, s6
	s_cbranch_execz .LBB6_38
; %bb.37:                               ;   in Loop: Header=BB6_7 Depth=2
	ds_store_b32 v30, v37 offset:2112
.LBB6_38:                               ;   in Loop: Header=BB6_7 Depth=2
	s_or_b32 exec_lo, exec_lo, s6
.LBB6_39:                               ;   in Loop: Header=BB6_7 Depth=2
	s_delay_alu instid0(SALU_CYCLE_1) | instskip(SKIP_1) | instid1(VALU_DEP_1)
	s_or_b32 exec_lo, exec_lo, s5
	v_add_co_u32 v24, s5, v27, s24
	v_add_co_ci_u32_e64 v25, null, 0, s25, s5
	s_delay_alu instid0(VALU_DEP_1) | instskip(NEXT) | instid1(VALU_DEP_1)
	v_cmp_gt_i64_e64 s5, s[12:13], v[24:25]
	s_and_b32 s6, vcc_lo, s5
	s_delay_alu instid0(SALU_CYCLE_1) | instskip(NEXT) | instid1(SALU_CYCLE_1)
	s_xor_b32 s6, s6, -1
	s_and_saveexec_b32 s7, s6
	s_delay_alu instid0(SALU_CYCLE_1)
	s_xor_b32 s6, exec_lo, s7
	s_cbranch_execz .LBB6_41
; %bb.40:                               ;   in Loop: Header=BB6_7 Depth=2
	ds_store_b32 v32, v29
.LBB6_41:                               ;   in Loop: Header=BB6_7 Depth=2
	s_or_saveexec_b32 s7, s6
	v_add_co_u32 v22, s6, v18, s20
	s_delay_alu instid0(VALU_DEP_1)
	v_add_co_ci_u32_e64 v23, s6, s21, v19, s6
	s_xor_b32 exec_lo, exec_lo, s7
	s_cbranch_execz .LBB6_43
; %bb.42:                               ;   in Loop: Header=BB6_7 Depth=2
	global_load_b32 v44, v[22:23], off offset:-64
	s_waitcnt vmcnt(0)
	ds_store_b32 v32, v44
.LBB6_43:                               ;   in Loop: Header=BB6_7 Depth=2
	s_or_b32 exec_lo, exec_lo, s7
	v_cmp_gt_i64_e64 s6, s[18:19], v[24:25]
	s_delay_alu instid0(VALU_DEP_1) | instskip(NEXT) | instid1(SALU_CYCLE_1)
	s_and_b32 s7, vcc_lo, s6
	s_xor_b32 s7, s7, -1
	s_delay_alu instid0(SALU_CYCLE_1) | instskip(NEXT) | instid1(SALU_CYCLE_1)
	s_and_saveexec_b32 s8, s7
	s_xor_b32 s7, exec_lo, s8
	s_cbranch_execz .LBB6_45
; %bb.44:                               ;   in Loop: Header=BB6_7 Depth=2
	ds_store_b32 v32, v29 offset:64
                                        ; implicit-def: $vgpr22_vgpr23
.LBB6_45:                               ;   in Loop: Header=BB6_7 Depth=2
	s_and_not1_saveexec_b32 s7, s7
	s_cbranch_execz .LBB6_47
; %bb.46:                               ;   in Loop: Header=BB6_7 Depth=2
	global_load_b32 v22, v[22:23], off
	s_waitcnt vmcnt(0)
	ds_store_b32 v32, v22 offset:64
.LBB6_47:                               ;   in Loop: Header=BB6_7 Depth=2
	s_or_b32 exec_lo, exec_lo, s7
	s_and_b32 s5, s4, s5
	s_delay_alu instid0(SALU_CYCLE_1) | instskip(NEXT) | instid1(SALU_CYCLE_1)
	s_xor_b32 s5, s5, -1
	s_and_saveexec_b32 s7, s5
	s_delay_alu instid0(SALU_CYCLE_1)
	s_xor_b32 s5, exec_lo, s7
	s_cbranch_execz .LBB6_49
; %bb.48:                               ;   in Loop: Header=BB6_7 Depth=2
	ds_store_b32 v32, v29 offset:2048
.LBB6_49:                               ;   in Loop: Header=BB6_7 Depth=2
	s_and_not1_saveexec_b32 s7, s5
	s_cbranch_execz .LBB6_51
; %bb.50:                               ;   in Loop: Header=BB6_7 Depth=2
	v_add_co_u32 v22, s5, v20, s20
	s_delay_alu instid0(VALU_DEP_1)
	v_add_co_ci_u32_e64 v23, s5, s21, v21, s5
	global_load_b32 v22, v[22:23], off offset:-64
	s_waitcnt vmcnt(0)
	ds_store_b32 v32, v22 offset:2048
.LBB6_51:                               ;   in Loop: Header=BB6_7 Depth=2
	s_or_b32 exec_lo, exec_lo, s7
	s_and_b32 s5, s4, s6
	s_delay_alu instid0(SALU_CYCLE_1) | instskip(NEXT) | instid1(SALU_CYCLE_1)
	s_xor_b32 s5, s5, -1
	s_and_saveexec_b32 s6, s5
	s_delay_alu instid0(SALU_CYCLE_1)
	s_xor_b32 s5, exec_lo, s6
	s_cbranch_execz .LBB6_53
; %bb.52:                               ;   in Loop: Header=BB6_7 Depth=2
	ds_store_b32 v32, v29 offset:2112
.LBB6_53:                               ;   in Loop: Header=BB6_7 Depth=2
	s_and_not1_saveexec_b32 s6, s5
	s_cbranch_execz .LBB6_6
; %bb.54:                               ;   in Loop: Header=BB6_7 Depth=2
	v_add_co_u32 v22, s5, v20, s20
	s_delay_alu instid0(VALU_DEP_1)
	v_add_co_ci_u32_e64 v23, s5, s21, v21, s5
	global_load_b32 v22, v[22:23], off
	s_waitcnt vmcnt(0)
	ds_store_b32 v32, v22 offset:2112
	s_branch .LBB6_6
.LBB6_55:                               ;   in Loop: Header=BB6_4 Depth=1
	s_delay_alu instid0(VALU_DEP_1) | instskip(SKIP_3) | instid1(VALU_DEP_2)
	v_mul_lo_u32 v20, v42, s16
	v_mul_lo_u32 v21, v39, s17
	v_mad_u64_u32 v[18:19], null, v39, s16, 0
	v_cmp_gt_i32_e32 vcc_lo, s10, v39
	v_add3_u32 v19, v19, v21, v20
	s_delay_alu instid0(VALU_DEP_1) | instskip(NEXT) | instid1(VALU_DEP_1)
	v_lshlrev_b64 v[18:19], 2, v[18:19]
	v_add_co_u32 v18, s4, s27, v18
	s_delay_alu instid0(VALU_DEP_1) | instskip(SKIP_1) | instid1(SALU_CYCLE_1)
	v_add_co_ci_u32_e64 v19, s4, s34, v19, s4
	s_and_b32 s4, s1, vcc_lo
	s_and_saveexec_b32 s5, s4
	s_cbranch_execz .LBB6_57
; %bb.56:                               ;   in Loop: Header=BB6_4 Depth=1
	v_add_co_u32 v20, s4, v18, v8
	s_delay_alu instid0(VALU_DEP_1)
	v_add_co_ci_u32_e64 v21, s4, v19, v9, s4
	global_load_b32 v22, v[20:21], off
	s_waitcnt vmcnt(0)
	v_fmac_f32_e32 v22, s33, v43
	global_store_b32 v[20:21], v22, off
.LBB6_57:                               ;   in Loop: Header=BB6_4 Depth=1
	s_or_b32 exec_lo, exec_lo, s5
	s_and_b32 s5, s2, vcc_lo
	s_delay_alu instid0(SALU_CYCLE_1)
	s_and_saveexec_b32 s4, s5
	s_cbranch_execz .LBB6_59
; %bb.58:                               ;   in Loop: Header=BB6_4 Depth=1
	v_lshlrev_b64 v[20:21], 2, v[2:3]
	s_delay_alu instid0(VALU_DEP_1) | instskip(NEXT) | instid1(VALU_DEP_2)
	v_add_co_u32 v18, vcc_lo, v18, v20
	v_add_co_ci_u32_e32 v19, vcc_lo, v19, v21, vcc_lo
	global_load_b32 v20, v[18:19], off
	s_waitcnt vmcnt(0)
	v_fmac_f32_e32 v20, s33, v41
	global_store_b32 v[18:19], v20, off
.LBB6_59:                               ;   in Loop: Header=BB6_4 Depth=1
	s_or_b32 exec_lo, exec_lo, s4
	v_add_nc_u32_e32 v20, 16, v39
	s_delay_alu instid0(VALU_DEP_1) | instskip(SKIP_3) | instid1(VALU_DEP_4)
	v_ashrrev_i32_e32 v21, 31, v20
	v_mul_lo_u32 v22, v20, s17
	v_mad_u64_u32 v[18:19], null, v20, s16, 0
	v_cmp_gt_i32_e32 vcc_lo, s10, v20
	v_mul_lo_u32 v21, v21, s16
	s_delay_alu instid0(VALU_DEP_1) | instskip(NEXT) | instid1(VALU_DEP_1)
	v_add3_u32 v19, v19, v22, v21
	v_lshlrev_b64 v[18:19], 2, v[18:19]
	s_delay_alu instid0(VALU_DEP_1) | instskip(NEXT) | instid1(VALU_DEP_1)
	v_add_co_u32 v18, s4, s27, v18
	v_add_co_ci_u32_e64 v19, s4, s34, v19, s4
	s_and_b32 s4, s1, vcc_lo
	s_delay_alu instid0(SALU_CYCLE_1)
	s_and_saveexec_b32 s5, s4
	s_cbranch_execz .LBB6_61
; %bb.60:                               ;   in Loop: Header=BB6_4 Depth=1
	v_add_co_u32 v20, s4, v18, v8
	s_delay_alu instid0(VALU_DEP_1)
	v_add_co_ci_u32_e64 v21, s4, v19, v9, s4
	global_load_b32 v22, v[20:21], off
	s_waitcnt vmcnt(0)
	v_fmac_f32_e32 v22, s33, v40
	global_store_b32 v[20:21], v22, off
.LBB6_61:                               ;   in Loop: Header=BB6_4 Depth=1
	s_or_b32 exec_lo, exec_lo, s5
	s_and_b32 s5, s2, vcc_lo
	s_delay_alu instid0(SALU_CYCLE_1)
	s_and_saveexec_b32 s4, s5
	s_cbranch_execz .LBB6_3
; %bb.62:                               ;   in Loop: Header=BB6_4 Depth=1
	v_lshlrev_b64 v[20:21], 2, v[2:3]
	s_delay_alu instid0(VALU_DEP_1) | instskip(NEXT) | instid1(VALU_DEP_2)
	v_add_co_u32 v18, vcc_lo, v18, v20
	v_add_co_ci_u32_e32 v19, vcc_lo, v19, v21, vcc_lo
	global_load_b32 v20, v[18:19], off
	s_waitcnt vmcnt(0)
	v_fmac_f32_e32 v20, s33, v17
	global_store_b32 v[18:19], v20, off
	s_branch .LBB6_3
.LBB6_63:
	s_nop 0
	s_sendmsg sendmsg(MSG_DEALLOC_VGPRS)
	s_endpgm
	.section	.rodata,"a",@progbits
	.p2align	6, 0x0
	.amdhsa_kernel _ZL30rocblas_trmm_outofplace_kernelIfLi32ELi2ELb1ELb1ELb1ELb0EPKfS0_fEv17rocblas_diagonal_iiT6_lPT7_lllS5_lllPT8_llli
		.amdhsa_group_segment_fixed_size 8192
		.amdhsa_private_segment_fixed_size 0
		.amdhsa_kernarg_size 392
		.amdhsa_user_sgpr_count 13
		.amdhsa_user_sgpr_dispatch_ptr 0
		.amdhsa_user_sgpr_queue_ptr 0
		.amdhsa_user_sgpr_kernarg_segment_ptr 1
		.amdhsa_user_sgpr_dispatch_id 0
		.amdhsa_user_sgpr_private_segment_size 0
		.amdhsa_wavefront_size32 1
		.amdhsa_uses_dynamic_stack 0
		.amdhsa_enable_private_segment 0
		.amdhsa_system_sgpr_workgroup_id_x 1
		.amdhsa_system_sgpr_workgroup_id_y 1
		.amdhsa_system_sgpr_workgroup_id_z 1
		.amdhsa_system_sgpr_workgroup_info 0
		.amdhsa_system_vgpr_workitem_id 1
		.amdhsa_next_free_vgpr 84
		.amdhsa_next_free_sgpr 44
		.amdhsa_reserve_vcc 1
		.amdhsa_float_round_mode_32 0
		.amdhsa_float_round_mode_16_64 0
		.amdhsa_float_denorm_mode_32 3
		.amdhsa_float_denorm_mode_16_64 3
		.amdhsa_dx10_clamp 1
		.amdhsa_ieee_mode 1
		.amdhsa_fp16_overflow 0
		.amdhsa_workgroup_processor_mode 1
		.amdhsa_memory_ordered 1
		.amdhsa_forward_progress 0
		.amdhsa_shared_vgpr_count 0
		.amdhsa_exception_fp_ieee_invalid_op 0
		.amdhsa_exception_fp_denorm_src 0
		.amdhsa_exception_fp_ieee_div_zero 0
		.amdhsa_exception_fp_ieee_overflow 0
		.amdhsa_exception_fp_ieee_underflow 0
		.amdhsa_exception_fp_ieee_inexact 0
		.amdhsa_exception_int_div_zero 0
	.end_amdhsa_kernel
	.section	.text._ZL30rocblas_trmm_outofplace_kernelIfLi32ELi2ELb1ELb1ELb1ELb0EPKfS0_fEv17rocblas_diagonal_iiT6_lPT7_lllS5_lllPT8_llli,"axG",@progbits,_ZL30rocblas_trmm_outofplace_kernelIfLi32ELi2ELb1ELb1ELb1ELb0EPKfS0_fEv17rocblas_diagonal_iiT6_lPT7_lllS5_lllPT8_llli,comdat
.Lfunc_end6:
	.size	_ZL30rocblas_trmm_outofplace_kernelIfLi32ELi2ELb1ELb1ELb1ELb0EPKfS0_fEv17rocblas_diagonal_iiT6_lPT7_lllS5_lllPT8_llli, .Lfunc_end6-_ZL30rocblas_trmm_outofplace_kernelIfLi32ELi2ELb1ELb1ELb1ELb0EPKfS0_fEv17rocblas_diagonal_iiT6_lPT7_lllS5_lllPT8_llli
                                        ; -- End function
	.section	.AMDGPU.csdata,"",@progbits
; Kernel info:
; codeLenInByte = 3556
; NumSgprs: 46
; NumVgprs: 84
; ScratchSize: 0
; MemoryBound: 0
; FloatMode: 240
; IeeeMode: 1
; LDSByteSize: 8192 bytes/workgroup (compile time only)
; SGPRBlocks: 5
; VGPRBlocks: 10
; NumSGPRsForWavesPerEU: 46
; NumVGPRsForWavesPerEU: 84
; Occupancy: 16
; WaveLimiterHint : 0
; COMPUTE_PGM_RSRC2:SCRATCH_EN: 0
; COMPUTE_PGM_RSRC2:USER_SGPR: 13
; COMPUTE_PGM_RSRC2:TRAP_HANDLER: 0
; COMPUTE_PGM_RSRC2:TGID_X_EN: 1
; COMPUTE_PGM_RSRC2:TGID_Y_EN: 1
; COMPUTE_PGM_RSRC2:TGID_Z_EN: 1
; COMPUTE_PGM_RSRC2:TIDIG_COMP_CNT: 1
	.section	.text._ZL30rocblas_trmm_outofplace_kernelIfLi32ELi2ELb1ELb1ELb1ELb0EfKffEv17rocblas_diagonal_iiT6_lPT7_lllS4_lllPT8_llli,"axG",@progbits,_ZL30rocblas_trmm_outofplace_kernelIfLi32ELi2ELb1ELb1ELb1ELb0EfKffEv17rocblas_diagonal_iiT6_lPT7_lllS4_lllPT8_llli,comdat
	.globl	_ZL30rocblas_trmm_outofplace_kernelIfLi32ELi2ELb1ELb1ELb1ELb0EfKffEv17rocblas_diagonal_iiT6_lPT7_lllS4_lllPT8_llli ; -- Begin function _ZL30rocblas_trmm_outofplace_kernelIfLi32ELi2ELb1ELb1ELb1ELb0EfKffEv17rocblas_diagonal_iiT6_lPT7_lllS4_lllPT8_llli
	.p2align	8
	.type	_ZL30rocblas_trmm_outofplace_kernelIfLi32ELi2ELb1ELb1ELb1ELb0EfKffEv17rocblas_diagonal_iiT6_lPT7_lllS4_lllPT8_llli,@function
_ZL30rocblas_trmm_outofplace_kernelIfLi32ELi2ELb1ELb1ELb1ELb0EfKffEv17rocblas_diagonal_iiT6_lPT7_lllS4_lllPT8_llli: ; @_ZL30rocblas_trmm_outofplace_kernelIfLi32ELi2ELb1ELb1ELb1ELb0EfKffEv17rocblas_diagonal_iiT6_lPT7_lllS4_lllPT8_llli
; %bb.0:
	s_load_b128 s[8:11], s[0:1], 0x0
	s_waitcnt lgkmcnt(0)
	v_cmp_eq_f32_e64 s2, s11, 0
	s_delay_alu instid0(VALU_DEP_1)
	s_and_b32 vcc_lo, exec_lo, s2
	s_cbranch_vccnz .LBB7_63
; %bb.1:
	s_add_i32 s2, s10, -1
	s_delay_alu instid0(SALU_CYCLE_1) | instskip(NEXT) | instid1(SALU_CYCLE_1)
	s_ashr_i32 s3, s2, 31
	s_lshr_b32 s3, s3, 27
	s_delay_alu instid0(SALU_CYCLE_1) | instskip(NEXT) | instid1(SALU_CYCLE_1)
	s_add_i32 s2, s2, s3
	s_ashr_i32 s33, s2, 5
	s_delay_alu instid0(SALU_CYCLE_1)
	s_cmp_gt_i32 s14, s33
	s_cbranch_scc1 .LBB7_63
; %bb.2:
	s_clause 0x2
	s_load_b512 s[16:31], s[0:1], 0x18
	s_load_b256 s[36:43], s[0:1], 0x58
	s_load_b32 s34, s[0:1], 0x84
	v_bfe_u32 v26, v0, 10, 10
	v_dual_mov_b32 v27, 0 :: v_dual_and_b32 v28, 0x3ff, v0
	v_mov_b32_e32 v37, 1.0
	s_mov_b32 s12, s9
	s_delay_alu instid0(VALU_DEP_3) | instskip(SKIP_2) | instid1(VALU_DEP_3)
	v_lshlrev_b32_e32 v0, 7, v26
	v_lshlrev_b32_e32 v18, 2, v26
	;; [unrolled: 1-line block ×3, first 2 shown]
	v_add_nc_u32_e32 v30, 0x1000, v0
	s_delay_alu instid0(VALU_DEP_2) | instskip(SKIP_1) | instid1(VALU_DEP_3)
	v_add_nc_u32_e32 v31, v29, v0
	v_add_nc_u32_e32 v38, 0x400, v29
	;; [unrolled: 1-line block ×3, first 2 shown]
	s_waitcnt lgkmcnt(0)
	s_mul_i32 s1, s15, s23
	s_mul_hi_u32 s2, s15, s22
	s_mul_i32 s0, s15, s22
	s_add_i32 s1, s2, s1
	s_mul_i32 s2, s15, s43
	s_lshl_b64 s[4:5], s[0:1], 2
	s_mul_hi_u32 s1, s15, s42
	s_add_u32 s3, s16, s4
	s_addc_u32 s22, s17, s5
	s_lshl_b64 s[6:7], s[18:19], 2
	s_mul_i32 s0, s15, s42
	s_add_u32 s3, s3, s6
	s_addc_u32 s42, s22, s7
	s_add_i32 s1, s1, s2
	s_mul_hi_u32 s23, s30, s15
	s_lshl_b64 s[0:1], s[0:1], 2
	s_mul_i32 s22, s30, s15
	s_add_u32 s2, s36, s0
	s_addc_u32 s18, s37, s1
	s_lshl_b64 s[0:1], s[38:39], 2
	s_delay_alu instid0(SALU_CYCLE_1)
	s_add_u32 s35, s2, s0
	s_addc_u32 s36, s18, s1
	s_lshl_b32 s37, s13, 5
	s_cmp_gt_i32 s13, -1
	v_add_nc_u32_e32 v0, s37, v28
	s_mul_i32 s2, s31, s15
	s_cselect_b32 s31, -1, 0
	s_cmpk_eq_i32 s8, 0x84
	s_delay_alu instid0(VALU_DEP_1) | instskip(SKIP_3) | instid1(VALU_DEP_3)
	v_ashrrev_i32_e32 v1, 31, v0
	v_mul_lo_u32 v2, v0, s21
	v_mad_u64_u32 v[3:4], null, v0, s20, 0
	s_cselect_b32 s15, -1, 0
	v_mul_lo_u32 v5, v1, s20
	s_ashr_i32 s13, s9, 31
	s_ashr_i32 s30, s10, 31
	v_lshlrev_b64 v[8:9], 2, v[0:1]
	s_add_u32 s18, s9, -16
	s_addc_u32 s19, s13, -1
	s_add_i32 s23, s23, s2
	v_cmp_le_i32_e64 s0, s9, v0
	v_add3_u32 v4, v4, v2, v5
	v_add_nc_u32_e32 v2, 16, v0
	v_cmp_gt_i32_e64 s1, s9, v0
	s_delay_alu instid0(VALU_DEP_3) | instskip(SKIP_3) | instid1(VALU_DEP_4)
	v_lshlrev_b64 v[6:7], 2, v[3:4]
	v_add_co_u32 v4, vcc_lo, v0, 16
	v_add_co_ci_u32_e32 v5, vcc_lo, 0, v1, vcc_lo
	v_cmp_gt_i32_e64 s2, s9, v2
	v_add_co_u32 v6, vcc_lo, s3, v6
	v_add_co_ci_u32_e32 v7, vcc_lo, s42, v7, vcc_lo
	s_lshl_b64 s[8:9], s[22:23], 2
	s_delay_alu instid0(VALU_DEP_2) | instskip(NEXT) | instid1(VALU_DEP_2)
	v_add_co_u32 v33, vcc_lo, v6, v18
	v_add_co_ci_u32_e32 v34, vcc_lo, 0, v7, vcc_lo
	v_sub_co_u32 v6, vcc_lo, v0, v26
	v_subrev_co_ci_u32_e32 v7, vcc_lo, 0, v1, vcc_lo
	s_lshl_b64 s[22:23], s[26:27], 2
	s_delay_alu instid0(VALU_DEP_2) | instskip(NEXT) | instid1(VALU_DEP_2)
	v_add_co_u32 v10, vcc_lo, v6, 16
	v_add_co_ci_u32_e32 v11, vcc_lo, 0, v7, vcc_lo
	s_add_u32 s8, s8, s22
	v_add_co_u32 v12, vcc_lo, v8, 64
	s_addc_u32 s9, s9, s23
	v_add_co_ci_u32_e32 v13, vcc_lo, 0, v9, vcc_lo
	s_add_u32 s8, s24, s8
	s_addc_u32 s24, s25, s9
	s_lshl_b64 s[22:23], s[28:29], 2
	s_lshl_b32 s9, s34, 5
	s_add_u32 s4, s6, s4
	s_addc_u32 s5, s7, s5
	v_mul_lo_u32 v14, s20, v13
	v_mul_lo_u32 v15, s21, v12
	v_mad_u64_u32 v[16:17], null, s20, v12, s[4:5]
	v_add_co_u32 v19, s4, s8, v29
	v_add_co_u32 v12, vcc_lo, v6, -16
	v_add_co_ci_u32_e64 v20, null, s24, 0, s4
	v_add_co_ci_u32_e32 v13, vcc_lo, -1, v7, vcc_lo
	v_add3_u32 v17, v15, v17, v14
	v_add_co_u32 v14, vcc_lo, v19, 64
	s_delay_alu instid0(VALU_DEP_4) | instskip(SKIP_1) | instid1(VALU_DEP_4)
	v_add_co_ci_u32_e32 v15, vcc_lo, 0, v20, vcc_lo
	v_add_co_u32 v18, vcc_lo, v16, v18
	v_add_co_ci_u32_e32 v17, vcc_lo, 0, v17, vcc_lo
	v_cmp_le_i64_e64 s3, s[12:13], v[4:5]
	s_delay_alu instid0(VALU_DEP_3)
	v_add_co_u32 v35, vcc_lo, s16, v18
	v_ashrrev_i32_e32 v3, 31, v2
	v_lshl_add_u32 v16, s14, 5, v26
	v_add_co_ci_u32_e32 v36, vcc_lo, s17, v17, vcc_lo
	s_mov_b32 s24, s10
	s_branch .LBB7_4
.LBB7_3:                                ;   in Loop: Header=BB7_4 Depth=1
	s_or_b32 exec_lo, exec_lo, s4
	v_add_nc_u32_e32 v16, s9, v16
	s_add_i32 s14, s34, s14
	s_delay_alu instid0(SALU_CYCLE_1)
	s_cmp_le_i32 s14, s33
	s_cbranch_scc0 .LBB7_63
.LBB7_4:                                ; =>This Loop Header: Depth=1
                                        ;     Child Loop BB7_7 Depth 2
	v_lshl_add_u32 v39, s14, 5, v26
	v_dual_mov_b32 v43, 0 :: v_dual_mov_b32 v40, 0
	v_mov_b32_e32 v41, 0
	v_mov_b32_e32 v17, 0
	s_delay_alu instid0(VALU_DEP_4)
	v_ashrrev_i32_e32 v42, 31, v39
	s_and_not1_b32 vcc_lo, exec_lo, s31
	s_cbranch_vccnz .LBB7_55
; %bb.5:                                ;   in Loop: Header=BB7_4 Depth=1
	v_ashrrev_i32_e32 v17, 31, v16
	v_mad_u64_u32 v[18:19], null, s22, v16, v[14:15]
	v_mul_lo_u32 v24, s23, v16
	v_mov_b32_e32 v41, 0
	s_delay_alu instid0(VALU_DEP_4) | instskip(SKIP_4) | instid1(VALU_DEP_3)
	v_lshlrev_b64 v[20:21], 2, v[16:17]
	v_mul_lo_u32 v43, s22, v17
	v_dual_mov_b32 v17, 0 :: v_dual_mov_b32 v40, 0
	s_mov_b64 s[16:17], 0
	s_mov_b64 s[20:21], 0
	v_add_co_u32 v25, vcc_lo, v20, 64
	v_add_co_ci_u32_e32 v20, vcc_lo, 0, v21, vcc_lo
	v_sub_co_u32 v22, vcc_lo, s24, v39
	s_delay_alu instid0(VALU_DEP_3) | instskip(NEXT) | instid1(VALU_DEP_3)
	v_mul_lo_u32 v45, s29, v25
	v_mul_lo_u32 v44, s28, v20
	v_mad_u64_u32 v[20:21], null, s28, v25, v[14:15]
	v_sub_co_ci_u32_e32 v23, vcc_lo, s30, v42, vcc_lo
	v_add3_u32 v19, v24, v19, v43
	v_mov_b32_e32 v43, 0
	s_delay_alu instid0(VALU_DEP_3)
	v_cmp_lt_i64_e32 vcc_lo, 0, v[22:23]
	v_cmp_lt_i64_e64 s4, 16, v[22:23]
	v_add3_u32 v21, v45, v21, v44
	s_branch .LBB7_7
.LBB7_6:                                ;   in Loop: Header=BB7_7 Depth=2
	s_or_b32 exec_lo, exec_lo, s6
	s_waitcnt lgkmcnt(0)
	s_waitcnt_vscnt null, 0x0
	s_barrier
	buffer_gl0_inv
	ds_load_2addr_b32 v[64:65], v29 offset1:16
	ds_load_b128 v[22:25], v30
	ds_load_b128 v[44:47], v30 offset:2048
	ds_load_2addr_b32 v[66:67], v29 offset0:32 offset1:48
	ds_load_b128 v[48:51], v30 offset:16
	ds_load_2addr_b32 v[68:69], v29 offset0:64 offset1:80
	ds_load_b128 v[52:55], v30 offset:32
	ds_load_b128 v[56:59], v30 offset:48
	ds_load_2addr_b32 v[70:71], v29 offset0:96 offset1:112
	ds_load_2addr_b32 v[72:73], v29 offset0:128 offset1:144
	ds_load_b128 v[60:63], v30 offset:2064
	ds_load_2addr_b32 v[74:75], v29 offset0:160 offset1:176
	ds_load_2addr_b32 v[76:77], v29 offset0:192 offset1:208
	;; [unrolled: 1-line block ×3, first 2 shown]
	ds_load_2addr_b32 v[80:81], v38 offset1:16
	ds_load_2addr_b32 v[82:83], v38 offset0:32 offset1:48
	s_add_u32 s20, s20, 32
	s_addc_u32 s21, s21, 0
	s_sub_i32 s5, s20, 32
	s_add_u32 s16, s16, 0x80
	s_addc_u32 s17, s17, 0
	s_waitcnt lgkmcnt(13)
	v_dual_fmac_f32 v41, v65, v22 :: v_dual_fmac_f32 v40, v64, v44
	v_fmac_f32_e32 v43, v64, v22
	s_cmp_ge_i32 s5, s37
	s_waitcnt lgkmcnt(12)
	s_delay_alu instid0(VALU_DEP_2) | instskip(SKIP_4) | instid1(VALU_DEP_1)
	v_dual_fmac_f32 v40, v66, v45 :: v_dual_fmac_f32 v17, v65, v44
	ds_load_2addr_b32 v[64:65], v38 offset0:64 offset1:80
	s_waitcnt lgkmcnt(11)
	v_dual_fmac_f32 v40, v68, v46 :: v_dual_fmac_f32 v17, v67, v45
	s_waitcnt lgkmcnt(8)
	v_fmac_f32_e32 v40, v70, v47
	v_fmac_f32_e32 v43, v66, v23
	s_waitcnt lgkmcnt(6)
	s_delay_alu instid0(VALU_DEP_2)
	v_dual_fmac_f32 v17, v69, v46 :: v_dual_fmac_f32 v40, v72, v60
	v_fmac_f32_e32 v41, v67, v23
	ds_load_2addr_b32 v[66:67], v38 offset0:96 offset1:112
	s_waitcnt lgkmcnt(6)
	v_dual_fmac_f32 v40, v74, v61 :: v_dual_fmac_f32 v41, v69, v24
	s_waitcnt lgkmcnt(5)
	s_delay_alu instid0(VALU_DEP_1)
	v_fmac_f32_e32 v40, v76, v62
	v_fmac_f32_e32 v43, v68, v24
	ds_load_2addr_b32 v[68:69], v38 offset0:128 offset1:144
	s_waitcnt lgkmcnt(5)
	v_dual_fmac_f32 v41, v71, v25 :: v_dual_fmac_f32 v40, v78, v63
	v_fmac_f32_e32 v43, v70, v25
	s_delay_alu instid0(VALU_DEP_1) | instskip(NEXT) | instid1(VALU_DEP_1)
	v_fmac_f32_e32 v43, v72, v48
	v_fmac_f32_e32 v43, v74, v49
	s_delay_alu instid0(VALU_DEP_1)
	v_dual_fmac_f32 v43, v76, v50 :: v_dual_add_nc_u32 v76, 0x800, v29
	v_fmac_f32_e32 v17, v71, v47
	ds_load_b128 v[22:25], v30 offset:2080
	ds_load_b128 v[44:47], v30 offset:2096
	ds_load_2addr_b32 v[70:71], v38 offset0:160 offset1:176
	v_fmac_f32_e32 v43, v78, v51
	s_waitcnt lgkmcnt(7)
	s_delay_alu instid0(VALU_DEP_1) | instskip(SKIP_1) | instid1(VALU_DEP_1)
	v_fmac_f32_e32 v43, v80, v52
	s_waitcnt lgkmcnt(6)
	v_fmac_f32_e32 v43, v82, v53
	s_waitcnt lgkmcnt(5)
	s_delay_alu instid0(VALU_DEP_1) | instskip(SKIP_1) | instid1(VALU_DEP_1)
	v_fmac_f32_e32 v43, v64, v54
	s_waitcnt lgkmcnt(2)
	v_dual_fmac_f32 v40, v80, v22 :: v_dual_fmac_f32 v43, v66, v55
	s_delay_alu instid0(VALU_DEP_1) | instskip(SKIP_1) | instid1(VALU_DEP_1)
	v_dual_fmac_f32 v40, v82, v23 :: v_dual_fmac_f32 v43, v68, v56
	s_waitcnt lgkmcnt(0)
	v_dual_fmac_f32 v40, v64, v24 :: v_dual_fmac_f32 v43, v70, v57
	s_delay_alu instid0(VALU_DEP_1) | instskip(SKIP_1) | instid1(VALU_DEP_2)
	v_fmac_f32_e32 v40, v66, v25
	v_add_nc_u32_e32 v66, 0xc00, v29
	v_fmac_f32_e32 v40, v68, v44
	s_delay_alu instid0(VALU_DEP_1)
	v_dual_fmac_f32 v41, v73, v48 :: v_dual_fmac_f32 v40, v70, v45
	v_fmac_f32_e32 v17, v73, v60
	ds_load_2addr_b32 v[72:73], v38 offset0:192 offset1:208
	s_waitcnt lgkmcnt(0)
	v_dual_fmac_f32 v40, v72, v46 :: v_dual_fmac_f32 v17, v75, v61
	v_fmac_f32_e32 v41, v75, v49
	ds_load_2addr_b32 v[74:75], v38 offset0:224 offset1:240
	v_fmac_f32_e32 v43, v72, v58
	v_fmac_f32_e32 v17, v77, v62
	s_delay_alu instid0(VALU_DEP_1) | instskip(NEXT) | instid1(VALU_DEP_1)
	v_fmac_f32_e32 v17, v79, v63
	v_fmac_f32_e32 v17, v81, v22
	s_delay_alu instid0(VALU_DEP_1) | instskip(SKIP_3) | instid1(VALU_DEP_3)
	v_fmac_f32_e32 v17, v83, v23
	s_waitcnt lgkmcnt(0)
	v_dual_fmac_f32 v40, v74, v47 :: v_dual_fmac_f32 v41, v77, v50
	v_fmac_f32_e32 v43, v74, v59
	v_fmac_f32_e32 v17, v65, v24
	s_delay_alu instid0(VALU_DEP_3)
	v_fmac_f32_e32 v41, v79, v51
	ds_load_b128 v[48:51], v30 offset:64
	ds_load_b128 v[60:63], v30 offset:80
	v_fmac_f32_e32 v17, v67, v25
	ds_load_b128 v[22:25], v30 offset:2112
	v_fmac_f32_e32 v17, v69, v44
	s_delay_alu instid0(VALU_DEP_1) | instskip(NEXT) | instid1(VALU_DEP_1)
	v_fmac_f32_e32 v17, v71, v45
	v_fmac_f32_e32 v17, v73, v46
	s_delay_alu instid0(VALU_DEP_1) | instskip(SKIP_2) | instid1(VALU_DEP_1)
	v_fmac_f32_e32 v17, v75, v47
	ds_load_b128 v[44:47], v30 offset:2128
	v_fmac_f32_e32 v41, v81, v52
	v_fmac_f32_e32 v41, v83, v53
	ds_load_2addr_b32 v[52:53], v76 offset1:16
	v_fmac_f32_e32 v41, v65, v54
	ds_load_2addr_b32 v[64:65], v76 offset0:96 offset1:112
	v_fmac_f32_e32 v41, v67, v55
	ds_load_2addr_b32 v[54:55], v76 offset0:32 offset1:48
	v_fmac_f32_e32 v41, v69, v56
	s_delay_alu instid0(VALU_DEP_1)
	v_fmac_f32_e32 v41, v71, v57
	ds_load_2addr_b32 v[56:57], v76 offset0:64 offset1:80
	s_waitcnt lgkmcnt(3)
	v_fmac_f32_e32 v43, v52, v48
	v_fmac_f32_e32 v40, v52, v22
	;; [unrolled: 1-line block ×4, first 2 shown]
	s_delay_alu instid0(VALU_DEP_1)
	v_fmac_f32_e32 v41, v75, v59
	ds_load_2addr_b32 v[58:59], v76 offset0:128 offset1:144
	s_waitcnt lgkmcnt(2)
	v_fmac_f32_e32 v43, v54, v49
	v_fmac_f32_e32 v40, v54, v23
	;; [unrolled: 1-line block ×4, first 2 shown]
	ds_load_2addr_b32 v[52:53], v76 offset0:160 offset1:176
	v_fmac_f32_e32 v41, v55, v49
	s_waitcnt lgkmcnt(2)
	v_fmac_f32_e32 v43, v56, v50
	ds_load_2addr_b32 v[54:55], v76 offset0:192 offset1:208
	v_fmac_f32_e32 v40, v56, v24
	v_fmac_f32_e32 v17, v57, v24
	;; [unrolled: 1-line block ×4, first 2 shown]
	ds_load_2addr_b32 v[56:57], v76 offset0:224 offset1:240
	v_fmac_f32_e32 v40, v64, v25
	v_fmac_f32_e32 v17, v65, v25
	;; [unrolled: 1-line block ×3, first 2 shown]
	s_waitcnt lgkmcnt(3)
	v_fmac_f32_e32 v43, v58, v60
	ds_load_2addr_b32 v[64:65], v66 offset1:16
	ds_load_b128 v[22:25], v30 offset:96
	v_fmac_f32_e32 v40, v58, v44
	v_fmac_f32_e32 v17, v59, v44
	;; [unrolled: 1-line block ×3, first 2 shown]
	ds_load_b128 v[48:51], v30 offset:2144
	s_waitcnt lgkmcnt(5)
	v_fmac_f32_e32 v43, v52, v61
	ds_load_2addr_b32 v[58:59], v66 offset0:32 offset1:48
	v_fmac_f32_e32 v40, v52, v45
	v_fmac_f32_e32 v41, v53, v61
	;; [unrolled: 1-line block ×3, first 2 shown]
	s_waitcnt lgkmcnt(5)
	v_fmac_f32_e32 v43, v54, v62
	ds_load_2addr_b32 v[60:61], v66 offset0:64 offset1:80
	v_fmac_f32_e32 v40, v54, v46
	v_fmac_f32_e32 v41, v55, v62
	;; [unrolled: 1-line block ×3, first 2 shown]
	s_waitcnt lgkmcnt(5)
	v_fmac_f32_e32 v43, v56, v63
	v_fmac_f32_e32 v40, v56, v47
	;; [unrolled: 1-line block ×3, first 2 shown]
	ds_load_2addr_b32 v[62:63], v66 offset0:96 offset1:112
	v_fmac_f32_e32 v17, v57, v47
	ds_load_b128 v[44:47], v30 offset:112
	s_waitcnt lgkmcnt(5)
	v_fmac_f32_e32 v43, v64, v22
	v_fmac_f32_e32 v41, v65, v22
	ds_load_2addr_b32 v[56:57], v66 offset0:128 offset1:144
	ds_load_b128 v[52:55], v30 offset:2160
	s_waitcnt lgkmcnt(6)
	v_fmac_f32_e32 v40, v64, v48
	v_fmac_f32_e32 v17, v65, v48
	s_waitcnt lgkmcnt(5)
	v_fmac_f32_e32 v43, v58, v23
	ds_load_2addr_b32 v[64:65], v66 offset0:160 offset1:176
	v_dual_fmac_f32 v41, v59, v23 :: v_dual_fmac_f32 v40, v58, v49
	v_fmac_f32_e32 v17, v59, v49
	s_waitcnt lgkmcnt(5)
	v_fmac_f32_e32 v43, v60, v24
	ds_load_2addr_b32 v[22:23], v66 offset0:192 offset1:208
	v_dual_fmac_f32 v41, v61, v24 :: v_dual_fmac_f32 v40, v60, v50
	v_fmac_f32_e32 v17, v61, v50
	ds_load_2addr_b32 v[48:49], v66 offset0:224 offset1:240
	s_waitcnt lgkmcnt(0)
	v_fmac_f32_e32 v43, v62, v25
	v_dual_fmac_f32 v41, v63, v25 :: v_dual_fmac_f32 v40, v62, v51
	v_fmac_f32_e32 v17, v63, v51
	s_barrier
	s_delay_alu instid0(VALU_DEP_3) | instskip(NEXT) | instid1(VALU_DEP_3)
	v_fmac_f32_e32 v43, v56, v44
	v_fmac_f32_e32 v41, v57, v44
	;; [unrolled: 1-line block ×4, first 2 shown]
	buffer_gl0_inv
	v_fmac_f32_e32 v43, v64, v45
	v_fmac_f32_e32 v41, v65, v45
	;; [unrolled: 1-line block ×4, first 2 shown]
	s_delay_alu instid0(VALU_DEP_4) | instskip(NEXT) | instid1(VALU_DEP_4)
	v_fmac_f32_e32 v43, v22, v46
	v_fmac_f32_e32 v41, v23, v46
	s_delay_alu instid0(VALU_DEP_4) | instskip(NEXT) | instid1(VALU_DEP_4)
	v_fmac_f32_e32 v40, v22, v54
	v_fmac_f32_e32 v17, v23, v54
	;; [unrolled: 3-line block ×4, first 2 shown]
	s_cbranch_scc1 .LBB7_55
.LBB7_7:                                ;   Parent Loop BB7_4 Depth=1
                                        ; =>  This Inner Loop Header: Depth=2
	v_add_co_u32 v24, s5, v26, s20
	s_delay_alu instid0(VALU_DEP_1) | instskip(SKIP_1) | instid1(VALU_DEP_2)
	v_add_co_ci_u32_e64 v25, null, 0, s21, s5
	v_cmp_eq_u64_e64 s7, s[20:21], v[6:7]
	v_cmp_le_i64_e64 s6, s[12:13], v[24:25]
	v_cmp_gt_i64_e64 s5, v[24:25], v[0:1]
	s_delay_alu instid0(VALU_DEP_3) | instskip(NEXT) | instid1(VALU_DEP_1)
	s_and_b32 s26, s15, s7
	s_or_b32 s7, s6, s5
	s_delay_alu instid0(SALU_CYCLE_1) | instskip(SKIP_1) | instid1(VALU_DEP_1)
	s_or_b32 s8, s7, s26
	v_add_co_u32 v22, s7, v33, s16
	v_add_co_ci_u32_e64 v23, s7, s17, v34, s7
	s_or_b32 s7, s0, s8
	s_delay_alu instid0(SALU_CYCLE_1) | instskip(NEXT) | instid1(SALU_CYCLE_1)
	s_xor_b32 s7, s7, -1
	s_and_saveexec_b32 s8, s7
	s_delay_alu instid0(SALU_CYCLE_1)
	s_xor_b32 s7, exec_lo, s8
	s_cbranch_execz .LBB7_9
; %bb.8:                                ;   in Loop: Header=BB7_7 Depth=2
	global_load_b32 v44, v[22:23], off
	s_waitcnt vmcnt(0)
	ds_store_b32 v31, v44
.LBB7_9:                                ;   in Loop: Header=BB7_7 Depth=2
	s_or_saveexec_b32 s7, s7
	s_xor_b32 s25, s26, -1
	s_xor_b32 exec_lo, exec_lo, s7
	s_cbranch_execz .LBB7_15
; %bb.10:                               ;   in Loop: Header=BB7_7 Depth=2
	s_and_saveexec_b32 s8, s25
	s_delay_alu instid0(SALU_CYCLE_1)
	s_xor_b32 s8, exec_lo, s8
	s_cbranch_execz .LBB7_12
; %bb.11:                               ;   in Loop: Header=BB7_7 Depth=2
	ds_store_b32 v31, v27
.LBB7_12:                               ;   in Loop: Header=BB7_7 Depth=2
	s_and_not1_saveexec_b32 s8, s8
	s_cbranch_execz .LBB7_14
; %bb.13:                               ;   in Loop: Header=BB7_7 Depth=2
	ds_store_b32 v31, v37
.LBB7_14:                               ;   in Loop: Header=BB7_7 Depth=2
	s_or_b32 exec_lo, exec_lo, s8
.LBB7_15:                               ;   in Loop: Header=BB7_7 Depth=2
	s_delay_alu instid0(SALU_CYCLE_1) | instskip(SKIP_2) | instid1(VALU_DEP_2)
	s_or_b32 exec_lo, exec_lo, s7
	v_cmp_eq_u64_e64 s7, s[20:21], v[10:11]
	v_cmp_lt_i64_e64 s8, v[4:5], v[24:25]
	s_and_b32 s7, s15, s7
	s_delay_alu instid0(VALU_DEP_1) | instskip(NEXT) | instid1(SALU_CYCLE_1)
	s_or_b32 s6, s6, s8
	s_or_b32 s6, s6, s7
	s_delay_alu instid0(SALU_CYCLE_1) | instskip(NEXT) | instid1(SALU_CYCLE_1)
	s_or_b32 s6, s3, s6
	s_xor_b32 s6, s6, -1
	s_delay_alu instid0(SALU_CYCLE_1) | instskip(NEXT) | instid1(SALU_CYCLE_1)
	s_and_saveexec_b32 s8, s6
	s_xor_b32 s8, exec_lo, s8
	s_cbranch_execz .LBB7_17
; %bb.16:                               ;   in Loop: Header=BB7_7 Depth=2
	v_add_co_u32 v44, s6, v35, s16
	s_delay_alu instid0(VALU_DEP_1)
	v_add_co_ci_u32_e64 v45, s6, s17, v36, s6
	global_load_b32 v44, v[44:45], off
	s_waitcnt vmcnt(0)
	ds_store_b32 v31, v44 offset:64
.LBB7_17:                               ;   in Loop: Header=BB7_7 Depth=2
	s_and_not1_saveexec_b32 s6, s8
	s_cbranch_execz .LBB7_23
; %bb.18:                               ;   in Loop: Header=BB7_7 Depth=2
	s_xor_b32 s7, s7, -1
	s_delay_alu instid0(SALU_CYCLE_1) | instskip(NEXT) | instid1(SALU_CYCLE_1)
	s_and_saveexec_b32 s8, s7
	s_xor_b32 s7, exec_lo, s8
	s_cbranch_execz .LBB7_20
; %bb.19:                               ;   in Loop: Header=BB7_7 Depth=2
	ds_store_b32 v31, v27 offset:64
.LBB7_20:                               ;   in Loop: Header=BB7_7 Depth=2
	s_and_not1_saveexec_b32 s7, s7
	s_cbranch_execz .LBB7_22
; %bb.21:                               ;   in Loop: Header=BB7_7 Depth=2
	ds_store_b32 v31, v37 offset:64
.LBB7_22:                               ;   in Loop: Header=BB7_7 Depth=2
	s_or_b32 exec_lo, exec_lo, s7
.LBB7_23:                               ;   in Loop: Header=BB7_7 Depth=2
	s_delay_alu instid0(SALU_CYCLE_1) | instskip(SKIP_1) | instid1(VALU_DEP_1)
	s_or_b32 exec_lo, exec_lo, s6
	v_add_co_u32 v24, s6, v24, 16
	v_add_co_ci_u32_e64 v25, s6, 0, v25, s6
	v_cmp_eq_u64_e64 s7, s[20:21], v[12:13]
	s_delay_alu instid0(VALU_DEP_2) | instskip(SKIP_1) | instid1(VALU_DEP_3)
	v_cmp_le_i64_e64 s6, s[12:13], v[24:25]
	v_cmp_gt_i64_e64 s8, v[24:25], v[0:1]
	s_and_b32 s27, s15, s7
	s_delay_alu instid0(VALU_DEP_1) | instskip(NEXT) | instid1(SALU_CYCLE_1)
	s_or_b32 s7, s6, s8
	s_or_b32 s7, s7, s27
	s_delay_alu instid0(SALU_CYCLE_1) | instskip(NEXT) | instid1(SALU_CYCLE_1)
	s_or_b32 s7, s0, s7
	s_xor_b32 s7, s7, -1
	s_delay_alu instid0(SALU_CYCLE_1) | instskip(NEXT) | instid1(SALU_CYCLE_1)
	s_and_saveexec_b32 s8, s7
	s_xor_b32 s7, exec_lo, s8
	s_cbranch_execz .LBB7_25
; %bb.24:                               ;   in Loop: Header=BB7_7 Depth=2
	global_load_b32 v22, v[22:23], off offset:64
	s_waitcnt vmcnt(0)
	ds_store_b32 v31, v22 offset:2048
.LBB7_25:                               ;   in Loop: Header=BB7_7 Depth=2
	s_and_not1_saveexec_b32 s7, s7
	s_cbranch_execz .LBB7_31
; %bb.26:                               ;   in Loop: Header=BB7_7 Depth=2
	s_xor_b32 s8, s27, -1
	s_delay_alu instid0(SALU_CYCLE_1) | instskip(NEXT) | instid1(SALU_CYCLE_1)
	s_and_saveexec_b32 s27, s8
	s_xor_b32 s8, exec_lo, s27
	s_cbranch_execz .LBB7_28
; %bb.27:                               ;   in Loop: Header=BB7_7 Depth=2
	ds_store_b32 v31, v27 offset:2048
.LBB7_28:                               ;   in Loop: Header=BB7_7 Depth=2
	s_and_not1_saveexec_b32 s8, s8
	s_cbranch_execz .LBB7_30
; %bb.29:                               ;   in Loop: Header=BB7_7 Depth=2
	ds_store_b32 v31, v37 offset:2048
.LBB7_30:                               ;   in Loop: Header=BB7_7 Depth=2
	s_or_b32 exec_lo, exec_lo, s8
.LBB7_31:                               ;   in Loop: Header=BB7_7 Depth=2
	s_delay_alu instid0(SALU_CYCLE_1) | instskip(SKIP_1) | instid1(SALU_CYCLE_1)
	s_or_b32 exec_lo, exec_lo, s7
	s_or_b32 s5, s6, s5
	s_or_b32 s5, s5, s26
	s_delay_alu instid0(SALU_CYCLE_1) | instskip(NEXT) | instid1(SALU_CYCLE_1)
	s_or_b32 s5, s3, s5
	s_xor_b32 s5, s5, -1
	s_delay_alu instid0(SALU_CYCLE_1) | instskip(NEXT) | instid1(SALU_CYCLE_1)
	s_and_saveexec_b32 s6, s5
	s_xor_b32 s6, exec_lo, s6
	s_cbranch_execz .LBB7_33
; %bb.32:                               ;   in Loop: Header=BB7_7 Depth=2
	v_add_co_u32 v22, s5, v35, s16
	s_delay_alu instid0(VALU_DEP_1)
	v_add_co_ci_u32_e64 v23, s5, s17, v36, s5
	global_load_b32 v22, v[22:23], off offset:64
	s_waitcnt vmcnt(0)
	ds_store_b32 v31, v22 offset:2112
.LBB7_33:                               ;   in Loop: Header=BB7_7 Depth=2
	s_and_not1_saveexec_b32 s5, s6
	s_cbranch_execz .LBB7_39
; %bb.34:                               ;   in Loop: Header=BB7_7 Depth=2
	s_and_saveexec_b32 s6, s25
	s_delay_alu instid0(SALU_CYCLE_1)
	s_xor_b32 s6, exec_lo, s6
	s_cbranch_execz .LBB7_36
; %bb.35:                               ;   in Loop: Header=BB7_7 Depth=2
	ds_store_b32 v31, v27 offset:2112
.LBB7_36:                               ;   in Loop: Header=BB7_7 Depth=2
	s_and_not1_saveexec_b32 s6, s6
	s_cbranch_execz .LBB7_38
; %bb.37:                               ;   in Loop: Header=BB7_7 Depth=2
	ds_store_b32 v31, v37 offset:2112
.LBB7_38:                               ;   in Loop: Header=BB7_7 Depth=2
	s_or_b32 exec_lo, exec_lo, s6
.LBB7_39:                               ;   in Loop: Header=BB7_7 Depth=2
	s_delay_alu instid0(SALU_CYCLE_1) | instskip(SKIP_1) | instid1(VALU_DEP_1)
	s_or_b32 exec_lo, exec_lo, s5
	v_add_co_u32 v24, s5, v28, s20
	v_add_co_ci_u32_e64 v25, null, 0, s21, s5
	s_delay_alu instid0(VALU_DEP_1) | instskip(NEXT) | instid1(VALU_DEP_1)
	v_cmp_gt_i64_e64 s5, s[12:13], v[24:25]
	s_and_b32 s6, vcc_lo, s5
	s_delay_alu instid0(SALU_CYCLE_1) | instskip(NEXT) | instid1(SALU_CYCLE_1)
	s_xor_b32 s6, s6, -1
	s_and_saveexec_b32 s7, s6
	s_delay_alu instid0(SALU_CYCLE_1)
	s_xor_b32 s6, exec_lo, s7
	s_cbranch_execz .LBB7_41
; %bb.40:                               ;   in Loop: Header=BB7_7 Depth=2
	ds_store_b32 v32, v27
.LBB7_41:                               ;   in Loop: Header=BB7_7 Depth=2
	s_or_saveexec_b32 s7, s6
	v_add_co_u32 v22, s6, v18, s16
	s_delay_alu instid0(VALU_DEP_1)
	v_add_co_ci_u32_e64 v23, s6, s17, v19, s6
	s_xor_b32 exec_lo, exec_lo, s7
	s_cbranch_execz .LBB7_43
; %bb.42:                               ;   in Loop: Header=BB7_7 Depth=2
	global_load_b32 v44, v[22:23], off offset:-64
	s_waitcnt vmcnt(0)
	ds_store_b32 v32, v44
.LBB7_43:                               ;   in Loop: Header=BB7_7 Depth=2
	s_or_b32 exec_lo, exec_lo, s7
	v_cmp_gt_i64_e64 s6, s[18:19], v[24:25]
	s_delay_alu instid0(VALU_DEP_1) | instskip(NEXT) | instid1(SALU_CYCLE_1)
	s_and_b32 s7, vcc_lo, s6
	s_xor_b32 s7, s7, -1
	s_delay_alu instid0(SALU_CYCLE_1) | instskip(NEXT) | instid1(SALU_CYCLE_1)
	s_and_saveexec_b32 s8, s7
	s_xor_b32 s7, exec_lo, s8
	s_cbranch_execz .LBB7_45
; %bb.44:                               ;   in Loop: Header=BB7_7 Depth=2
	ds_store_b32 v32, v27 offset:64
                                        ; implicit-def: $vgpr22_vgpr23
.LBB7_45:                               ;   in Loop: Header=BB7_7 Depth=2
	s_and_not1_saveexec_b32 s7, s7
	s_cbranch_execz .LBB7_47
; %bb.46:                               ;   in Loop: Header=BB7_7 Depth=2
	global_load_b32 v22, v[22:23], off
	s_waitcnt vmcnt(0)
	ds_store_b32 v32, v22 offset:64
.LBB7_47:                               ;   in Loop: Header=BB7_7 Depth=2
	s_or_b32 exec_lo, exec_lo, s7
	s_and_b32 s5, s4, s5
	s_delay_alu instid0(SALU_CYCLE_1) | instskip(NEXT) | instid1(SALU_CYCLE_1)
	s_xor_b32 s5, s5, -1
	s_and_saveexec_b32 s7, s5
	s_delay_alu instid0(SALU_CYCLE_1)
	s_xor_b32 s5, exec_lo, s7
	s_cbranch_execz .LBB7_49
; %bb.48:                               ;   in Loop: Header=BB7_7 Depth=2
	ds_store_b32 v32, v27 offset:2048
.LBB7_49:                               ;   in Loop: Header=BB7_7 Depth=2
	s_and_not1_saveexec_b32 s7, s5
	s_cbranch_execz .LBB7_51
; %bb.50:                               ;   in Loop: Header=BB7_7 Depth=2
	v_add_co_u32 v22, s5, v20, s16
	s_delay_alu instid0(VALU_DEP_1)
	v_add_co_ci_u32_e64 v23, s5, s17, v21, s5
	global_load_b32 v22, v[22:23], off offset:-64
	s_waitcnt vmcnt(0)
	ds_store_b32 v32, v22 offset:2048
.LBB7_51:                               ;   in Loop: Header=BB7_7 Depth=2
	s_or_b32 exec_lo, exec_lo, s7
	s_and_b32 s5, s4, s6
	s_delay_alu instid0(SALU_CYCLE_1) | instskip(NEXT) | instid1(SALU_CYCLE_1)
	s_xor_b32 s5, s5, -1
	s_and_saveexec_b32 s6, s5
	s_delay_alu instid0(SALU_CYCLE_1)
	s_xor_b32 s5, exec_lo, s6
	s_cbranch_execz .LBB7_53
; %bb.52:                               ;   in Loop: Header=BB7_7 Depth=2
	ds_store_b32 v32, v27 offset:2112
.LBB7_53:                               ;   in Loop: Header=BB7_7 Depth=2
	s_and_not1_saveexec_b32 s6, s5
	s_cbranch_execz .LBB7_6
; %bb.54:                               ;   in Loop: Header=BB7_7 Depth=2
	v_add_co_u32 v22, s5, v20, s16
	s_delay_alu instid0(VALU_DEP_1)
	v_add_co_ci_u32_e64 v23, s5, s17, v21, s5
	global_load_b32 v22, v[22:23], off
	s_waitcnt vmcnt(0)
	ds_store_b32 v32, v22 offset:2112
	s_branch .LBB7_6
.LBB7_55:                               ;   in Loop: Header=BB7_4 Depth=1
	s_delay_alu instid0(VALU_DEP_1) | instskip(SKIP_3) | instid1(VALU_DEP_2)
	v_mul_lo_u32 v20, v42, s40
	v_mul_lo_u32 v21, v39, s41
	v_mad_u64_u32 v[18:19], null, v39, s40, 0
	v_cmp_gt_i32_e32 vcc_lo, s10, v39
	v_add3_u32 v19, v19, v21, v20
	s_delay_alu instid0(VALU_DEP_1) | instskip(NEXT) | instid1(VALU_DEP_1)
	v_lshlrev_b64 v[18:19], 2, v[18:19]
	v_add_co_u32 v18, s4, s35, v18
	s_delay_alu instid0(VALU_DEP_1) | instskip(SKIP_1) | instid1(SALU_CYCLE_1)
	v_add_co_ci_u32_e64 v19, s4, s36, v19, s4
	s_and_b32 s4, s1, vcc_lo
	s_and_saveexec_b32 s5, s4
	s_cbranch_execz .LBB7_57
; %bb.56:                               ;   in Loop: Header=BB7_4 Depth=1
	v_add_co_u32 v20, s4, v18, v8
	s_delay_alu instid0(VALU_DEP_1)
	v_add_co_ci_u32_e64 v21, s4, v19, v9, s4
	global_load_b32 v22, v[20:21], off
	s_waitcnt vmcnt(0)
	v_fmac_f32_e32 v22, s11, v43
	global_store_b32 v[20:21], v22, off
.LBB7_57:                               ;   in Loop: Header=BB7_4 Depth=1
	s_or_b32 exec_lo, exec_lo, s5
	s_and_b32 s5, s2, vcc_lo
	s_delay_alu instid0(SALU_CYCLE_1)
	s_and_saveexec_b32 s4, s5
	s_cbranch_execz .LBB7_59
; %bb.58:                               ;   in Loop: Header=BB7_4 Depth=1
	v_lshlrev_b64 v[20:21], 2, v[2:3]
	s_delay_alu instid0(VALU_DEP_1) | instskip(NEXT) | instid1(VALU_DEP_2)
	v_add_co_u32 v18, vcc_lo, v18, v20
	v_add_co_ci_u32_e32 v19, vcc_lo, v19, v21, vcc_lo
	global_load_b32 v20, v[18:19], off
	s_waitcnt vmcnt(0)
	v_fmac_f32_e32 v20, s11, v41
	global_store_b32 v[18:19], v20, off
.LBB7_59:                               ;   in Loop: Header=BB7_4 Depth=1
	s_or_b32 exec_lo, exec_lo, s4
	v_add_nc_u32_e32 v20, 16, v39
	s_delay_alu instid0(VALU_DEP_1) | instskip(SKIP_3) | instid1(VALU_DEP_4)
	v_ashrrev_i32_e32 v21, 31, v20
	v_mul_lo_u32 v22, v20, s41
	v_mad_u64_u32 v[18:19], null, v20, s40, 0
	v_cmp_gt_i32_e32 vcc_lo, s10, v20
	v_mul_lo_u32 v21, v21, s40
	s_delay_alu instid0(VALU_DEP_1) | instskip(NEXT) | instid1(VALU_DEP_1)
	v_add3_u32 v19, v19, v22, v21
	v_lshlrev_b64 v[18:19], 2, v[18:19]
	s_delay_alu instid0(VALU_DEP_1) | instskip(NEXT) | instid1(VALU_DEP_1)
	v_add_co_u32 v18, s4, s35, v18
	v_add_co_ci_u32_e64 v19, s4, s36, v19, s4
	s_and_b32 s4, s1, vcc_lo
	s_delay_alu instid0(SALU_CYCLE_1)
	s_and_saveexec_b32 s5, s4
	s_cbranch_execz .LBB7_61
; %bb.60:                               ;   in Loop: Header=BB7_4 Depth=1
	v_add_co_u32 v20, s4, v18, v8
	s_delay_alu instid0(VALU_DEP_1)
	v_add_co_ci_u32_e64 v21, s4, v19, v9, s4
	global_load_b32 v22, v[20:21], off
	s_waitcnt vmcnt(0)
	v_fmac_f32_e32 v22, s11, v40
	global_store_b32 v[20:21], v22, off
.LBB7_61:                               ;   in Loop: Header=BB7_4 Depth=1
	s_or_b32 exec_lo, exec_lo, s5
	s_and_b32 s5, s2, vcc_lo
	s_delay_alu instid0(SALU_CYCLE_1)
	s_and_saveexec_b32 s4, s5
	s_cbranch_execz .LBB7_3
; %bb.62:                               ;   in Loop: Header=BB7_4 Depth=1
	v_lshlrev_b64 v[20:21], 2, v[2:3]
	s_delay_alu instid0(VALU_DEP_1) | instskip(NEXT) | instid1(VALU_DEP_2)
	v_add_co_u32 v18, vcc_lo, v18, v20
	v_add_co_ci_u32_e32 v19, vcc_lo, v19, v21, vcc_lo
	global_load_b32 v20, v[18:19], off
	s_waitcnt vmcnt(0)
	v_fmac_f32_e32 v20, s11, v17
	global_store_b32 v[18:19], v20, off
	s_branch .LBB7_3
.LBB7_63:
	s_nop 0
	s_sendmsg sendmsg(MSG_DEALLOC_VGPRS)
	s_endpgm
	.section	.rodata,"a",@progbits
	.p2align	6, 0x0
	.amdhsa_kernel _ZL30rocblas_trmm_outofplace_kernelIfLi32ELi2ELb1ELb1ELb1ELb0EfKffEv17rocblas_diagonal_iiT6_lPT7_lllS4_lllPT8_llli
		.amdhsa_group_segment_fixed_size 8192
		.amdhsa_private_segment_fixed_size 0
		.amdhsa_kernarg_size 384
		.amdhsa_user_sgpr_count 13
		.amdhsa_user_sgpr_dispatch_ptr 0
		.amdhsa_user_sgpr_queue_ptr 0
		.amdhsa_user_sgpr_kernarg_segment_ptr 1
		.amdhsa_user_sgpr_dispatch_id 0
		.amdhsa_user_sgpr_private_segment_size 0
		.amdhsa_wavefront_size32 1
		.amdhsa_uses_dynamic_stack 0
		.amdhsa_enable_private_segment 0
		.amdhsa_system_sgpr_workgroup_id_x 1
		.amdhsa_system_sgpr_workgroup_id_y 1
		.amdhsa_system_sgpr_workgroup_id_z 1
		.amdhsa_system_sgpr_workgroup_info 0
		.amdhsa_system_vgpr_workitem_id 1
		.amdhsa_next_free_vgpr 84
		.amdhsa_next_free_sgpr 44
		.amdhsa_reserve_vcc 1
		.amdhsa_float_round_mode_32 0
		.amdhsa_float_round_mode_16_64 0
		.amdhsa_float_denorm_mode_32 3
		.amdhsa_float_denorm_mode_16_64 3
		.amdhsa_dx10_clamp 1
		.amdhsa_ieee_mode 1
		.amdhsa_fp16_overflow 0
		.amdhsa_workgroup_processor_mode 1
		.amdhsa_memory_ordered 1
		.amdhsa_forward_progress 0
		.amdhsa_shared_vgpr_count 0
		.amdhsa_exception_fp_ieee_invalid_op 0
		.amdhsa_exception_fp_denorm_src 0
		.amdhsa_exception_fp_ieee_div_zero 0
		.amdhsa_exception_fp_ieee_overflow 0
		.amdhsa_exception_fp_ieee_underflow 0
		.amdhsa_exception_fp_ieee_inexact 0
		.amdhsa_exception_int_div_zero 0
	.end_amdhsa_kernel
	.section	.text._ZL30rocblas_trmm_outofplace_kernelIfLi32ELi2ELb1ELb1ELb1ELb0EfKffEv17rocblas_diagonal_iiT6_lPT7_lllS4_lllPT8_llli,"axG",@progbits,_ZL30rocblas_trmm_outofplace_kernelIfLi32ELi2ELb1ELb1ELb1ELb0EfKffEv17rocblas_diagonal_iiT6_lPT7_lllS4_lllPT8_llli,comdat
.Lfunc_end7:
	.size	_ZL30rocblas_trmm_outofplace_kernelIfLi32ELi2ELb1ELb1ELb1ELb0EfKffEv17rocblas_diagonal_iiT6_lPT7_lllS4_lllPT8_llli, .Lfunc_end7-_ZL30rocblas_trmm_outofplace_kernelIfLi32ELi2ELb1ELb1ELb1ELb0EfKffEv17rocblas_diagonal_iiT6_lPT7_lllS4_lllPT8_llli
                                        ; -- End function
	.section	.AMDGPU.csdata,"",@progbits
; Kernel info:
; codeLenInByte = 3512
; NumSgprs: 46
; NumVgprs: 84
; ScratchSize: 0
; MemoryBound: 0
; FloatMode: 240
; IeeeMode: 1
; LDSByteSize: 8192 bytes/workgroup (compile time only)
; SGPRBlocks: 5
; VGPRBlocks: 10
; NumSGPRsForWavesPerEU: 46
; NumVGPRsForWavesPerEU: 84
; Occupancy: 16
; WaveLimiterHint : 0
; COMPUTE_PGM_RSRC2:SCRATCH_EN: 0
; COMPUTE_PGM_RSRC2:USER_SGPR: 13
; COMPUTE_PGM_RSRC2:TRAP_HANDLER: 0
; COMPUTE_PGM_RSRC2:TGID_X_EN: 1
; COMPUTE_PGM_RSRC2:TGID_Y_EN: 1
; COMPUTE_PGM_RSRC2:TGID_Z_EN: 1
; COMPUTE_PGM_RSRC2:TIDIG_COMP_CNT: 1
	.section	.text._ZL30rocblas_trmm_outofplace_kernelIfLi32ELi2ELb1ELb0ELb1ELb1EPKfS0_fEv17rocblas_diagonal_iiT6_lPT7_lllS5_lllPT8_llli,"axG",@progbits,_ZL30rocblas_trmm_outofplace_kernelIfLi32ELi2ELb1ELb0ELb1ELb1EPKfS0_fEv17rocblas_diagonal_iiT6_lPT7_lllS5_lllPT8_llli,comdat
	.globl	_ZL30rocblas_trmm_outofplace_kernelIfLi32ELi2ELb1ELb0ELb1ELb1EPKfS0_fEv17rocblas_diagonal_iiT6_lPT7_lllS5_lllPT8_llli ; -- Begin function _ZL30rocblas_trmm_outofplace_kernelIfLi32ELi2ELb1ELb0ELb1ELb1EPKfS0_fEv17rocblas_diagonal_iiT6_lPT7_lllS5_lllPT8_llli
	.p2align	8
	.type	_ZL30rocblas_trmm_outofplace_kernelIfLi32ELi2ELb1ELb0ELb1ELb1EPKfS0_fEv17rocblas_diagonal_iiT6_lPT7_lllS5_lllPT8_llli,@function
_ZL30rocblas_trmm_outofplace_kernelIfLi32ELi2ELb1ELb0ELb1ELb1EPKfS0_fEv17rocblas_diagonal_iiT6_lPT7_lllS5_lllPT8_llli: ; @_ZL30rocblas_trmm_outofplace_kernelIfLi32ELi2ELb1ELb0ELb1ELb1EPKfS0_fEv17rocblas_diagonal_iiT6_lPT7_lllS5_lllPT8_llli
; %bb.0:
	s_load_b512 s[16:31], s[0:1], 0x10
	s_waitcnt lgkmcnt(0)
	s_mul_i32 s2, s15, s19
	s_mul_hi_u32 s3, s15, s18
	s_delay_alu instid0(SALU_CYCLE_1) | instskip(SKIP_1) | instid1(SALU_CYCLE_1)
	s_add_i32 s3, s3, s2
	s_mul_i32 s2, s15, s18
	s_lshl_b64 s[2:3], s[2:3], 2
	s_delay_alu instid0(SALU_CYCLE_1) | instskip(SKIP_4) | instid1(VALU_DEP_1)
	s_add_u32 s2, s16, s2
	s_addc_u32 s3, s17, s3
	s_load_b32 s33, s[2:3], 0x0
	s_waitcnt lgkmcnt(0)
	v_cmp_eq_f32_e64 s2, s33, 0
	s_and_b32 vcc_lo, exec_lo, s2
	s_cbranch_vccnz .LBB8_63
; %bb.1:
	s_load_b128 s[8:11], s[0:1], 0x0
	s_waitcnt lgkmcnt(0)
	s_add_i32 s2, s10, -1
	s_delay_alu instid0(SALU_CYCLE_1) | instskip(NEXT) | instid1(SALU_CYCLE_1)
	s_ashr_i32 s3, s2, 31
	s_lshr_b32 s3, s3, 27
	s_delay_alu instid0(SALU_CYCLE_1) | instskip(NEXT) | instid1(SALU_CYCLE_1)
	s_add_i32 s2, s2, s3
	s_ashr_i32 s11, s2, 5
	s_delay_alu instid0(SALU_CYCLE_1)
	s_cmp_gt_i32 s14, s11
	s_cbranch_scc1 .LBB8_63
; %bb.2:
	s_clause 0x1
	s_load_b128 s[16:19], s[0:1], 0x70
	s_load_b256 s[36:43], s[0:1], 0x50
	s_mul_i32 s3, s15, s27
	s_mul_hi_u32 s4, s15, s26
	s_mul_i32 s2, s15, s26
	s_add_i32 s3, s4, s3
	s_load_b32 s26, s[0:1], 0x8c
	s_lshl_b64 s[4:5], s[2:3], 2
	v_bfe_u32 v28, v0, 10, 10
	s_add_u32 s2, s20, s4
	s_addc_u32 s3, s21, s5
	s_lshl_b64 s[6:7], s[22:23], 2
	v_dual_mov_b32 v37, 0 :: v_dual_and_b32 v0, 0x3ff, v0
	s_add_u32 s2, s2, s6
	s_addc_u32 s3, s3, s7
	v_dual_mov_b32 v38, 1.0 :: v_dual_lshlrev_b32 v1, 7, v28
	s_delay_alu instid0(VALU_DEP_2)
	v_lshlrev_b32_e32 v29, 2, v0
	s_waitcnt lgkmcnt(0)
	s_mul_i32 s1, s15, s19
	s_mul_hi_u32 s12, s15, s18
	s_mul_i32 s0, s15, s18
	s_add_i32 s1, s12, s1
	v_add_nc_u32_e32 v30, 0x1000, v1
	s_lshl_b64 s[0:1], s[0:1], 2
	v_add_nc_u32_e32 v31, v29, v1
	s_add_u32 s12, s40, s0
	s_addc_u32 s18, s41, s1
	s_lshl_b64 s[0:1], s[42:43], 2
	s_mul_hi_u32 s22, s38, s15
	s_add_u32 s27, s12, s0
	s_addc_u32 s34, s18, s1
	s_lshl_b32 s0, s13, 5
	s_mov_b32 s12, s9
	v_add_nc_u32_e32 v0, s0, v0
	v_add_nc_u32_e32 v2, s0, v28
	s_sub_i32 s35, s9, s0
	v_add_nc_u32_e32 v32, v30, v29
	s_cmp_gt_i32 s35, 0
	v_ashrrev_i32_e32 v1, 31, v0
	v_mul_lo_u32 v7, v0, s25
	v_mad_u64_u32 v[5:6], null, v0, s24, 0
	v_ashrrev_i32_e32 v3, 31, v2
	s_delay_alu instid0(VALU_DEP_4)
	v_mul_lo_u32 v8, v1, s24
	v_add_nc_u32_e32 v4, 16, v0
	s_cselect_b32 s40, -1, 0
	s_cmpk_eq_i32 s8, 0x84
	v_lshlrev_b64 v[18:19], 2, v[2:3]
	s_cselect_b32 s41, -1, 0
	s_ashr_i32 s13, s9, 31
	s_ashr_i32 s42, s10, 31
	v_add3_u32 v6, v6, v7, v8
	s_mul_i32 s8, s39, s15
	s_add_u32 s18, s9, -16
	v_cmp_le_i32_e64 s0, s9, v0
	s_addc_u32 s19, s13, -1
	v_lshlrev_b64 v[8:9], 2, v[5:6]
	v_add_co_u32 v6, vcc_lo, v0, 16
	v_add_co_ci_u32_e32 v7, vcc_lo, 0, v1, vcc_lo
	s_delay_alu instid0(VALU_DEP_3) | instskip(NEXT) | instid1(VALU_DEP_4)
	v_add_co_u32 v5, vcc_lo, s2, v8
	v_add_co_ci_u32_e32 v8, vcc_lo, s3, v9, vcc_lo
	v_cmp_gt_i32_e64 s2, s9, v0
	s_delay_alu instid0(VALU_DEP_3) | instskip(NEXT) | instid1(VALU_DEP_3)
	v_add_co_u32 v33, vcc_lo, v5, v18
	v_add_co_ci_u32_e32 v34, vcc_lo, v8, v19, vcc_lo
	v_lshlrev_b64 v[8:9], 2, v[0:1]
	v_cmp_gt_i32_e64 s3, s9, v4
	s_add_i32 s9, s22, s8
	s_mul_i32 s8, s38, s15
	v_sub_co_u32 v10, vcc_lo, v0, v2
	s_lshl_b64 s[8:9], s[8:9], 2
	s_lshl_b64 s[22:23], s[30:31], 2
	v_sub_co_ci_u32_e32 v11, vcc_lo, v1, v3, vcc_lo
	s_add_u32 s8, s8, s22
	v_add_co_u32 v16, vcc_lo, v8, 64
	s_addc_u32 s9, s9, s23
	v_add_co_ci_u32_e32 v17, vcc_lo, 0, v9, vcc_lo
	s_add_u32 s8, s28, s8
	s_addc_u32 s15, s29, s9
	s_lshl_b64 s[22:23], s[36:37], 2
	s_lshl_b32 s9, s26, 5
	s_add_u32 s4, s6, s4
	s_addc_u32 s5, s7, s5
	v_mul_lo_u32 v22, s24, v17
	v_mul_lo_u32 v23, s25, v16
	v_mad_u64_u32 v[20:21], null, s24, v16, s[4:5]
	v_add_co_u32 v12, vcc_lo, v10, 16
	v_add_co_ci_u32_e32 v13, vcc_lo, 0, v11, vcc_lo
	v_add_co_u32 v14, vcc_lo, v10, -16
	v_add_co_ci_u32_e32 v15, vcc_lo, -1, v11, vcc_lo
	v_add3_u32 v21, v23, v21, v22
	v_add_co_u32 v16, vcc_lo, v16, s8
	v_add_co_ci_u32_e32 v17, vcc_lo, s15, v17, vcc_lo
	v_add_co_u32 v20, vcc_lo, v20, v18
	s_delay_alu instid0(VALU_DEP_4) | instskip(SKIP_1) | instid1(VALU_DEP_3)
	v_add_co_ci_u32_e32 v19, vcc_lo, v21, v19, vcc_lo
	v_cmp_le_i64_e64 s1, s[12:13], v[6:7]
	v_add_co_u32 v35, vcc_lo, s20, v20
	v_ashrrev_i32_e32 v5, 31, v4
	v_lshl_add_u32 v18, s14, 5, v28
	v_add_co_ci_u32_e32 v36, vcc_lo, s21, v19, vcc_lo
	s_branch .LBB8_4
.LBB8_3:                                ;   in Loop: Header=BB8_4 Depth=1
	s_or_b32 exec_lo, exec_lo, s4
	v_add_nc_u32_e32 v18, s9, v18
	s_add_i32 s14, s26, s14
	s_delay_alu instid0(SALU_CYCLE_1)
	s_cmp_le_i32 s14, s11
	s_cbranch_scc0 .LBB8_63
.LBB8_4:                                ; =>This Loop Header: Depth=1
                                        ;     Child Loop BB8_7 Depth 2
	v_lshl_add_u32 v39, s14, 5, v28
	v_dual_mov_b32 v43, 0 :: v_dual_mov_b32 v40, 0
	v_mov_b32_e32 v41, 0
	v_mov_b32_e32 v19, 0
	s_delay_alu instid0(VALU_DEP_4)
	v_ashrrev_i32_e32 v42, 31, v39
	s_and_not1_b32 vcc_lo, exec_lo, s40
	s_cbranch_vccnz .LBB8_55
; %bb.5:                                ;   in Loop: Header=BB8_4 Depth=1
	v_ashrrev_i32_e32 v19, 31, v18
	v_mad_u64_u32 v[20:21], null, s22, v18, v[16:17]
	v_mul_lo_u32 v26, s23, v18
	v_mov_b32_e32 v41, 0
	s_delay_alu instid0(VALU_DEP_4) | instskip(SKIP_4) | instid1(VALU_DEP_3)
	v_lshlrev_b64 v[22:23], 2, v[18:19]
	v_mul_lo_u32 v43, s22, v19
	v_dual_mov_b32 v19, 0 :: v_dual_mov_b32 v40, 0
	s_mov_b64 s[20:21], 0
	s_mov_b64 s[24:25], 0
	v_add_co_u32 v27, vcc_lo, v22, 64
	v_add_co_ci_u32_e32 v22, vcc_lo, 0, v23, vcc_lo
	v_sub_co_u32 v24, vcc_lo, s10, v39
	s_delay_alu instid0(VALU_DEP_3) | instskip(NEXT) | instid1(VALU_DEP_3)
	v_mul_lo_u32 v45, s37, v27
	v_mul_lo_u32 v44, s36, v22
	v_mad_u64_u32 v[22:23], null, s36, v27, v[16:17]
	v_sub_co_ci_u32_e32 v25, vcc_lo, s42, v42, vcc_lo
	v_add3_u32 v21, v26, v21, v43
	v_mov_b32_e32 v43, 0
	s_delay_alu instid0(VALU_DEP_3)
	v_cmp_lt_i64_e32 vcc_lo, 0, v[24:25]
	v_cmp_lt_i64_e64 s4, 16, v[24:25]
	v_add3_u32 v23, v45, v23, v44
	s_branch .LBB8_7
.LBB8_6:                                ;   in Loop: Header=BB8_7 Depth=2
	s_or_b32 exec_lo, exec_lo, s6
	s_waitcnt lgkmcnt(0)
	s_waitcnt_vscnt null, 0x0
	s_barrier
	buffer_gl0_inv
	ds_load_2addr_b32 v[71:72], v29 offset1:16
	ds_load_b128 v[24:27], v30
	ds_load_b128 v[44:47], v30 offset:2048
	ds_load_2addr_b32 v[73:74], v29 offset0:32 offset1:48
	ds_load_b128 v[48:51], v30 offset:16
	ds_load_2addr_b32 v[79:80], v29 offset0:64 offset1:80
	ds_load_b128 v[52:55], v30 offset:32
	ds_load_b128 v[56:59], v30 offset:48
	ds_load_2addr_b32 v[81:82], v29 offset0:96 offset1:112
	ds_load_2addr_b32 v[83:84], v29 offset0:128 offset1:144
	ds_load_b128 v[60:63], v30 offset:2064
	ds_load_2addr_b32 v[85:86], v29 offset0:160 offset1:176
	ds_load_2addr_b32 v[87:88], v29 offset0:192 offset1:208
	;; [unrolled: 1-line block ×3, first 2 shown]
	v_add_nc_u32_e32 v91, 0x400, v29
	s_add_u32 s24, s24, 32
	s_addc_u32 s25, s25, 0
	s_add_u32 s20, s20, 0x80
	v_add_nc_u32_e32 v92, 0x800, v29
	s_addc_u32 s21, s21, 0
	s_cmp_ge_i32 s24, s35
	s_waitcnt lgkmcnt(12)
	v_fmac_f32_e32 v41, v72, v24
	s_waitcnt lgkmcnt(11)
	v_fmac_f32_e32 v40, v71, v44
	v_fmac_f32_e32 v43, v71, v24
	ds_load_b128 v[64:67], v30 offset:2080
	ds_load_b128 v[68:71], v30 offset:2096
	s_waitcnt lgkmcnt(12)
	v_dual_fmac_f32 v40, v73, v45 :: v_dual_fmac_f32 v19, v72, v44
	s_waitcnt lgkmcnt(10)
	s_delay_alu instid0(VALU_DEP_1) | instskip(SKIP_1) | instid1(VALU_DEP_1)
	v_dual_fmac_f32 v40, v79, v46 :: v_dual_fmac_f32 v41, v74, v25
	s_waitcnt lgkmcnt(7)
	v_fmac_f32_e32 v40, v81, v47
	s_waitcnt lgkmcnt(5)
	s_delay_alu instid0(VALU_DEP_1) | instskip(SKIP_1) | instid1(VALU_DEP_1)
	v_dual_fmac_f32 v43, v73, v25 :: v_dual_fmac_f32 v40, v83, v60
	s_waitcnt lgkmcnt(4)
	v_dual_fmac_f32 v43, v79, v26 :: v_dual_fmac_f32 v40, v85, v61
	v_fmac_f32_e32 v19, v74, v45
	ds_load_b128 v[72:75], v30 offset:64
	ds_load_b128 v[76:79], v30 offset:80
	ds_load_2addr_b32 v[24:25], v91 offset1:16
	ds_load_2addr_b32 v[44:45], v91 offset0:64 offset1:80
	s_waitcnt lgkmcnt(7)
	v_fmac_f32_e32 v40, v87, v62
	s_waitcnt lgkmcnt(6)
	s_delay_alu instid0(VALU_DEP_1) | instskip(SKIP_1) | instid1(VALU_DEP_2)
	v_dual_fmac_f32 v41, v80, v26 :: v_dual_fmac_f32 v40, v89, v63
	v_fmac_f32_e32 v43, v81, v27
	v_fmac_f32_e32 v41, v82, v27
	ds_load_2addr_b32 v[26:27], v91 offset0:32 offset1:48
	s_waitcnt lgkmcnt(2)
	v_fmac_f32_e32 v40, v24, v64
	s_waitcnt lgkmcnt(0)
	s_delay_alu instid0(VALU_DEP_1) | instskip(NEXT) | instid1(VALU_DEP_1)
	v_dual_fmac_f32 v19, v80, v46 :: v_dual_fmac_f32 v40, v26, v65
	v_dual_fmac_f32 v40, v44, v66 :: v_dual_fmac_f32 v43, v83, v48
	v_fmac_f32_e32 v41, v84, v48
	s_delay_alu instid0(VALU_DEP_2) | instskip(NEXT) | instid1(VALU_DEP_2)
	v_fmac_f32_e32 v43, v85, v49
	v_fmac_f32_e32 v41, v86, v49
	ds_load_2addr_b32 v[48:49], v91 offset0:128 offset1:144
	v_fmac_f32_e32 v19, v82, v47
	ds_load_2addr_b32 v[46:47], v91 offset0:96 offset1:112
	v_fmac_f32_e32 v43, v87, v50
	v_fmac_f32_e32 v41, v88, v50
	s_delay_alu instid0(VALU_DEP_2) | instskip(NEXT) | instid1(VALU_DEP_1)
	v_fmac_f32_e32 v43, v89, v51
	v_fmac_f32_e32 v43, v24, v52
	s_delay_alu instid0(VALU_DEP_1) | instskip(SKIP_1) | instid1(VALU_DEP_1)
	v_fmac_f32_e32 v43, v26, v53
	s_waitcnt lgkmcnt(0)
	v_dual_fmac_f32 v40, v46, v67 :: v_dual_fmac_f32 v43, v44, v54
	s_delay_alu instid0(VALU_DEP_1) | instskip(SKIP_1) | instid1(VALU_DEP_3)
	v_fmac_f32_e32 v40, v48, v68
	v_fmac_f32_e32 v19, v84, v60
	;; [unrolled: 1-line block ×3, first 2 shown]
	s_delay_alu instid0(VALU_DEP_2) | instskip(SKIP_3) | instid1(VALU_DEP_1)
	v_fmac_f32_e32 v19, v86, v61
	ds_load_2addr_b32 v[60:61], v91 offset0:224 offset1:240
	v_fmac_f32_e32 v43, v48, v56
	v_fmac_f32_e32 v19, v88, v62
	;; [unrolled: 1-line block ×3, first 2 shown]
	s_delay_alu instid0(VALU_DEP_1) | instskip(NEXT) | instid1(VALU_DEP_1)
	v_fmac_f32_e32 v19, v25, v64
	v_fmac_f32_e32 v19, v27, v65
	s_delay_alu instid0(VALU_DEP_1) | instskip(SKIP_4) | instid1(VALU_DEP_2)
	v_dual_fmac_f32 v19, v45, v66 :: v_dual_add_nc_u32 v66, 0xc00, v29
	v_fmac_f32_e32 v41, v90, v51
	ds_load_2addr_b32 v[50:51], v91 offset0:160 offset1:176
	v_fmac_f32_e32 v19, v47, v67
	v_fmac_f32_e32 v41, v25, v52
	;; [unrolled: 1-line block ×3, first 2 shown]
	s_delay_alu instid0(VALU_DEP_2) | instskip(SKIP_3) | instid1(VALU_DEP_1)
	v_fmac_f32_e32 v41, v27, v53
	ds_load_2addr_b32 v[52:53], v91 offset0:192 offset1:208
	ds_load_b128 v[24:27], v30 offset:2112
	v_fmac_f32_e32 v41, v45, v54
	v_fmac_f32_e32 v41, v47, v55
	ds_load_2addr_b32 v[54:55], v92 offset1:16
	s_waitcnt lgkmcnt(3)
	v_fmac_f32_e32 v43, v50, v57
	v_fmac_f32_e32 v40, v50, v69
	;; [unrolled: 1-line block ×4, first 2 shown]
	ds_load_2addr_b32 v[48:49], v92 offset0:32 offset1:48
	ds_load_b128 v[44:47], v30 offset:2128
	v_fmac_f32_e32 v41, v51, v57
	s_waitcnt lgkmcnt(4)
	v_fmac_f32_e32 v43, v52, v58
	ds_load_2addr_b32 v[50:51], v92 offset0:64 offset1:80
	v_fmac_f32_e32 v40, v52, v70
	v_fmac_f32_e32 v19, v53, v70
	;; [unrolled: 1-line block ×4, first 2 shown]
	ds_load_2addr_b32 v[52:53], v92 offset0:96 offset1:112
	v_fmac_f32_e32 v40, v60, v71
	v_fmac_f32_e32 v19, v61, v71
	;; [unrolled: 1-line block ×3, first 2 shown]
	s_waitcnt lgkmcnt(4)
	v_fmac_f32_e32 v43, v54, v72
	ds_load_2addr_b32 v[56:57], v92 offset0:128 offset1:144
	v_fmac_f32_e32 v40, v54, v24
	v_fmac_f32_e32 v19, v55, v24
	;; [unrolled: 1-line block ×3, first 2 shown]
	s_waitcnt lgkmcnt(4)
	v_fmac_f32_e32 v43, v48, v73
	ds_load_2addr_b32 v[54:55], v92 offset0:160 offset1:176
	v_fmac_f32_e32 v40, v48, v25
	v_fmac_f32_e32 v19, v49, v25
	;; [unrolled: 1-line block ×3, first 2 shown]
	ds_load_2addr_b32 v[58:59], v92 offset0:192 offset1:208
	s_waitcnt lgkmcnt(4)
	v_fmac_f32_e32 v43, v50, v74
	v_fmac_f32_e32 v40, v50, v26
	;; [unrolled: 1-line block ×4, first 2 shown]
	ds_load_2addr_b32 v[60:61], v92 offset0:224 offset1:240
	s_waitcnt lgkmcnt(4)
	v_fmac_f32_e32 v43, v52, v75
	v_fmac_f32_e32 v40, v52, v27
	v_fmac_f32_e32 v19, v53, v27
	v_fmac_f32_e32 v41, v53, v75
	ds_load_2addr_b32 v[62:63], v66 offset1:16
	ds_load_b128 v[24:27], v30 offset:96
	s_waitcnt lgkmcnt(5)
	v_fmac_f32_e32 v43, v56, v76
	v_fmac_f32_e32 v40, v56, v44
	;; [unrolled: 1-line block ×4, first 2 shown]
	ds_load_b128 v[48:51], v30 offset:2144
	s_waitcnt lgkmcnt(5)
	v_fmac_f32_e32 v43, v54, v77
	ds_load_2addr_b32 v[56:57], v66 offset0:32 offset1:48
	v_fmac_f32_e32 v40, v54, v45
	v_fmac_f32_e32 v41, v55, v77
	v_fmac_f32_e32 v19, v55, v45
	s_waitcnt lgkmcnt(5)
	v_fmac_f32_e32 v43, v58, v78
	ds_load_2addr_b32 v[64:65], v66 offset0:64 offset1:80
	v_fmac_f32_e32 v40, v58, v46
	v_fmac_f32_e32 v41, v59, v78
	v_fmac_f32_e32 v19, v59, v46
	;; [unrolled: 6-line block ×3, first 2 shown]
	ds_load_b128 v[44:47], v30 offset:112
	s_waitcnt lgkmcnt(5)
	v_fmac_f32_e32 v43, v62, v24
	ds_load_2addr_b32 v[60:61], v66 offset0:128 offset1:144
	ds_load_b128 v[52:55], v30 offset:2160
	v_fmac_f32_e32 v41, v63, v24
	s_waitcnt lgkmcnt(6)
	v_fmac_f32_e32 v40, v62, v48
	v_fmac_f32_e32 v19, v63, v48
	s_waitcnt lgkmcnt(5)
	v_fmac_f32_e32 v43, v56, v25
	ds_load_2addr_b32 v[62:63], v66 offset0:160 offset1:176
	v_fmac_f32_e32 v41, v57, v25
	v_fmac_f32_e32 v40, v56, v49
	v_fmac_f32_e32 v19, v57, v49
	s_waitcnt lgkmcnt(5)
	v_fmac_f32_e32 v43, v64, v26
	ds_load_2addr_b32 v[24:25], v66 offset0:192 offset1:208
	v_fmac_f32_e32 v41, v65, v26
	;; [unrolled: 6-line block ×3, first 2 shown]
	v_fmac_f32_e32 v40, v58, v51
	v_fmac_f32_e32 v19, v59, v51
	s_waitcnt lgkmcnt(4)
	v_fmac_f32_e32 v43, v60, v44
	s_waitcnt lgkmcnt(0)
	v_fmac_f32_e32 v41, v61, v44
	v_fmac_f32_e32 v40, v60, v52
	;; [unrolled: 1-line block ×3, first 2 shown]
	s_barrier
	v_fmac_f32_e32 v43, v62, v45
	v_fmac_f32_e32 v41, v63, v45
	;; [unrolled: 1-line block ×4, first 2 shown]
	buffer_gl0_inv
	v_fmac_f32_e32 v43, v24, v46
	v_fmac_f32_e32 v41, v25, v46
	;; [unrolled: 1-line block ×4, first 2 shown]
	s_delay_alu instid0(VALU_DEP_4) | instskip(NEXT) | instid1(VALU_DEP_4)
	v_fmac_f32_e32 v43, v48, v47
	v_fmac_f32_e32 v41, v49, v47
	s_delay_alu instid0(VALU_DEP_4) | instskip(NEXT) | instid1(VALU_DEP_4)
	v_fmac_f32_e32 v40, v48, v55
	v_fmac_f32_e32 v19, v49, v55
	s_cbranch_scc1 .LBB8_55
.LBB8_7:                                ;   Parent Loop BB8_4 Depth=1
                                        ; =>  This Inner Loop Header: Depth=2
	v_add_co_u32 v26, s5, v2, s24
	s_delay_alu instid0(VALU_DEP_1) | instskip(SKIP_1) | instid1(VALU_DEP_2)
	v_add_co_ci_u32_e64 v27, s5, s25, v3, s5
	v_cmp_eq_u64_e64 s7, s[24:25], v[10:11]
	v_cmp_le_i64_e64 s6, s[12:13], v[26:27]
	v_cmp_lt_i64_e64 s5, v[26:27], v[0:1]
	s_delay_alu instid0(VALU_DEP_3) | instskip(NEXT) | instid1(VALU_DEP_1)
	s_and_b32 s28, s41, s7
	s_or_b32 s7, s6, s5
	s_delay_alu instid0(SALU_CYCLE_1) | instskip(SKIP_1) | instid1(VALU_DEP_1)
	s_or_b32 s8, s7, s28
	v_add_co_u32 v24, s7, v33, s20
	v_add_co_ci_u32_e64 v25, s7, s21, v34, s7
	s_or_b32 s7, s0, s8
	s_delay_alu instid0(SALU_CYCLE_1) | instskip(NEXT) | instid1(SALU_CYCLE_1)
	s_xor_b32 s7, s7, -1
	s_and_saveexec_b32 s8, s7
	s_delay_alu instid0(SALU_CYCLE_1)
	s_xor_b32 s7, exec_lo, s8
	s_cbranch_execz .LBB8_9
; %bb.8:                                ;   in Loop: Header=BB8_7 Depth=2
	global_load_b32 v44, v[24:25], off
	s_waitcnt vmcnt(0)
	ds_store_b32 v31, v44
.LBB8_9:                                ;   in Loop: Header=BB8_7 Depth=2
	s_or_saveexec_b32 s7, s7
	s_xor_b32 s15, s28, -1
	s_xor_b32 exec_lo, exec_lo, s7
	s_cbranch_execz .LBB8_15
; %bb.10:                               ;   in Loop: Header=BB8_7 Depth=2
	s_and_saveexec_b32 s8, s15
	s_delay_alu instid0(SALU_CYCLE_1)
	s_xor_b32 s8, exec_lo, s8
	s_cbranch_execz .LBB8_12
; %bb.11:                               ;   in Loop: Header=BB8_7 Depth=2
	ds_store_b32 v31, v37
.LBB8_12:                               ;   in Loop: Header=BB8_7 Depth=2
	s_and_not1_saveexec_b32 s8, s8
	s_cbranch_execz .LBB8_14
; %bb.13:                               ;   in Loop: Header=BB8_7 Depth=2
	ds_store_b32 v31, v38
.LBB8_14:                               ;   in Loop: Header=BB8_7 Depth=2
	s_or_b32 exec_lo, exec_lo, s8
.LBB8_15:                               ;   in Loop: Header=BB8_7 Depth=2
	s_delay_alu instid0(SALU_CYCLE_1) | instskip(SKIP_2) | instid1(VALU_DEP_2)
	s_or_b32 exec_lo, exec_lo, s7
	v_cmp_eq_u64_e64 s7, s[24:25], v[12:13]
	v_cmp_gt_i64_e64 s8, v[6:7], v[26:27]
	s_and_b32 s7, s41, s7
	s_delay_alu instid0(VALU_DEP_1) | instskip(NEXT) | instid1(SALU_CYCLE_1)
	s_or_b32 s6, s6, s8
	s_or_b32 s6, s6, s7
	s_delay_alu instid0(SALU_CYCLE_1) | instskip(NEXT) | instid1(SALU_CYCLE_1)
	s_or_b32 s6, s1, s6
	s_xor_b32 s6, s6, -1
	s_delay_alu instid0(SALU_CYCLE_1) | instskip(NEXT) | instid1(SALU_CYCLE_1)
	s_and_saveexec_b32 s8, s6
	s_xor_b32 s8, exec_lo, s8
	s_cbranch_execz .LBB8_17
; %bb.16:                               ;   in Loop: Header=BB8_7 Depth=2
	v_add_co_u32 v44, s6, v35, s20
	s_delay_alu instid0(VALU_DEP_1)
	v_add_co_ci_u32_e64 v45, s6, s21, v36, s6
	global_load_b32 v44, v[44:45], off
	s_waitcnt vmcnt(0)
	ds_store_b32 v31, v44 offset:64
.LBB8_17:                               ;   in Loop: Header=BB8_7 Depth=2
	s_and_not1_saveexec_b32 s6, s8
	s_cbranch_execz .LBB8_23
; %bb.18:                               ;   in Loop: Header=BB8_7 Depth=2
	s_xor_b32 s7, s7, -1
	s_delay_alu instid0(SALU_CYCLE_1) | instskip(NEXT) | instid1(SALU_CYCLE_1)
	s_and_saveexec_b32 s8, s7
	s_xor_b32 s7, exec_lo, s8
	s_cbranch_execz .LBB8_20
; %bb.19:                               ;   in Loop: Header=BB8_7 Depth=2
	ds_store_b32 v31, v37 offset:64
.LBB8_20:                               ;   in Loop: Header=BB8_7 Depth=2
	s_and_not1_saveexec_b32 s7, s7
	s_cbranch_execz .LBB8_22
; %bb.21:                               ;   in Loop: Header=BB8_7 Depth=2
	ds_store_b32 v31, v38 offset:64
.LBB8_22:                               ;   in Loop: Header=BB8_7 Depth=2
	s_or_b32 exec_lo, exec_lo, s7
.LBB8_23:                               ;   in Loop: Header=BB8_7 Depth=2
	s_delay_alu instid0(SALU_CYCLE_1) | instskip(SKIP_1) | instid1(VALU_DEP_1)
	s_or_b32 exec_lo, exec_lo, s6
	v_add_co_u32 v26, s6, v26, 16
	v_add_co_ci_u32_e64 v27, s6, 0, v27, s6
	v_cmp_eq_u64_e64 s7, s[24:25], v[14:15]
	s_delay_alu instid0(VALU_DEP_2) | instskip(SKIP_1) | instid1(VALU_DEP_3)
	v_cmp_le_i64_e64 s6, s[12:13], v[26:27]
	v_cmp_lt_i64_e64 s8, v[26:27], v[0:1]
	s_and_b32 s29, s41, s7
	s_delay_alu instid0(VALU_DEP_1) | instskip(NEXT) | instid1(SALU_CYCLE_1)
	s_or_b32 s7, s6, s8
	s_or_b32 s7, s7, s29
	s_delay_alu instid0(SALU_CYCLE_1) | instskip(NEXT) | instid1(SALU_CYCLE_1)
	s_or_b32 s7, s0, s7
	s_xor_b32 s7, s7, -1
	s_delay_alu instid0(SALU_CYCLE_1) | instskip(NEXT) | instid1(SALU_CYCLE_1)
	s_and_saveexec_b32 s8, s7
	s_xor_b32 s7, exec_lo, s8
	s_cbranch_execz .LBB8_25
; %bb.24:                               ;   in Loop: Header=BB8_7 Depth=2
	global_load_b32 v24, v[24:25], off offset:64
	s_waitcnt vmcnt(0)
	ds_store_b32 v31, v24 offset:2048
.LBB8_25:                               ;   in Loop: Header=BB8_7 Depth=2
	s_and_not1_saveexec_b32 s7, s7
	s_cbranch_execz .LBB8_31
; %bb.26:                               ;   in Loop: Header=BB8_7 Depth=2
	s_xor_b32 s8, s29, -1
	s_delay_alu instid0(SALU_CYCLE_1) | instskip(NEXT) | instid1(SALU_CYCLE_1)
	s_and_saveexec_b32 s29, s8
	s_xor_b32 s8, exec_lo, s29
	s_cbranch_execz .LBB8_28
; %bb.27:                               ;   in Loop: Header=BB8_7 Depth=2
	ds_store_b32 v31, v37 offset:2048
.LBB8_28:                               ;   in Loop: Header=BB8_7 Depth=2
	s_and_not1_saveexec_b32 s8, s8
	s_cbranch_execz .LBB8_30
; %bb.29:                               ;   in Loop: Header=BB8_7 Depth=2
	ds_store_b32 v31, v38 offset:2048
.LBB8_30:                               ;   in Loop: Header=BB8_7 Depth=2
	s_or_b32 exec_lo, exec_lo, s8
.LBB8_31:                               ;   in Loop: Header=BB8_7 Depth=2
	s_delay_alu instid0(SALU_CYCLE_1) | instskip(SKIP_1) | instid1(SALU_CYCLE_1)
	s_or_b32 exec_lo, exec_lo, s7
	s_or_b32 s5, s6, s5
	s_or_b32 s5, s5, s28
	s_delay_alu instid0(SALU_CYCLE_1) | instskip(NEXT) | instid1(SALU_CYCLE_1)
	s_or_b32 s5, s1, s5
	s_xor_b32 s5, s5, -1
	s_delay_alu instid0(SALU_CYCLE_1) | instskip(NEXT) | instid1(SALU_CYCLE_1)
	s_and_saveexec_b32 s6, s5
	s_xor_b32 s6, exec_lo, s6
	s_cbranch_execz .LBB8_33
; %bb.32:                               ;   in Loop: Header=BB8_7 Depth=2
	v_add_co_u32 v24, s5, v35, s20
	s_delay_alu instid0(VALU_DEP_1)
	v_add_co_ci_u32_e64 v25, s5, s21, v36, s5
	global_load_b32 v24, v[24:25], off offset:64
	s_waitcnt vmcnt(0)
	ds_store_b32 v31, v24 offset:2112
.LBB8_33:                               ;   in Loop: Header=BB8_7 Depth=2
	s_and_not1_saveexec_b32 s5, s6
	s_cbranch_execz .LBB8_39
; %bb.34:                               ;   in Loop: Header=BB8_7 Depth=2
	s_and_saveexec_b32 s6, s15
	s_delay_alu instid0(SALU_CYCLE_1)
	s_xor_b32 s6, exec_lo, s6
	s_cbranch_execz .LBB8_36
; %bb.35:                               ;   in Loop: Header=BB8_7 Depth=2
	ds_store_b32 v31, v37 offset:2112
.LBB8_36:                               ;   in Loop: Header=BB8_7 Depth=2
	s_and_not1_saveexec_b32 s6, s6
	s_cbranch_execz .LBB8_38
; %bb.37:                               ;   in Loop: Header=BB8_7 Depth=2
	ds_store_b32 v31, v38 offset:2112
.LBB8_38:                               ;   in Loop: Header=BB8_7 Depth=2
	s_or_b32 exec_lo, exec_lo, s6
.LBB8_39:                               ;   in Loop: Header=BB8_7 Depth=2
	s_delay_alu instid0(SALU_CYCLE_1) | instskip(SKIP_1) | instid1(VALU_DEP_1)
	s_or_b32 exec_lo, exec_lo, s5
	v_add_co_u32 v26, s5, v0, s24
	v_add_co_ci_u32_e64 v27, s5, s25, v1, s5
	s_delay_alu instid0(VALU_DEP_1) | instskip(NEXT) | instid1(VALU_DEP_1)
	v_cmp_gt_i64_e64 s5, s[12:13], v[26:27]
	s_and_b32 s6, vcc_lo, s5
	s_delay_alu instid0(SALU_CYCLE_1) | instskip(NEXT) | instid1(SALU_CYCLE_1)
	s_xor_b32 s6, s6, -1
	s_and_saveexec_b32 s7, s6
	s_delay_alu instid0(SALU_CYCLE_1)
	s_xor_b32 s6, exec_lo, s7
	s_cbranch_execz .LBB8_41
; %bb.40:                               ;   in Loop: Header=BB8_7 Depth=2
	ds_store_b32 v32, v37
.LBB8_41:                               ;   in Loop: Header=BB8_7 Depth=2
	s_or_saveexec_b32 s7, s6
	v_add_co_u32 v24, s6, v20, s20
	s_delay_alu instid0(VALU_DEP_1)
	v_add_co_ci_u32_e64 v25, s6, s21, v21, s6
	s_xor_b32 exec_lo, exec_lo, s7
	s_cbranch_execz .LBB8_43
; %bb.42:                               ;   in Loop: Header=BB8_7 Depth=2
	global_load_b32 v44, v[24:25], off offset:-64
	s_waitcnt vmcnt(0)
	ds_store_b32 v32, v44
.LBB8_43:                               ;   in Loop: Header=BB8_7 Depth=2
	s_or_b32 exec_lo, exec_lo, s7
	v_cmp_gt_i64_e64 s6, s[18:19], v[26:27]
	s_delay_alu instid0(VALU_DEP_1) | instskip(NEXT) | instid1(SALU_CYCLE_1)
	s_and_b32 s7, vcc_lo, s6
	s_xor_b32 s7, s7, -1
	s_delay_alu instid0(SALU_CYCLE_1) | instskip(NEXT) | instid1(SALU_CYCLE_1)
	s_and_saveexec_b32 s8, s7
	s_xor_b32 s7, exec_lo, s8
	s_cbranch_execz .LBB8_45
; %bb.44:                               ;   in Loop: Header=BB8_7 Depth=2
	ds_store_b32 v32, v37 offset:64
                                        ; implicit-def: $vgpr24_vgpr25
.LBB8_45:                               ;   in Loop: Header=BB8_7 Depth=2
	s_and_not1_saveexec_b32 s7, s7
	s_cbranch_execz .LBB8_47
; %bb.46:                               ;   in Loop: Header=BB8_7 Depth=2
	global_load_b32 v24, v[24:25], off
	s_waitcnt vmcnt(0)
	ds_store_b32 v32, v24 offset:64
.LBB8_47:                               ;   in Loop: Header=BB8_7 Depth=2
	s_or_b32 exec_lo, exec_lo, s7
	s_and_b32 s5, s4, s5
	s_delay_alu instid0(SALU_CYCLE_1) | instskip(NEXT) | instid1(SALU_CYCLE_1)
	s_xor_b32 s5, s5, -1
	s_and_saveexec_b32 s7, s5
	s_delay_alu instid0(SALU_CYCLE_1)
	s_xor_b32 s5, exec_lo, s7
	s_cbranch_execz .LBB8_49
; %bb.48:                               ;   in Loop: Header=BB8_7 Depth=2
	ds_store_b32 v32, v37 offset:2048
.LBB8_49:                               ;   in Loop: Header=BB8_7 Depth=2
	s_and_not1_saveexec_b32 s7, s5
	s_cbranch_execz .LBB8_51
; %bb.50:                               ;   in Loop: Header=BB8_7 Depth=2
	v_add_co_u32 v24, s5, v22, s20
	s_delay_alu instid0(VALU_DEP_1)
	v_add_co_ci_u32_e64 v25, s5, s21, v23, s5
	global_load_b32 v24, v[24:25], off offset:-64
	s_waitcnt vmcnt(0)
	ds_store_b32 v32, v24 offset:2048
.LBB8_51:                               ;   in Loop: Header=BB8_7 Depth=2
	s_or_b32 exec_lo, exec_lo, s7
	s_and_b32 s5, s4, s6
	s_delay_alu instid0(SALU_CYCLE_1) | instskip(NEXT) | instid1(SALU_CYCLE_1)
	s_xor_b32 s5, s5, -1
	s_and_saveexec_b32 s6, s5
	s_delay_alu instid0(SALU_CYCLE_1)
	s_xor_b32 s5, exec_lo, s6
	s_cbranch_execz .LBB8_53
; %bb.52:                               ;   in Loop: Header=BB8_7 Depth=2
	ds_store_b32 v32, v37 offset:2112
.LBB8_53:                               ;   in Loop: Header=BB8_7 Depth=2
	s_and_not1_saveexec_b32 s6, s5
	s_cbranch_execz .LBB8_6
; %bb.54:                               ;   in Loop: Header=BB8_7 Depth=2
	v_add_co_u32 v24, s5, v22, s20
	s_delay_alu instid0(VALU_DEP_1)
	v_add_co_ci_u32_e64 v25, s5, s21, v23, s5
	global_load_b32 v24, v[24:25], off
	s_waitcnt vmcnt(0)
	ds_store_b32 v32, v24 offset:2112
	s_branch .LBB8_6
.LBB8_55:                               ;   in Loop: Header=BB8_4 Depth=1
	s_delay_alu instid0(VALU_DEP_1) | instskip(SKIP_3) | instid1(VALU_DEP_2)
	v_mul_lo_u32 v22, v42, s16
	v_mul_lo_u32 v23, v39, s17
	v_mad_u64_u32 v[20:21], null, v39, s16, 0
	v_cmp_gt_i32_e32 vcc_lo, s10, v39
	v_add3_u32 v21, v21, v23, v22
	s_delay_alu instid0(VALU_DEP_1) | instskip(NEXT) | instid1(VALU_DEP_1)
	v_lshlrev_b64 v[20:21], 2, v[20:21]
	v_add_co_u32 v20, s4, s27, v20
	s_delay_alu instid0(VALU_DEP_1) | instskip(SKIP_1) | instid1(SALU_CYCLE_1)
	v_add_co_ci_u32_e64 v21, s4, s34, v21, s4
	s_and_b32 s4, s2, vcc_lo
	s_and_saveexec_b32 s5, s4
	s_cbranch_execz .LBB8_57
; %bb.56:                               ;   in Loop: Header=BB8_4 Depth=1
	v_add_co_u32 v22, s4, v20, v8
	s_delay_alu instid0(VALU_DEP_1)
	v_add_co_ci_u32_e64 v23, s4, v21, v9, s4
	global_load_b32 v24, v[22:23], off
	s_waitcnt vmcnt(0)
	v_fmac_f32_e32 v24, s33, v43
	global_store_b32 v[22:23], v24, off
.LBB8_57:                               ;   in Loop: Header=BB8_4 Depth=1
	s_or_b32 exec_lo, exec_lo, s5
	s_and_b32 s5, s3, vcc_lo
	s_delay_alu instid0(SALU_CYCLE_1)
	s_and_saveexec_b32 s4, s5
	s_cbranch_execz .LBB8_59
; %bb.58:                               ;   in Loop: Header=BB8_4 Depth=1
	v_lshlrev_b64 v[22:23], 2, v[4:5]
	s_delay_alu instid0(VALU_DEP_1) | instskip(NEXT) | instid1(VALU_DEP_2)
	v_add_co_u32 v20, vcc_lo, v20, v22
	v_add_co_ci_u32_e32 v21, vcc_lo, v21, v23, vcc_lo
	global_load_b32 v22, v[20:21], off
	s_waitcnt vmcnt(0)
	v_fmac_f32_e32 v22, s33, v41
	global_store_b32 v[20:21], v22, off
.LBB8_59:                               ;   in Loop: Header=BB8_4 Depth=1
	s_or_b32 exec_lo, exec_lo, s4
	v_add_nc_u32_e32 v22, 16, v39
	s_delay_alu instid0(VALU_DEP_1) | instskip(SKIP_3) | instid1(VALU_DEP_4)
	v_ashrrev_i32_e32 v23, 31, v22
	v_mul_lo_u32 v24, v22, s17
	v_mad_u64_u32 v[20:21], null, v22, s16, 0
	v_cmp_gt_i32_e32 vcc_lo, s10, v22
	v_mul_lo_u32 v23, v23, s16
	s_delay_alu instid0(VALU_DEP_1) | instskip(NEXT) | instid1(VALU_DEP_1)
	v_add3_u32 v21, v21, v24, v23
	v_lshlrev_b64 v[20:21], 2, v[20:21]
	s_delay_alu instid0(VALU_DEP_1) | instskip(NEXT) | instid1(VALU_DEP_1)
	v_add_co_u32 v20, s4, s27, v20
	v_add_co_ci_u32_e64 v21, s4, s34, v21, s4
	s_and_b32 s4, s2, vcc_lo
	s_delay_alu instid0(SALU_CYCLE_1)
	s_and_saveexec_b32 s5, s4
	s_cbranch_execz .LBB8_61
; %bb.60:                               ;   in Loop: Header=BB8_4 Depth=1
	v_add_co_u32 v22, s4, v20, v8
	s_delay_alu instid0(VALU_DEP_1)
	v_add_co_ci_u32_e64 v23, s4, v21, v9, s4
	global_load_b32 v24, v[22:23], off
	s_waitcnt vmcnt(0)
	v_fmac_f32_e32 v24, s33, v40
	global_store_b32 v[22:23], v24, off
.LBB8_61:                               ;   in Loop: Header=BB8_4 Depth=1
	s_or_b32 exec_lo, exec_lo, s5
	s_and_b32 s5, s3, vcc_lo
	s_delay_alu instid0(SALU_CYCLE_1)
	s_and_saveexec_b32 s4, s5
	s_cbranch_execz .LBB8_3
; %bb.62:                               ;   in Loop: Header=BB8_4 Depth=1
	v_lshlrev_b64 v[22:23], 2, v[4:5]
	s_delay_alu instid0(VALU_DEP_1) | instskip(NEXT) | instid1(VALU_DEP_2)
	v_add_co_u32 v20, vcc_lo, v20, v22
	v_add_co_ci_u32_e32 v21, vcc_lo, v21, v23, vcc_lo
	global_load_b32 v22, v[20:21], off
	s_waitcnt vmcnt(0)
	v_fmac_f32_e32 v22, s33, v19
	global_store_b32 v[20:21], v22, off
	s_branch .LBB8_3
.LBB8_63:
	s_nop 0
	s_sendmsg sendmsg(MSG_DEALLOC_VGPRS)
	s_endpgm
	.section	.rodata,"a",@progbits
	.p2align	6, 0x0
	.amdhsa_kernel _ZL30rocblas_trmm_outofplace_kernelIfLi32ELi2ELb1ELb0ELb1ELb1EPKfS0_fEv17rocblas_diagonal_iiT6_lPT7_lllS5_lllPT8_llli
		.amdhsa_group_segment_fixed_size 8192
		.amdhsa_private_segment_fixed_size 0
		.amdhsa_kernarg_size 392
		.amdhsa_user_sgpr_count 13
		.amdhsa_user_sgpr_dispatch_ptr 0
		.amdhsa_user_sgpr_queue_ptr 0
		.amdhsa_user_sgpr_kernarg_segment_ptr 1
		.amdhsa_user_sgpr_dispatch_id 0
		.amdhsa_user_sgpr_private_segment_size 0
		.amdhsa_wavefront_size32 1
		.amdhsa_uses_dynamic_stack 0
		.amdhsa_enable_private_segment 0
		.amdhsa_system_sgpr_workgroup_id_x 1
		.amdhsa_system_sgpr_workgroup_id_y 1
		.amdhsa_system_sgpr_workgroup_id_z 1
		.amdhsa_system_sgpr_workgroup_info 0
		.amdhsa_system_vgpr_workitem_id 1
		.amdhsa_next_free_vgpr 93
		.amdhsa_next_free_sgpr 44
		.amdhsa_reserve_vcc 1
		.amdhsa_float_round_mode_32 0
		.amdhsa_float_round_mode_16_64 0
		.amdhsa_float_denorm_mode_32 3
		.amdhsa_float_denorm_mode_16_64 3
		.amdhsa_dx10_clamp 1
		.amdhsa_ieee_mode 1
		.amdhsa_fp16_overflow 0
		.amdhsa_workgroup_processor_mode 1
		.amdhsa_memory_ordered 1
		.amdhsa_forward_progress 0
		.amdhsa_shared_vgpr_count 0
		.amdhsa_exception_fp_ieee_invalid_op 0
		.amdhsa_exception_fp_denorm_src 0
		.amdhsa_exception_fp_ieee_div_zero 0
		.amdhsa_exception_fp_ieee_overflow 0
		.amdhsa_exception_fp_ieee_underflow 0
		.amdhsa_exception_fp_ieee_inexact 0
		.amdhsa_exception_int_div_zero 0
	.end_amdhsa_kernel
	.section	.text._ZL30rocblas_trmm_outofplace_kernelIfLi32ELi2ELb1ELb0ELb1ELb1EPKfS0_fEv17rocblas_diagonal_iiT6_lPT7_lllS5_lllPT8_llli,"axG",@progbits,_ZL30rocblas_trmm_outofplace_kernelIfLi32ELi2ELb1ELb0ELb1ELb1EPKfS0_fEv17rocblas_diagonal_iiT6_lPT7_lllS5_lllPT8_llli,comdat
.Lfunc_end8:
	.size	_ZL30rocblas_trmm_outofplace_kernelIfLi32ELi2ELb1ELb0ELb1ELb1EPKfS0_fEv17rocblas_diagonal_iiT6_lPT7_lllS5_lllPT8_llli, .Lfunc_end8-_ZL30rocblas_trmm_outofplace_kernelIfLi32ELi2ELb1ELb0ELb1ELb1EPKfS0_fEv17rocblas_diagonal_iiT6_lPT7_lllS5_lllPT8_llli
                                        ; -- End function
	.section	.AMDGPU.csdata,"",@progbits
; Kernel info:
; codeLenInByte = 3520
; NumSgprs: 46
; NumVgprs: 93
; ScratchSize: 0
; MemoryBound: 0
; FloatMode: 240
; IeeeMode: 1
; LDSByteSize: 8192 bytes/workgroup (compile time only)
; SGPRBlocks: 5
; VGPRBlocks: 11
; NumSGPRsForWavesPerEU: 46
; NumVGPRsForWavesPerEU: 93
; Occupancy: 16
; WaveLimiterHint : 0
; COMPUTE_PGM_RSRC2:SCRATCH_EN: 0
; COMPUTE_PGM_RSRC2:USER_SGPR: 13
; COMPUTE_PGM_RSRC2:TRAP_HANDLER: 0
; COMPUTE_PGM_RSRC2:TGID_X_EN: 1
; COMPUTE_PGM_RSRC2:TGID_Y_EN: 1
; COMPUTE_PGM_RSRC2:TGID_Z_EN: 1
; COMPUTE_PGM_RSRC2:TIDIG_COMP_CNT: 1
	.section	.text._ZL30rocblas_trmm_outofplace_kernelIfLi32ELi2ELb1ELb0ELb1ELb1EfKffEv17rocblas_diagonal_iiT6_lPT7_lllS4_lllPT8_llli,"axG",@progbits,_ZL30rocblas_trmm_outofplace_kernelIfLi32ELi2ELb1ELb0ELb1ELb1EfKffEv17rocblas_diagonal_iiT6_lPT7_lllS4_lllPT8_llli,comdat
	.globl	_ZL30rocblas_trmm_outofplace_kernelIfLi32ELi2ELb1ELb0ELb1ELb1EfKffEv17rocblas_diagonal_iiT6_lPT7_lllS4_lllPT8_llli ; -- Begin function _ZL30rocblas_trmm_outofplace_kernelIfLi32ELi2ELb1ELb0ELb1ELb1EfKffEv17rocblas_diagonal_iiT6_lPT7_lllS4_lllPT8_llli
	.p2align	8
	.type	_ZL30rocblas_trmm_outofplace_kernelIfLi32ELi2ELb1ELb0ELb1ELb1EfKffEv17rocblas_diagonal_iiT6_lPT7_lllS4_lllPT8_llli,@function
_ZL30rocblas_trmm_outofplace_kernelIfLi32ELi2ELb1ELb0ELb1ELb1EfKffEv17rocblas_diagonal_iiT6_lPT7_lllS4_lllPT8_llli: ; @_ZL30rocblas_trmm_outofplace_kernelIfLi32ELi2ELb1ELb0ELb1ELb1EfKffEv17rocblas_diagonal_iiT6_lPT7_lllS4_lllPT8_llli
; %bb.0:
	s_load_b128 s[8:11], s[0:1], 0x0
	s_waitcnt lgkmcnt(0)
	v_cmp_eq_f32_e64 s2, s11, 0
	s_delay_alu instid0(VALU_DEP_1)
	s_and_b32 vcc_lo, exec_lo, s2
	s_cbranch_vccnz .LBB9_63
; %bb.1:
	s_add_i32 s2, s10, -1
	s_delay_alu instid0(SALU_CYCLE_1) | instskip(NEXT) | instid1(SALU_CYCLE_1)
	s_ashr_i32 s3, s2, 31
	s_lshr_b32 s3, s3, 27
	s_delay_alu instid0(SALU_CYCLE_1) | instskip(NEXT) | instid1(SALU_CYCLE_1)
	s_add_i32 s2, s2, s3
	s_ashr_i32 s33, s2, 5
	s_delay_alu instid0(SALU_CYCLE_1)
	s_cmp_gt_i32 s14, s33
	s_cbranch_scc1 .LBB9_63
; %bb.2:
	s_clause 0x2
	s_load_b512 s[16:31], s[0:1], 0x18
	s_load_b256 s[36:43], s[0:1], 0x58
	s_load_b32 s34, s[0:1], 0x84
	v_bfe_u32 v28, v0, 10, 10
	v_dual_mov_b32 v37, 0 :: v_dual_and_b32 v0, 0x3ff, v0
	v_mov_b32_e32 v38, 1.0
	s_mov_b32 s12, s9
	s_delay_alu instid0(VALU_DEP_3) | instskip(NEXT) | instid1(VALU_DEP_3)
	v_lshlrev_b32_e32 v1, 7, v28
	v_lshlrev_b32_e32 v29, 2, v0
	s_delay_alu instid0(VALU_DEP_2) | instskip(NEXT) | instid1(VALU_DEP_2)
	v_add_nc_u32_e32 v30, 0x1000, v1
	v_add_nc_u32_e32 v31, v29, v1
	s_delay_alu instid0(VALU_DEP_2)
	v_add_nc_u32_e32 v32, v30, v29
	s_waitcnt lgkmcnt(0)
	s_mul_i32 s1, s15, s23
	s_mul_hi_u32 s2, s15, s22
	s_mul_i32 s0, s15, s22
	s_add_i32 s1, s2, s1
	s_mul_i32 s2, s15, s43
	s_lshl_b64 s[4:5], s[0:1], 2
	s_mul_hi_u32 s1, s15, s42
	s_add_u32 s3, s16, s4
	s_addc_u32 s22, s17, s5
	s_lshl_b64 s[6:7], s[18:19], 2
	s_mul_i32 s0, s15, s42
	s_add_u32 s3, s3, s6
	s_addc_u32 s42, s22, s7
	s_add_i32 s1, s1, s2
	s_mul_i32 s23, s31, s15
	s_lshl_b64 s[0:1], s[0:1], 2
	s_mul_i32 s22, s30, s15
	s_add_u32 s2, s36, s0
	s_addc_u32 s18, s37, s1
	s_lshl_b64 s[0:1], s[38:39], 2
	s_delay_alu instid0(SALU_CYCLE_1)
	s_add_u32 s31, s2, s0
	s_addc_u32 s35, s18, s1
	s_lshl_b32 s0, s13, 5
	s_mul_hi_u32 s2, s30, s15
	v_add_nc_u32_e32 v0, s0, v0
	v_add_nc_u32_e32 v2, s0, v28
	s_sub_i32 s36, s9, s0
	s_delay_alu instid0(SALU_CYCLE_1) | instskip(NEXT) | instid1(VALU_DEP_2)
	s_cmp_gt_i32 s36, 0
	v_ashrrev_i32_e32 v1, 31, v0
	v_mul_lo_u32 v7, v0, s21
	v_mad_u64_u32 v[5:6], null, v0, s20, 0
	v_ashrrev_i32_e32 v3, 31, v2
	s_delay_alu instid0(VALU_DEP_4)
	v_mul_lo_u32 v8, v1, s20
	s_cselect_b32 s15, -1, 0
	s_cmpk_eq_i32 s8, 0x84
	v_add_nc_u32_e32 v4, 16, v0
	v_lshlrev_b64 v[18:19], 2, v[2:3]
	s_cselect_b32 s30, -1, 0
	s_ashr_i32 s13, s9, 31
	s_ashr_i32 s37, s10, 31
	v_add3_u32 v6, v6, v7, v8
	s_add_u32 s18, s9, -16
	s_addc_u32 s19, s13, -1
	s_add_i32 s23, s2, s23
	v_cmp_le_i32_e64 s0, s9, v0
	v_lshlrev_b64 v[8:9], 2, v[5:6]
	v_add_co_u32 v6, vcc_lo, v0, 16
	v_add_co_ci_u32_e32 v7, vcc_lo, 0, v1, vcc_lo
	v_cmp_gt_i32_e64 s1, s9, v0
	s_delay_alu instid0(VALU_DEP_4) | instskip(SKIP_2) | instid1(VALU_DEP_3)
	v_add_co_u32 v8, vcc_lo, s3, v8
	v_add_co_ci_u32_e32 v9, vcc_lo, s42, v9, vcc_lo
	v_cmp_gt_i32_e64 s2, s9, v4
	v_add_co_u32 v33, vcc_lo, v8, v18
	s_delay_alu instid0(VALU_DEP_3)
	v_add_co_ci_u32_e32 v34, vcc_lo, v9, v19, vcc_lo
	v_lshlrev_b64 v[8:9], 2, v[0:1]
	v_sub_co_u32 v10, vcc_lo, v0, v2
	s_lshl_b64 s[8:9], s[22:23], 2
	s_lshl_b64 s[22:23], s[26:27], 2
	v_sub_co_ci_u32_e32 v11, vcc_lo, v1, v3, vcc_lo
	s_add_u32 s8, s8, s22
	v_add_co_u32 v16, vcc_lo, v8, 64
	s_addc_u32 s9, s9, s23
	v_add_co_ci_u32_e32 v17, vcc_lo, 0, v9, vcc_lo
	s_add_u32 s8, s24, s8
	s_addc_u32 s24, s25, s9
	s_lshl_b64 s[22:23], s[28:29], 2
	s_lshl_b32 s9, s34, 5
	s_add_u32 s4, s6, s4
	s_addc_u32 s5, s7, s5
	v_mul_lo_u32 v22, s20, v17
	v_mul_lo_u32 v23, s21, v16
	v_mad_u64_u32 v[20:21], null, s20, v16, s[4:5]
	v_add_co_u32 v12, vcc_lo, v10, 16
	v_add_co_ci_u32_e32 v13, vcc_lo, 0, v11, vcc_lo
	v_add_co_u32 v14, vcc_lo, v10, -16
	v_add_co_ci_u32_e32 v15, vcc_lo, -1, v11, vcc_lo
	v_add3_u32 v21, v23, v21, v22
	v_add_co_u32 v16, vcc_lo, v16, s8
	v_add_co_ci_u32_e32 v17, vcc_lo, s24, v17, vcc_lo
	v_add_co_u32 v20, vcc_lo, v20, v18
	s_delay_alu instid0(VALU_DEP_4) | instskip(SKIP_1) | instid1(VALU_DEP_3)
	v_add_co_ci_u32_e32 v19, vcc_lo, v21, v19, vcc_lo
	v_cmp_le_i64_e64 s3, s[12:13], v[6:7]
	v_add_co_u32 v35, vcc_lo, s16, v20
	v_ashrrev_i32_e32 v5, 31, v4
	v_lshl_add_u32 v18, s14, 5, v28
	v_add_co_ci_u32_e32 v36, vcc_lo, s17, v19, vcc_lo
	s_mov_b32 s24, s10
	s_branch .LBB9_4
.LBB9_3:                                ;   in Loop: Header=BB9_4 Depth=1
	s_or_b32 exec_lo, exec_lo, s4
	v_add_nc_u32_e32 v18, s9, v18
	s_add_i32 s14, s34, s14
	s_delay_alu instid0(SALU_CYCLE_1)
	s_cmp_le_i32 s14, s33
	s_cbranch_scc0 .LBB9_63
.LBB9_4:                                ; =>This Loop Header: Depth=1
                                        ;     Child Loop BB9_7 Depth 2
	v_lshl_add_u32 v39, s14, 5, v28
	v_dual_mov_b32 v43, 0 :: v_dual_mov_b32 v40, 0
	v_mov_b32_e32 v41, 0
	v_mov_b32_e32 v19, 0
	s_delay_alu instid0(VALU_DEP_4)
	v_ashrrev_i32_e32 v42, 31, v39
	s_and_not1_b32 vcc_lo, exec_lo, s15
	s_cbranch_vccnz .LBB9_55
; %bb.5:                                ;   in Loop: Header=BB9_4 Depth=1
	v_ashrrev_i32_e32 v19, 31, v18
	v_mad_u64_u32 v[20:21], null, s22, v18, v[16:17]
	v_mul_lo_u32 v26, s23, v18
	v_mov_b32_e32 v41, 0
	s_delay_alu instid0(VALU_DEP_4) | instskip(SKIP_4) | instid1(VALU_DEP_3)
	v_lshlrev_b64 v[22:23], 2, v[18:19]
	v_mul_lo_u32 v43, s22, v19
	v_dual_mov_b32 v19, 0 :: v_dual_mov_b32 v40, 0
	s_mov_b64 s[16:17], 0
	s_mov_b64 s[20:21], 0
	v_add_co_u32 v27, vcc_lo, v22, 64
	v_add_co_ci_u32_e32 v22, vcc_lo, 0, v23, vcc_lo
	v_sub_co_u32 v24, vcc_lo, s24, v39
	s_delay_alu instid0(VALU_DEP_3) | instskip(NEXT) | instid1(VALU_DEP_3)
	v_mul_lo_u32 v45, s29, v27
	v_mul_lo_u32 v44, s28, v22
	v_mad_u64_u32 v[22:23], null, s28, v27, v[16:17]
	v_sub_co_ci_u32_e32 v25, vcc_lo, s37, v42, vcc_lo
	v_add3_u32 v21, v26, v21, v43
	v_mov_b32_e32 v43, 0
	s_delay_alu instid0(VALU_DEP_3)
	v_cmp_lt_i64_e32 vcc_lo, 0, v[24:25]
	v_cmp_lt_i64_e64 s4, 16, v[24:25]
	v_add3_u32 v23, v45, v23, v44
	s_branch .LBB9_7
.LBB9_6:                                ;   in Loop: Header=BB9_7 Depth=2
	s_or_b32 exec_lo, exec_lo, s6
	s_waitcnt lgkmcnt(0)
	s_waitcnt_vscnt null, 0x0
	s_barrier
	buffer_gl0_inv
	ds_load_2addr_b32 v[71:72], v29 offset1:16
	ds_load_b128 v[24:27], v30
	ds_load_b128 v[44:47], v30 offset:2048
	ds_load_2addr_b32 v[73:74], v29 offset0:32 offset1:48
	ds_load_b128 v[48:51], v30 offset:16
	ds_load_2addr_b32 v[79:80], v29 offset0:64 offset1:80
	ds_load_b128 v[52:55], v30 offset:32
	ds_load_b128 v[56:59], v30 offset:48
	ds_load_2addr_b32 v[81:82], v29 offset0:96 offset1:112
	ds_load_2addr_b32 v[83:84], v29 offset0:128 offset1:144
	ds_load_b128 v[60:63], v30 offset:2064
	ds_load_2addr_b32 v[85:86], v29 offset0:160 offset1:176
	ds_load_2addr_b32 v[87:88], v29 offset0:192 offset1:208
	;; [unrolled: 1-line block ×3, first 2 shown]
	v_add_nc_u32_e32 v91, 0x400, v29
	s_add_u32 s20, s20, 32
	s_addc_u32 s21, s21, 0
	s_add_u32 s16, s16, 0x80
	v_add_nc_u32_e32 v92, 0x800, v29
	s_addc_u32 s17, s17, 0
	s_cmp_ge_i32 s20, s36
	s_waitcnt lgkmcnt(12)
	v_fmac_f32_e32 v41, v72, v24
	s_waitcnt lgkmcnt(11)
	v_fmac_f32_e32 v40, v71, v44
	v_fmac_f32_e32 v43, v71, v24
	ds_load_b128 v[64:67], v30 offset:2080
	ds_load_b128 v[68:71], v30 offset:2096
	s_waitcnt lgkmcnt(12)
	v_dual_fmac_f32 v40, v73, v45 :: v_dual_fmac_f32 v19, v72, v44
	s_waitcnt lgkmcnt(10)
	s_delay_alu instid0(VALU_DEP_1) | instskip(SKIP_1) | instid1(VALU_DEP_1)
	v_dual_fmac_f32 v40, v79, v46 :: v_dual_fmac_f32 v41, v74, v25
	s_waitcnt lgkmcnt(7)
	v_fmac_f32_e32 v40, v81, v47
	s_waitcnt lgkmcnt(5)
	s_delay_alu instid0(VALU_DEP_1) | instskip(SKIP_1) | instid1(VALU_DEP_1)
	v_dual_fmac_f32 v43, v73, v25 :: v_dual_fmac_f32 v40, v83, v60
	s_waitcnt lgkmcnt(4)
	v_dual_fmac_f32 v43, v79, v26 :: v_dual_fmac_f32 v40, v85, v61
	v_fmac_f32_e32 v19, v74, v45
	ds_load_b128 v[72:75], v30 offset:64
	ds_load_b128 v[76:79], v30 offset:80
	ds_load_2addr_b32 v[24:25], v91 offset1:16
	ds_load_2addr_b32 v[44:45], v91 offset0:64 offset1:80
	s_waitcnt lgkmcnt(7)
	v_fmac_f32_e32 v40, v87, v62
	s_waitcnt lgkmcnt(6)
	s_delay_alu instid0(VALU_DEP_1) | instskip(SKIP_1) | instid1(VALU_DEP_2)
	v_dual_fmac_f32 v41, v80, v26 :: v_dual_fmac_f32 v40, v89, v63
	v_fmac_f32_e32 v43, v81, v27
	v_fmac_f32_e32 v41, v82, v27
	ds_load_2addr_b32 v[26:27], v91 offset0:32 offset1:48
	s_waitcnt lgkmcnt(2)
	v_fmac_f32_e32 v40, v24, v64
	s_waitcnt lgkmcnt(0)
	s_delay_alu instid0(VALU_DEP_1) | instskip(NEXT) | instid1(VALU_DEP_1)
	v_dual_fmac_f32 v19, v80, v46 :: v_dual_fmac_f32 v40, v26, v65
	v_dual_fmac_f32 v40, v44, v66 :: v_dual_fmac_f32 v43, v83, v48
	v_fmac_f32_e32 v41, v84, v48
	s_delay_alu instid0(VALU_DEP_2) | instskip(NEXT) | instid1(VALU_DEP_2)
	v_fmac_f32_e32 v43, v85, v49
	v_fmac_f32_e32 v41, v86, v49
	ds_load_2addr_b32 v[48:49], v91 offset0:128 offset1:144
	v_fmac_f32_e32 v19, v82, v47
	ds_load_2addr_b32 v[46:47], v91 offset0:96 offset1:112
	v_fmac_f32_e32 v43, v87, v50
	v_fmac_f32_e32 v41, v88, v50
	s_delay_alu instid0(VALU_DEP_2) | instskip(NEXT) | instid1(VALU_DEP_1)
	v_fmac_f32_e32 v43, v89, v51
	v_fmac_f32_e32 v43, v24, v52
	s_delay_alu instid0(VALU_DEP_1) | instskip(SKIP_1) | instid1(VALU_DEP_1)
	v_fmac_f32_e32 v43, v26, v53
	s_waitcnt lgkmcnt(0)
	v_dual_fmac_f32 v40, v46, v67 :: v_dual_fmac_f32 v43, v44, v54
	s_delay_alu instid0(VALU_DEP_1) | instskip(SKIP_1) | instid1(VALU_DEP_3)
	v_fmac_f32_e32 v40, v48, v68
	v_fmac_f32_e32 v19, v84, v60
	;; [unrolled: 1-line block ×3, first 2 shown]
	s_delay_alu instid0(VALU_DEP_2) | instskip(SKIP_3) | instid1(VALU_DEP_1)
	v_fmac_f32_e32 v19, v86, v61
	ds_load_2addr_b32 v[60:61], v91 offset0:224 offset1:240
	v_fmac_f32_e32 v43, v48, v56
	v_fmac_f32_e32 v19, v88, v62
	;; [unrolled: 1-line block ×3, first 2 shown]
	s_delay_alu instid0(VALU_DEP_1) | instskip(NEXT) | instid1(VALU_DEP_1)
	v_fmac_f32_e32 v19, v25, v64
	v_fmac_f32_e32 v19, v27, v65
	s_delay_alu instid0(VALU_DEP_1) | instskip(SKIP_4) | instid1(VALU_DEP_2)
	v_dual_fmac_f32 v19, v45, v66 :: v_dual_add_nc_u32 v66, 0xc00, v29
	v_fmac_f32_e32 v41, v90, v51
	ds_load_2addr_b32 v[50:51], v91 offset0:160 offset1:176
	v_fmac_f32_e32 v19, v47, v67
	v_fmac_f32_e32 v41, v25, v52
	;; [unrolled: 1-line block ×3, first 2 shown]
	s_delay_alu instid0(VALU_DEP_2) | instskip(SKIP_3) | instid1(VALU_DEP_1)
	v_fmac_f32_e32 v41, v27, v53
	ds_load_2addr_b32 v[52:53], v91 offset0:192 offset1:208
	ds_load_b128 v[24:27], v30 offset:2112
	v_fmac_f32_e32 v41, v45, v54
	v_fmac_f32_e32 v41, v47, v55
	ds_load_2addr_b32 v[54:55], v92 offset1:16
	s_waitcnt lgkmcnt(3)
	v_fmac_f32_e32 v43, v50, v57
	v_fmac_f32_e32 v40, v50, v69
	;; [unrolled: 1-line block ×4, first 2 shown]
	ds_load_2addr_b32 v[48:49], v92 offset0:32 offset1:48
	ds_load_b128 v[44:47], v30 offset:2128
	v_fmac_f32_e32 v41, v51, v57
	s_waitcnt lgkmcnt(4)
	v_fmac_f32_e32 v43, v52, v58
	ds_load_2addr_b32 v[50:51], v92 offset0:64 offset1:80
	v_fmac_f32_e32 v40, v52, v70
	v_fmac_f32_e32 v19, v53, v70
	;; [unrolled: 1-line block ×4, first 2 shown]
	ds_load_2addr_b32 v[52:53], v92 offset0:96 offset1:112
	v_fmac_f32_e32 v40, v60, v71
	v_fmac_f32_e32 v19, v61, v71
	;; [unrolled: 1-line block ×3, first 2 shown]
	s_waitcnt lgkmcnt(4)
	v_fmac_f32_e32 v43, v54, v72
	ds_load_2addr_b32 v[56:57], v92 offset0:128 offset1:144
	v_fmac_f32_e32 v40, v54, v24
	v_fmac_f32_e32 v19, v55, v24
	;; [unrolled: 1-line block ×3, first 2 shown]
	s_waitcnt lgkmcnt(4)
	v_fmac_f32_e32 v43, v48, v73
	ds_load_2addr_b32 v[54:55], v92 offset0:160 offset1:176
	v_fmac_f32_e32 v40, v48, v25
	v_fmac_f32_e32 v19, v49, v25
	;; [unrolled: 1-line block ×3, first 2 shown]
	ds_load_2addr_b32 v[58:59], v92 offset0:192 offset1:208
	s_waitcnt lgkmcnt(4)
	v_fmac_f32_e32 v43, v50, v74
	v_fmac_f32_e32 v40, v50, v26
	;; [unrolled: 1-line block ×4, first 2 shown]
	ds_load_2addr_b32 v[60:61], v92 offset0:224 offset1:240
	s_waitcnt lgkmcnt(4)
	v_fmac_f32_e32 v43, v52, v75
	v_fmac_f32_e32 v40, v52, v27
	;; [unrolled: 1-line block ×4, first 2 shown]
	ds_load_2addr_b32 v[62:63], v66 offset1:16
	ds_load_b128 v[24:27], v30 offset:96
	s_waitcnt lgkmcnt(5)
	v_fmac_f32_e32 v43, v56, v76
	v_fmac_f32_e32 v40, v56, v44
	;; [unrolled: 1-line block ×4, first 2 shown]
	ds_load_b128 v[48:51], v30 offset:2144
	s_waitcnt lgkmcnt(5)
	v_fmac_f32_e32 v43, v54, v77
	ds_load_2addr_b32 v[56:57], v66 offset0:32 offset1:48
	v_fmac_f32_e32 v40, v54, v45
	v_fmac_f32_e32 v41, v55, v77
	v_fmac_f32_e32 v19, v55, v45
	s_waitcnt lgkmcnt(5)
	v_fmac_f32_e32 v43, v58, v78
	ds_load_2addr_b32 v[64:65], v66 offset0:64 offset1:80
	v_fmac_f32_e32 v40, v58, v46
	v_fmac_f32_e32 v41, v59, v78
	v_fmac_f32_e32 v19, v59, v46
	;; [unrolled: 6-line block ×3, first 2 shown]
	ds_load_b128 v[44:47], v30 offset:112
	s_waitcnt lgkmcnt(5)
	v_fmac_f32_e32 v43, v62, v24
	ds_load_2addr_b32 v[60:61], v66 offset0:128 offset1:144
	ds_load_b128 v[52:55], v30 offset:2160
	v_fmac_f32_e32 v41, v63, v24
	s_waitcnt lgkmcnt(6)
	v_fmac_f32_e32 v40, v62, v48
	v_fmac_f32_e32 v19, v63, v48
	s_waitcnt lgkmcnt(5)
	v_fmac_f32_e32 v43, v56, v25
	ds_load_2addr_b32 v[62:63], v66 offset0:160 offset1:176
	v_fmac_f32_e32 v41, v57, v25
	v_fmac_f32_e32 v40, v56, v49
	v_fmac_f32_e32 v19, v57, v49
	s_waitcnt lgkmcnt(5)
	v_fmac_f32_e32 v43, v64, v26
	ds_load_2addr_b32 v[24:25], v66 offset0:192 offset1:208
	v_fmac_f32_e32 v41, v65, v26
	;; [unrolled: 6-line block ×3, first 2 shown]
	v_fmac_f32_e32 v40, v58, v51
	v_fmac_f32_e32 v19, v59, v51
	s_waitcnt lgkmcnt(4)
	v_fmac_f32_e32 v43, v60, v44
	s_waitcnt lgkmcnt(0)
	v_fmac_f32_e32 v41, v61, v44
	v_fmac_f32_e32 v40, v60, v52
	;; [unrolled: 1-line block ×3, first 2 shown]
	s_barrier
	v_fmac_f32_e32 v43, v62, v45
	v_fmac_f32_e32 v41, v63, v45
	;; [unrolled: 1-line block ×4, first 2 shown]
	buffer_gl0_inv
	v_fmac_f32_e32 v43, v24, v46
	v_fmac_f32_e32 v41, v25, v46
	;; [unrolled: 1-line block ×4, first 2 shown]
	s_delay_alu instid0(VALU_DEP_4) | instskip(NEXT) | instid1(VALU_DEP_4)
	v_fmac_f32_e32 v43, v48, v47
	v_fmac_f32_e32 v41, v49, v47
	s_delay_alu instid0(VALU_DEP_4) | instskip(NEXT) | instid1(VALU_DEP_4)
	v_fmac_f32_e32 v40, v48, v55
	v_fmac_f32_e32 v19, v49, v55
	s_cbranch_scc1 .LBB9_55
.LBB9_7:                                ;   Parent Loop BB9_4 Depth=1
                                        ; =>  This Inner Loop Header: Depth=2
	v_add_co_u32 v26, s5, v2, s20
	s_delay_alu instid0(VALU_DEP_1) | instskip(SKIP_1) | instid1(VALU_DEP_2)
	v_add_co_ci_u32_e64 v27, s5, s21, v3, s5
	v_cmp_eq_u64_e64 s7, s[20:21], v[10:11]
	v_cmp_le_i64_e64 s6, s[12:13], v[26:27]
	v_cmp_lt_i64_e64 s5, v[26:27], v[0:1]
	s_delay_alu instid0(VALU_DEP_3) | instskip(NEXT) | instid1(VALU_DEP_1)
	s_and_b32 s26, s30, s7
	s_or_b32 s7, s6, s5
	s_delay_alu instid0(SALU_CYCLE_1) | instskip(SKIP_1) | instid1(VALU_DEP_1)
	s_or_b32 s8, s7, s26
	v_add_co_u32 v24, s7, v33, s16
	v_add_co_ci_u32_e64 v25, s7, s17, v34, s7
	s_or_b32 s7, s0, s8
	s_delay_alu instid0(SALU_CYCLE_1) | instskip(NEXT) | instid1(SALU_CYCLE_1)
	s_xor_b32 s7, s7, -1
	s_and_saveexec_b32 s8, s7
	s_delay_alu instid0(SALU_CYCLE_1)
	s_xor_b32 s7, exec_lo, s8
	s_cbranch_execz .LBB9_9
; %bb.8:                                ;   in Loop: Header=BB9_7 Depth=2
	global_load_b32 v44, v[24:25], off
	s_waitcnt vmcnt(0)
	ds_store_b32 v31, v44
.LBB9_9:                                ;   in Loop: Header=BB9_7 Depth=2
	s_or_saveexec_b32 s7, s7
	s_xor_b32 s25, s26, -1
	s_xor_b32 exec_lo, exec_lo, s7
	s_cbranch_execz .LBB9_15
; %bb.10:                               ;   in Loop: Header=BB9_7 Depth=2
	s_and_saveexec_b32 s8, s25
	s_delay_alu instid0(SALU_CYCLE_1)
	s_xor_b32 s8, exec_lo, s8
	s_cbranch_execz .LBB9_12
; %bb.11:                               ;   in Loop: Header=BB9_7 Depth=2
	ds_store_b32 v31, v37
.LBB9_12:                               ;   in Loop: Header=BB9_7 Depth=2
	s_and_not1_saveexec_b32 s8, s8
	s_cbranch_execz .LBB9_14
; %bb.13:                               ;   in Loop: Header=BB9_7 Depth=2
	ds_store_b32 v31, v38
.LBB9_14:                               ;   in Loop: Header=BB9_7 Depth=2
	s_or_b32 exec_lo, exec_lo, s8
.LBB9_15:                               ;   in Loop: Header=BB9_7 Depth=2
	s_delay_alu instid0(SALU_CYCLE_1) | instskip(SKIP_2) | instid1(VALU_DEP_2)
	s_or_b32 exec_lo, exec_lo, s7
	v_cmp_eq_u64_e64 s7, s[20:21], v[12:13]
	v_cmp_gt_i64_e64 s8, v[6:7], v[26:27]
	s_and_b32 s7, s30, s7
	s_delay_alu instid0(VALU_DEP_1) | instskip(NEXT) | instid1(SALU_CYCLE_1)
	s_or_b32 s6, s6, s8
	s_or_b32 s6, s6, s7
	s_delay_alu instid0(SALU_CYCLE_1) | instskip(NEXT) | instid1(SALU_CYCLE_1)
	s_or_b32 s6, s3, s6
	s_xor_b32 s6, s6, -1
	s_delay_alu instid0(SALU_CYCLE_1) | instskip(NEXT) | instid1(SALU_CYCLE_1)
	s_and_saveexec_b32 s8, s6
	s_xor_b32 s8, exec_lo, s8
	s_cbranch_execz .LBB9_17
; %bb.16:                               ;   in Loop: Header=BB9_7 Depth=2
	v_add_co_u32 v44, s6, v35, s16
	s_delay_alu instid0(VALU_DEP_1)
	v_add_co_ci_u32_e64 v45, s6, s17, v36, s6
	global_load_b32 v44, v[44:45], off
	s_waitcnt vmcnt(0)
	ds_store_b32 v31, v44 offset:64
.LBB9_17:                               ;   in Loop: Header=BB9_7 Depth=2
	s_and_not1_saveexec_b32 s6, s8
	s_cbranch_execz .LBB9_23
; %bb.18:                               ;   in Loop: Header=BB9_7 Depth=2
	s_xor_b32 s7, s7, -1
	s_delay_alu instid0(SALU_CYCLE_1) | instskip(NEXT) | instid1(SALU_CYCLE_1)
	s_and_saveexec_b32 s8, s7
	s_xor_b32 s7, exec_lo, s8
	s_cbranch_execz .LBB9_20
; %bb.19:                               ;   in Loop: Header=BB9_7 Depth=2
	ds_store_b32 v31, v37 offset:64
.LBB9_20:                               ;   in Loop: Header=BB9_7 Depth=2
	s_and_not1_saveexec_b32 s7, s7
	s_cbranch_execz .LBB9_22
; %bb.21:                               ;   in Loop: Header=BB9_7 Depth=2
	ds_store_b32 v31, v38 offset:64
.LBB9_22:                               ;   in Loop: Header=BB9_7 Depth=2
	s_or_b32 exec_lo, exec_lo, s7
.LBB9_23:                               ;   in Loop: Header=BB9_7 Depth=2
	s_delay_alu instid0(SALU_CYCLE_1) | instskip(SKIP_1) | instid1(VALU_DEP_1)
	s_or_b32 exec_lo, exec_lo, s6
	v_add_co_u32 v26, s6, v26, 16
	v_add_co_ci_u32_e64 v27, s6, 0, v27, s6
	v_cmp_eq_u64_e64 s7, s[20:21], v[14:15]
	s_delay_alu instid0(VALU_DEP_2) | instskip(SKIP_1) | instid1(VALU_DEP_3)
	v_cmp_le_i64_e64 s6, s[12:13], v[26:27]
	v_cmp_lt_i64_e64 s8, v[26:27], v[0:1]
	s_and_b32 s27, s30, s7
	s_delay_alu instid0(VALU_DEP_1) | instskip(NEXT) | instid1(SALU_CYCLE_1)
	s_or_b32 s7, s6, s8
	s_or_b32 s7, s7, s27
	s_delay_alu instid0(SALU_CYCLE_1) | instskip(NEXT) | instid1(SALU_CYCLE_1)
	s_or_b32 s7, s0, s7
	s_xor_b32 s7, s7, -1
	s_delay_alu instid0(SALU_CYCLE_1) | instskip(NEXT) | instid1(SALU_CYCLE_1)
	s_and_saveexec_b32 s8, s7
	s_xor_b32 s7, exec_lo, s8
	s_cbranch_execz .LBB9_25
; %bb.24:                               ;   in Loop: Header=BB9_7 Depth=2
	global_load_b32 v24, v[24:25], off offset:64
	s_waitcnt vmcnt(0)
	ds_store_b32 v31, v24 offset:2048
.LBB9_25:                               ;   in Loop: Header=BB9_7 Depth=2
	s_and_not1_saveexec_b32 s7, s7
	s_cbranch_execz .LBB9_31
; %bb.26:                               ;   in Loop: Header=BB9_7 Depth=2
	s_xor_b32 s8, s27, -1
	s_delay_alu instid0(SALU_CYCLE_1) | instskip(NEXT) | instid1(SALU_CYCLE_1)
	s_and_saveexec_b32 s27, s8
	s_xor_b32 s8, exec_lo, s27
	s_cbranch_execz .LBB9_28
; %bb.27:                               ;   in Loop: Header=BB9_7 Depth=2
	ds_store_b32 v31, v37 offset:2048
.LBB9_28:                               ;   in Loop: Header=BB9_7 Depth=2
	s_and_not1_saveexec_b32 s8, s8
	s_cbranch_execz .LBB9_30
; %bb.29:                               ;   in Loop: Header=BB9_7 Depth=2
	ds_store_b32 v31, v38 offset:2048
.LBB9_30:                               ;   in Loop: Header=BB9_7 Depth=2
	s_or_b32 exec_lo, exec_lo, s8
.LBB9_31:                               ;   in Loop: Header=BB9_7 Depth=2
	s_delay_alu instid0(SALU_CYCLE_1) | instskip(SKIP_1) | instid1(SALU_CYCLE_1)
	s_or_b32 exec_lo, exec_lo, s7
	s_or_b32 s5, s6, s5
	s_or_b32 s5, s5, s26
	s_delay_alu instid0(SALU_CYCLE_1) | instskip(NEXT) | instid1(SALU_CYCLE_1)
	s_or_b32 s5, s3, s5
	s_xor_b32 s5, s5, -1
	s_delay_alu instid0(SALU_CYCLE_1) | instskip(NEXT) | instid1(SALU_CYCLE_1)
	s_and_saveexec_b32 s6, s5
	s_xor_b32 s6, exec_lo, s6
	s_cbranch_execz .LBB9_33
; %bb.32:                               ;   in Loop: Header=BB9_7 Depth=2
	v_add_co_u32 v24, s5, v35, s16
	s_delay_alu instid0(VALU_DEP_1)
	v_add_co_ci_u32_e64 v25, s5, s17, v36, s5
	global_load_b32 v24, v[24:25], off offset:64
	s_waitcnt vmcnt(0)
	ds_store_b32 v31, v24 offset:2112
.LBB9_33:                               ;   in Loop: Header=BB9_7 Depth=2
	s_and_not1_saveexec_b32 s5, s6
	s_cbranch_execz .LBB9_39
; %bb.34:                               ;   in Loop: Header=BB9_7 Depth=2
	s_and_saveexec_b32 s6, s25
	s_delay_alu instid0(SALU_CYCLE_1)
	s_xor_b32 s6, exec_lo, s6
	s_cbranch_execz .LBB9_36
; %bb.35:                               ;   in Loop: Header=BB9_7 Depth=2
	ds_store_b32 v31, v37 offset:2112
.LBB9_36:                               ;   in Loop: Header=BB9_7 Depth=2
	s_and_not1_saveexec_b32 s6, s6
	s_cbranch_execz .LBB9_38
; %bb.37:                               ;   in Loop: Header=BB9_7 Depth=2
	ds_store_b32 v31, v38 offset:2112
.LBB9_38:                               ;   in Loop: Header=BB9_7 Depth=2
	s_or_b32 exec_lo, exec_lo, s6
.LBB9_39:                               ;   in Loop: Header=BB9_7 Depth=2
	s_delay_alu instid0(SALU_CYCLE_1) | instskip(SKIP_1) | instid1(VALU_DEP_1)
	s_or_b32 exec_lo, exec_lo, s5
	v_add_co_u32 v26, s5, v0, s20
	v_add_co_ci_u32_e64 v27, s5, s21, v1, s5
	s_delay_alu instid0(VALU_DEP_1) | instskip(NEXT) | instid1(VALU_DEP_1)
	v_cmp_gt_i64_e64 s5, s[12:13], v[26:27]
	s_and_b32 s6, vcc_lo, s5
	s_delay_alu instid0(SALU_CYCLE_1) | instskip(NEXT) | instid1(SALU_CYCLE_1)
	s_xor_b32 s6, s6, -1
	s_and_saveexec_b32 s7, s6
	s_delay_alu instid0(SALU_CYCLE_1)
	s_xor_b32 s6, exec_lo, s7
	s_cbranch_execz .LBB9_41
; %bb.40:                               ;   in Loop: Header=BB9_7 Depth=2
	ds_store_b32 v32, v37
.LBB9_41:                               ;   in Loop: Header=BB9_7 Depth=2
	s_or_saveexec_b32 s7, s6
	v_add_co_u32 v24, s6, v20, s16
	s_delay_alu instid0(VALU_DEP_1)
	v_add_co_ci_u32_e64 v25, s6, s17, v21, s6
	s_xor_b32 exec_lo, exec_lo, s7
	s_cbranch_execz .LBB9_43
; %bb.42:                               ;   in Loop: Header=BB9_7 Depth=2
	global_load_b32 v44, v[24:25], off offset:-64
	s_waitcnt vmcnt(0)
	ds_store_b32 v32, v44
.LBB9_43:                               ;   in Loop: Header=BB9_7 Depth=2
	s_or_b32 exec_lo, exec_lo, s7
	v_cmp_gt_i64_e64 s6, s[18:19], v[26:27]
	s_delay_alu instid0(VALU_DEP_1) | instskip(NEXT) | instid1(SALU_CYCLE_1)
	s_and_b32 s7, vcc_lo, s6
	s_xor_b32 s7, s7, -1
	s_delay_alu instid0(SALU_CYCLE_1) | instskip(NEXT) | instid1(SALU_CYCLE_1)
	s_and_saveexec_b32 s8, s7
	s_xor_b32 s7, exec_lo, s8
	s_cbranch_execz .LBB9_45
; %bb.44:                               ;   in Loop: Header=BB9_7 Depth=2
	ds_store_b32 v32, v37 offset:64
                                        ; implicit-def: $vgpr24_vgpr25
.LBB9_45:                               ;   in Loop: Header=BB9_7 Depth=2
	s_and_not1_saveexec_b32 s7, s7
	s_cbranch_execz .LBB9_47
; %bb.46:                               ;   in Loop: Header=BB9_7 Depth=2
	global_load_b32 v24, v[24:25], off
	s_waitcnt vmcnt(0)
	ds_store_b32 v32, v24 offset:64
.LBB9_47:                               ;   in Loop: Header=BB9_7 Depth=2
	s_or_b32 exec_lo, exec_lo, s7
	s_and_b32 s5, s4, s5
	s_delay_alu instid0(SALU_CYCLE_1) | instskip(NEXT) | instid1(SALU_CYCLE_1)
	s_xor_b32 s5, s5, -1
	s_and_saveexec_b32 s7, s5
	s_delay_alu instid0(SALU_CYCLE_1)
	s_xor_b32 s5, exec_lo, s7
	s_cbranch_execz .LBB9_49
; %bb.48:                               ;   in Loop: Header=BB9_7 Depth=2
	ds_store_b32 v32, v37 offset:2048
.LBB9_49:                               ;   in Loop: Header=BB9_7 Depth=2
	s_and_not1_saveexec_b32 s7, s5
	s_cbranch_execz .LBB9_51
; %bb.50:                               ;   in Loop: Header=BB9_7 Depth=2
	v_add_co_u32 v24, s5, v22, s16
	s_delay_alu instid0(VALU_DEP_1)
	v_add_co_ci_u32_e64 v25, s5, s17, v23, s5
	global_load_b32 v24, v[24:25], off offset:-64
	s_waitcnt vmcnt(0)
	ds_store_b32 v32, v24 offset:2048
.LBB9_51:                               ;   in Loop: Header=BB9_7 Depth=2
	s_or_b32 exec_lo, exec_lo, s7
	s_and_b32 s5, s4, s6
	s_delay_alu instid0(SALU_CYCLE_1) | instskip(NEXT) | instid1(SALU_CYCLE_1)
	s_xor_b32 s5, s5, -1
	s_and_saveexec_b32 s6, s5
	s_delay_alu instid0(SALU_CYCLE_1)
	s_xor_b32 s5, exec_lo, s6
	s_cbranch_execz .LBB9_53
; %bb.52:                               ;   in Loop: Header=BB9_7 Depth=2
	ds_store_b32 v32, v37 offset:2112
.LBB9_53:                               ;   in Loop: Header=BB9_7 Depth=2
	s_and_not1_saveexec_b32 s6, s5
	s_cbranch_execz .LBB9_6
; %bb.54:                               ;   in Loop: Header=BB9_7 Depth=2
	v_add_co_u32 v24, s5, v22, s16
	s_delay_alu instid0(VALU_DEP_1)
	v_add_co_ci_u32_e64 v25, s5, s17, v23, s5
	global_load_b32 v24, v[24:25], off
	s_waitcnt vmcnt(0)
	ds_store_b32 v32, v24 offset:2112
	s_branch .LBB9_6
.LBB9_55:                               ;   in Loop: Header=BB9_4 Depth=1
	s_delay_alu instid0(VALU_DEP_1) | instskip(SKIP_3) | instid1(VALU_DEP_2)
	v_mul_lo_u32 v22, v42, s40
	v_mul_lo_u32 v23, v39, s41
	v_mad_u64_u32 v[20:21], null, v39, s40, 0
	v_cmp_gt_i32_e32 vcc_lo, s10, v39
	v_add3_u32 v21, v21, v23, v22
	s_delay_alu instid0(VALU_DEP_1) | instskip(NEXT) | instid1(VALU_DEP_1)
	v_lshlrev_b64 v[20:21], 2, v[20:21]
	v_add_co_u32 v20, s4, s31, v20
	s_delay_alu instid0(VALU_DEP_1) | instskip(SKIP_1) | instid1(SALU_CYCLE_1)
	v_add_co_ci_u32_e64 v21, s4, s35, v21, s4
	s_and_b32 s4, s1, vcc_lo
	s_and_saveexec_b32 s5, s4
	s_cbranch_execz .LBB9_57
; %bb.56:                               ;   in Loop: Header=BB9_4 Depth=1
	v_add_co_u32 v22, s4, v20, v8
	s_delay_alu instid0(VALU_DEP_1)
	v_add_co_ci_u32_e64 v23, s4, v21, v9, s4
	global_load_b32 v24, v[22:23], off
	s_waitcnt vmcnt(0)
	v_fmac_f32_e32 v24, s11, v43
	global_store_b32 v[22:23], v24, off
.LBB9_57:                               ;   in Loop: Header=BB9_4 Depth=1
	s_or_b32 exec_lo, exec_lo, s5
	s_and_b32 s5, s2, vcc_lo
	s_delay_alu instid0(SALU_CYCLE_1)
	s_and_saveexec_b32 s4, s5
	s_cbranch_execz .LBB9_59
; %bb.58:                               ;   in Loop: Header=BB9_4 Depth=1
	v_lshlrev_b64 v[22:23], 2, v[4:5]
	s_delay_alu instid0(VALU_DEP_1) | instskip(NEXT) | instid1(VALU_DEP_2)
	v_add_co_u32 v20, vcc_lo, v20, v22
	v_add_co_ci_u32_e32 v21, vcc_lo, v21, v23, vcc_lo
	global_load_b32 v22, v[20:21], off
	s_waitcnt vmcnt(0)
	v_fmac_f32_e32 v22, s11, v41
	global_store_b32 v[20:21], v22, off
.LBB9_59:                               ;   in Loop: Header=BB9_4 Depth=1
	s_or_b32 exec_lo, exec_lo, s4
	v_add_nc_u32_e32 v22, 16, v39
	s_delay_alu instid0(VALU_DEP_1) | instskip(SKIP_3) | instid1(VALU_DEP_4)
	v_ashrrev_i32_e32 v23, 31, v22
	v_mul_lo_u32 v24, v22, s41
	v_mad_u64_u32 v[20:21], null, v22, s40, 0
	v_cmp_gt_i32_e32 vcc_lo, s10, v22
	v_mul_lo_u32 v23, v23, s40
	s_delay_alu instid0(VALU_DEP_1) | instskip(NEXT) | instid1(VALU_DEP_1)
	v_add3_u32 v21, v21, v24, v23
	v_lshlrev_b64 v[20:21], 2, v[20:21]
	s_delay_alu instid0(VALU_DEP_1) | instskip(NEXT) | instid1(VALU_DEP_1)
	v_add_co_u32 v20, s4, s31, v20
	v_add_co_ci_u32_e64 v21, s4, s35, v21, s4
	s_and_b32 s4, s1, vcc_lo
	s_delay_alu instid0(SALU_CYCLE_1)
	s_and_saveexec_b32 s5, s4
	s_cbranch_execz .LBB9_61
; %bb.60:                               ;   in Loop: Header=BB9_4 Depth=1
	v_add_co_u32 v22, s4, v20, v8
	s_delay_alu instid0(VALU_DEP_1)
	v_add_co_ci_u32_e64 v23, s4, v21, v9, s4
	global_load_b32 v24, v[22:23], off
	s_waitcnt vmcnt(0)
	v_fmac_f32_e32 v24, s11, v40
	global_store_b32 v[22:23], v24, off
.LBB9_61:                               ;   in Loop: Header=BB9_4 Depth=1
	s_or_b32 exec_lo, exec_lo, s5
	s_and_b32 s5, s2, vcc_lo
	s_delay_alu instid0(SALU_CYCLE_1)
	s_and_saveexec_b32 s4, s5
	s_cbranch_execz .LBB9_3
; %bb.62:                               ;   in Loop: Header=BB9_4 Depth=1
	v_lshlrev_b64 v[22:23], 2, v[4:5]
	s_delay_alu instid0(VALU_DEP_1) | instskip(NEXT) | instid1(VALU_DEP_2)
	v_add_co_u32 v20, vcc_lo, v20, v22
	v_add_co_ci_u32_e32 v21, vcc_lo, v21, v23, vcc_lo
	global_load_b32 v22, v[20:21], off
	s_waitcnt vmcnt(0)
	v_fmac_f32_e32 v22, s11, v19
	global_store_b32 v[20:21], v22, off
	s_branch .LBB9_3
.LBB9_63:
	s_nop 0
	s_sendmsg sendmsg(MSG_DEALLOC_VGPRS)
	s_endpgm
	.section	.rodata,"a",@progbits
	.p2align	6, 0x0
	.amdhsa_kernel _ZL30rocblas_trmm_outofplace_kernelIfLi32ELi2ELb1ELb0ELb1ELb1EfKffEv17rocblas_diagonal_iiT6_lPT7_lllS4_lllPT8_llli
		.amdhsa_group_segment_fixed_size 8192
		.amdhsa_private_segment_fixed_size 0
		.amdhsa_kernarg_size 384
		.amdhsa_user_sgpr_count 13
		.amdhsa_user_sgpr_dispatch_ptr 0
		.amdhsa_user_sgpr_queue_ptr 0
		.amdhsa_user_sgpr_kernarg_segment_ptr 1
		.amdhsa_user_sgpr_dispatch_id 0
		.amdhsa_user_sgpr_private_segment_size 0
		.amdhsa_wavefront_size32 1
		.amdhsa_uses_dynamic_stack 0
		.amdhsa_enable_private_segment 0
		.amdhsa_system_sgpr_workgroup_id_x 1
		.amdhsa_system_sgpr_workgroup_id_y 1
		.amdhsa_system_sgpr_workgroup_id_z 1
		.amdhsa_system_sgpr_workgroup_info 0
		.amdhsa_system_vgpr_workitem_id 1
		.amdhsa_next_free_vgpr 93
		.amdhsa_next_free_sgpr 44
		.amdhsa_reserve_vcc 1
		.amdhsa_float_round_mode_32 0
		.amdhsa_float_round_mode_16_64 0
		.amdhsa_float_denorm_mode_32 3
		.amdhsa_float_denorm_mode_16_64 3
		.amdhsa_dx10_clamp 1
		.amdhsa_ieee_mode 1
		.amdhsa_fp16_overflow 0
		.amdhsa_workgroup_processor_mode 1
		.amdhsa_memory_ordered 1
		.amdhsa_forward_progress 0
		.amdhsa_shared_vgpr_count 0
		.amdhsa_exception_fp_ieee_invalid_op 0
		.amdhsa_exception_fp_denorm_src 0
		.amdhsa_exception_fp_ieee_div_zero 0
		.amdhsa_exception_fp_ieee_overflow 0
		.amdhsa_exception_fp_ieee_underflow 0
		.amdhsa_exception_fp_ieee_inexact 0
		.amdhsa_exception_int_div_zero 0
	.end_amdhsa_kernel
	.section	.text._ZL30rocblas_trmm_outofplace_kernelIfLi32ELi2ELb1ELb0ELb1ELb1EfKffEv17rocblas_diagonal_iiT6_lPT7_lllS4_lllPT8_llli,"axG",@progbits,_ZL30rocblas_trmm_outofplace_kernelIfLi32ELi2ELb1ELb0ELb1ELb1EfKffEv17rocblas_diagonal_iiT6_lPT7_lllS4_lllPT8_llli,comdat
.Lfunc_end9:
	.size	_ZL30rocblas_trmm_outofplace_kernelIfLi32ELi2ELb1ELb0ELb1ELb1EfKffEv17rocblas_diagonal_iiT6_lPT7_lllS4_lllPT8_llli, .Lfunc_end9-_ZL30rocblas_trmm_outofplace_kernelIfLi32ELi2ELb1ELb0ELb1ELb1EfKffEv17rocblas_diagonal_iiT6_lPT7_lllS4_lllPT8_llli
                                        ; -- End function
	.section	.AMDGPU.csdata,"",@progbits
; Kernel info:
; codeLenInByte = 3484
; NumSgprs: 46
; NumVgprs: 93
; ScratchSize: 0
; MemoryBound: 0
; FloatMode: 240
; IeeeMode: 1
; LDSByteSize: 8192 bytes/workgroup (compile time only)
; SGPRBlocks: 5
; VGPRBlocks: 11
; NumSGPRsForWavesPerEU: 46
; NumVGPRsForWavesPerEU: 93
; Occupancy: 16
; WaveLimiterHint : 0
; COMPUTE_PGM_RSRC2:SCRATCH_EN: 0
; COMPUTE_PGM_RSRC2:USER_SGPR: 13
; COMPUTE_PGM_RSRC2:TRAP_HANDLER: 0
; COMPUTE_PGM_RSRC2:TGID_X_EN: 1
; COMPUTE_PGM_RSRC2:TGID_Y_EN: 1
; COMPUTE_PGM_RSRC2:TGID_Z_EN: 1
; COMPUTE_PGM_RSRC2:TIDIG_COMP_CNT: 1
	.section	.text._ZL30rocblas_trmm_outofplace_kernelIfLi32ELi2ELb1ELb1ELb1ELb1EPKfS0_fEv17rocblas_diagonal_iiT6_lPT7_lllS5_lllPT8_llli,"axG",@progbits,_ZL30rocblas_trmm_outofplace_kernelIfLi32ELi2ELb1ELb1ELb1ELb1EPKfS0_fEv17rocblas_diagonal_iiT6_lPT7_lllS5_lllPT8_llli,comdat
	.globl	_ZL30rocblas_trmm_outofplace_kernelIfLi32ELi2ELb1ELb1ELb1ELb1EPKfS0_fEv17rocblas_diagonal_iiT6_lPT7_lllS5_lllPT8_llli ; -- Begin function _ZL30rocblas_trmm_outofplace_kernelIfLi32ELi2ELb1ELb1ELb1ELb1EPKfS0_fEv17rocblas_diagonal_iiT6_lPT7_lllS5_lllPT8_llli
	.p2align	8
	.type	_ZL30rocblas_trmm_outofplace_kernelIfLi32ELi2ELb1ELb1ELb1ELb1EPKfS0_fEv17rocblas_diagonal_iiT6_lPT7_lllS5_lllPT8_llli,@function
_ZL30rocblas_trmm_outofplace_kernelIfLi32ELi2ELb1ELb1ELb1ELb1EPKfS0_fEv17rocblas_diagonal_iiT6_lPT7_lllS5_lllPT8_llli: ; @_ZL30rocblas_trmm_outofplace_kernelIfLi32ELi2ELb1ELb1ELb1ELb1EPKfS0_fEv17rocblas_diagonal_iiT6_lPT7_lllS5_lllPT8_llli
; %bb.0:
	s_load_b512 s[16:31], s[0:1], 0x10
	s_waitcnt lgkmcnt(0)
	s_mul_i32 s2, s15, s19
	s_mul_hi_u32 s3, s15, s18
	s_delay_alu instid0(SALU_CYCLE_1) | instskip(SKIP_1) | instid1(SALU_CYCLE_1)
	s_add_i32 s3, s3, s2
	s_mul_i32 s2, s15, s18
	s_lshl_b64 s[2:3], s[2:3], 2
	s_delay_alu instid0(SALU_CYCLE_1) | instskip(SKIP_4) | instid1(VALU_DEP_1)
	s_add_u32 s2, s16, s2
	s_addc_u32 s3, s17, s3
	s_load_b32 s33, s[2:3], 0x0
	s_waitcnt lgkmcnt(0)
	v_cmp_eq_f32_e64 s2, s33, 0
	s_and_b32 vcc_lo, exec_lo, s2
	s_cbranch_vccnz .LBB10_63
; %bb.1:
	s_load_b128 s[8:11], s[0:1], 0x0
	s_waitcnt lgkmcnt(0)
	s_add_i32 s2, s10, -1
	s_delay_alu instid0(SALU_CYCLE_1) | instskip(NEXT) | instid1(SALU_CYCLE_1)
	s_ashr_i32 s3, s2, 31
	s_lshr_b32 s3, s3, 27
	s_delay_alu instid0(SALU_CYCLE_1) | instskip(NEXT) | instid1(SALU_CYCLE_1)
	s_add_i32 s2, s2, s3
	s_ashr_i32 s11, s2, 5
	s_delay_alu instid0(SALU_CYCLE_1)
	s_cmp_gt_i32 s14, s11
	s_cbranch_scc1 .LBB10_63
; %bb.2:
	s_clause 0x1
	s_load_b128 s[16:19], s[0:1], 0x70
	s_load_b256 s[36:43], s[0:1], 0x50
	s_mul_i32 s3, s15, s27
	s_mul_hi_u32 s4, s15, s26
	s_mul_i32 s2, s15, s26
	s_add_i32 s3, s4, s3
	s_load_b32 s26, s[0:1], 0x8c
	s_lshl_b64 s[4:5], s[2:3], 2
	v_bfe_u32 v26, v0, 10, 10
	s_add_u32 s2, s20, s4
	s_addc_u32 s3, s21, s5
	s_lshl_b64 s[6:7], s[22:23], 2
	v_and_b32_e32 v27, 0x3ff, v0
	s_add_u32 s22, s2, s6
	s_addc_u32 s3, s3, s7
	v_lshlrev_b32_e32 v1, 7, v26
	s_delay_alu instid0(VALU_DEP_2)
	v_dual_mov_b32 v29, 0 :: v_dual_lshlrev_b32 v28, 2, v27
	v_dual_mov_b32 v37, 1.0 :: v_dual_lshlrev_b32 v18, 2, v26
	s_waitcnt lgkmcnt(0)
	s_mul_i32 s1, s15, s19
	s_mul_hi_u32 s2, s15, s18
	s_mul_i32 s0, s15, s18
	s_add_i32 s1, s2, s1
	v_add_nc_u32_e32 v30, v28, v1
	s_lshl_b64 s[0:1], s[0:1], 2
	v_add_nc_u32_e32 v31, 0x1000, v1
	s_add_u32 s2, s40, s0
	s_addc_u32 s12, s41, s1
	s_lshl_b64 s[0:1], s[42:43], 2
	v_add_nc_u32_e32 v38, 0x400, v28
	s_add_u32 s27, s2, s0
	s_addc_u32 s34, s12, s1
	s_lshl_b32 s35, s13, 5
	s_cmp_gt_i32 s13, -1
	v_add_nc_u32_e32 v0, s35, v27
	s_cselect_b32 s40, -1, 0
	s_cmpk_eq_i32 s8, 0x84
	s_mov_b32 s12, s9
	s_cselect_b32 s41, -1, 0
	v_ashrrev_i32_e32 v1, 31, v0
	v_mul_lo_u32 v2, v0, s25
	v_mad_u64_u32 v[3:4], null, v0, s24, 0
	s_ashr_i32 s13, s9, 31
	s_delay_alu instid0(VALU_DEP_3)
	v_mul_lo_u32 v5, v1, s24
	s_ashr_i32 s42, s10, 31
	s_add_u32 s18, s9, -16
	v_cmp_le_i32_e64 s0, s9, v0
	v_cmp_gt_i32_e64 s1, s9, v0
	s_mul_i32 s8, s39, s15
	v_lshlrev_b64 v[8:9], 2, v[0:1]
	s_addc_u32 s19, s13, -1
	v_add3_u32 v4, v4, v2, v5
	v_add_nc_u32_e32 v2, 16, v0
	v_add_nc_u32_e32 v32, v31, v28
	s_delay_alu instid0(VALU_DEP_3) | instskip(SKIP_3) | instid1(VALU_DEP_4)
	v_lshlrev_b64 v[6:7], 2, v[3:4]
	v_add_co_u32 v4, vcc_lo, v0, 16
	v_add_co_ci_u32_e32 v5, vcc_lo, 0, v1, vcc_lo
	v_cmp_gt_i32_e64 s2, s9, v2
	v_add_co_u32 v3, vcc_lo, s22, v6
	v_add_co_ci_u32_e32 v6, vcc_lo, s3, v7, vcc_lo
	s_mul_hi_u32 s9, s38, s15
	s_delay_alu instid0(VALU_DEP_2) | instskip(NEXT) | instid1(VALU_DEP_2)
	v_add_co_u32 v33, vcc_lo, v3, v18
	v_add_co_ci_u32_e32 v34, vcc_lo, 0, v6, vcc_lo
	v_sub_co_u32 v6, vcc_lo, v0, v26
	v_subrev_co_ci_u32_e32 v7, vcc_lo, 0, v1, vcc_lo
	s_add_i32 s9, s9, s8
	s_mul_i32 s8, s38, s15
	s_delay_alu instid0(VALU_DEP_2)
	v_add_co_u32 v10, vcc_lo, v6, 16
	s_lshl_b64 s[8:9], s[8:9], 2
	s_lshl_b64 s[22:23], s[30:31], 2
	v_add_co_ci_u32_e32 v11, vcc_lo, 0, v7, vcc_lo
	s_add_u32 s8, s8, s22
	v_add_co_u32 v12, vcc_lo, v8, 64
	s_addc_u32 s9, s9, s23
	v_add_co_ci_u32_e32 v13, vcc_lo, 0, v9, vcc_lo
	s_add_u32 s8, s28, s8
	s_addc_u32 s15, s29, s9
	s_lshl_b64 s[22:23], s[36:37], 2
	s_lshl_b32 s9, s26, 5
	s_add_u32 s4, s6, s4
	s_addc_u32 s5, s7, s5
	v_mul_lo_u32 v14, s24, v13
	v_mul_lo_u32 v15, s25, v12
	v_mad_u64_u32 v[16:17], null, s24, v12, s[4:5]
	v_add_co_u32 v19, s4, s8, v28
	v_add_co_u32 v12, vcc_lo, v6, -16
	v_add_co_ci_u32_e64 v20, null, s15, 0, s4
	v_add_co_ci_u32_e32 v13, vcc_lo, -1, v7, vcc_lo
	v_add3_u32 v17, v15, v17, v14
	v_add_co_u32 v14, vcc_lo, v19, 64
	s_delay_alu instid0(VALU_DEP_4) | instskip(SKIP_1) | instid1(VALU_DEP_4)
	v_add_co_ci_u32_e32 v15, vcc_lo, 0, v20, vcc_lo
	v_add_co_u32 v18, vcc_lo, v16, v18
	v_add_co_ci_u32_e32 v17, vcc_lo, 0, v17, vcc_lo
	v_cmp_le_i64_e64 s3, s[12:13], v[4:5]
	s_delay_alu instid0(VALU_DEP_3)
	v_add_co_u32 v35, vcc_lo, s20, v18
	v_ashrrev_i32_e32 v3, 31, v2
	v_lshl_add_u32 v16, s14, 5, v26
	v_add_co_ci_u32_e32 v36, vcc_lo, s21, v17, vcc_lo
	s_branch .LBB10_4
.LBB10_3:                               ;   in Loop: Header=BB10_4 Depth=1
	s_or_b32 exec_lo, exec_lo, s4
	v_add_nc_u32_e32 v16, s9, v16
	s_add_i32 s14, s26, s14
	s_delay_alu instid0(SALU_CYCLE_1)
	s_cmp_le_i32 s14, s11
	s_cbranch_scc0 .LBB10_63
.LBB10_4:                               ; =>This Loop Header: Depth=1
                                        ;     Child Loop BB10_7 Depth 2
	v_lshl_add_u32 v39, s14, 5, v26
	v_dual_mov_b32 v43, 0 :: v_dual_mov_b32 v40, 0
	v_mov_b32_e32 v41, 0
	v_mov_b32_e32 v17, 0
	s_delay_alu instid0(VALU_DEP_4)
	v_ashrrev_i32_e32 v42, 31, v39
	s_and_not1_b32 vcc_lo, exec_lo, s40
	s_cbranch_vccnz .LBB10_55
; %bb.5:                                ;   in Loop: Header=BB10_4 Depth=1
	v_ashrrev_i32_e32 v17, 31, v16
	v_mad_u64_u32 v[18:19], null, s22, v16, v[14:15]
	v_mul_lo_u32 v24, s23, v16
	v_mov_b32_e32 v41, 0
	s_delay_alu instid0(VALU_DEP_4) | instskip(SKIP_4) | instid1(VALU_DEP_3)
	v_lshlrev_b64 v[20:21], 2, v[16:17]
	v_mul_lo_u32 v43, s22, v17
	v_dual_mov_b32 v17, 0 :: v_dual_mov_b32 v40, 0
	s_mov_b64 s[20:21], 0
	s_mov_b64 s[24:25], 0
	v_add_co_u32 v25, vcc_lo, v20, 64
	v_add_co_ci_u32_e32 v20, vcc_lo, 0, v21, vcc_lo
	v_sub_co_u32 v22, vcc_lo, s10, v39
	s_delay_alu instid0(VALU_DEP_3) | instskip(NEXT) | instid1(VALU_DEP_3)
	v_mul_lo_u32 v45, s37, v25
	v_mul_lo_u32 v44, s36, v20
	v_mad_u64_u32 v[20:21], null, s36, v25, v[14:15]
	v_sub_co_ci_u32_e32 v23, vcc_lo, s42, v42, vcc_lo
	v_add3_u32 v19, v24, v19, v43
	v_mov_b32_e32 v43, 0
	s_delay_alu instid0(VALU_DEP_3)
	v_cmp_lt_i64_e32 vcc_lo, 0, v[22:23]
	v_cmp_lt_i64_e64 s4, 16, v[22:23]
	v_add3_u32 v21, v45, v21, v44
	s_branch .LBB10_7
.LBB10_6:                               ;   in Loop: Header=BB10_7 Depth=2
	s_or_b32 exec_lo, exec_lo, s6
	s_waitcnt lgkmcnt(0)
	s_waitcnt_vscnt null, 0x0
	s_barrier
	buffer_gl0_inv
	ds_load_2addr_b32 v[64:65], v28 offset1:16
	ds_load_b128 v[22:25], v31
	ds_load_b128 v[44:47], v31 offset:2048
	ds_load_2addr_b32 v[66:67], v28 offset0:32 offset1:48
	ds_load_b128 v[48:51], v31 offset:16
	ds_load_2addr_b32 v[68:69], v28 offset0:64 offset1:80
	ds_load_b128 v[52:55], v31 offset:32
	ds_load_b128 v[56:59], v31 offset:48
	ds_load_2addr_b32 v[70:71], v28 offset0:96 offset1:112
	ds_load_2addr_b32 v[72:73], v28 offset0:128 offset1:144
	ds_load_b128 v[60:63], v31 offset:2064
	ds_load_2addr_b32 v[74:75], v28 offset0:160 offset1:176
	ds_load_2addr_b32 v[76:77], v28 offset0:192 offset1:208
	;; [unrolled: 1-line block ×3, first 2 shown]
	ds_load_2addr_b32 v[80:81], v38 offset1:16
	ds_load_2addr_b32 v[82:83], v38 offset0:32 offset1:48
	s_add_u32 s24, s24, 32
	s_addc_u32 s25, s25, 0
	s_sub_i32 s5, s24, 32
	s_add_u32 s20, s20, 0x80
	s_addc_u32 s21, s21, 0
	s_waitcnt lgkmcnt(13)
	v_dual_fmac_f32 v41, v65, v22 :: v_dual_fmac_f32 v40, v64, v44
	v_fmac_f32_e32 v43, v64, v22
	s_cmp_ge_i32 s5, s35
	s_waitcnt lgkmcnt(12)
	s_delay_alu instid0(VALU_DEP_2) | instskip(SKIP_4) | instid1(VALU_DEP_1)
	v_dual_fmac_f32 v40, v66, v45 :: v_dual_fmac_f32 v17, v65, v44
	ds_load_2addr_b32 v[64:65], v38 offset0:64 offset1:80
	s_waitcnt lgkmcnt(11)
	v_dual_fmac_f32 v40, v68, v46 :: v_dual_fmac_f32 v17, v67, v45
	s_waitcnt lgkmcnt(8)
	v_fmac_f32_e32 v40, v70, v47
	v_fmac_f32_e32 v43, v66, v23
	s_waitcnt lgkmcnt(6)
	s_delay_alu instid0(VALU_DEP_2)
	v_dual_fmac_f32 v17, v69, v46 :: v_dual_fmac_f32 v40, v72, v60
	v_fmac_f32_e32 v41, v67, v23
	ds_load_2addr_b32 v[66:67], v38 offset0:96 offset1:112
	s_waitcnt lgkmcnt(6)
	v_dual_fmac_f32 v40, v74, v61 :: v_dual_fmac_f32 v41, v69, v24
	s_waitcnt lgkmcnt(5)
	s_delay_alu instid0(VALU_DEP_1)
	v_fmac_f32_e32 v40, v76, v62
	v_fmac_f32_e32 v43, v68, v24
	ds_load_2addr_b32 v[68:69], v38 offset0:128 offset1:144
	s_waitcnt lgkmcnt(5)
	v_dual_fmac_f32 v41, v71, v25 :: v_dual_fmac_f32 v40, v78, v63
	v_fmac_f32_e32 v43, v70, v25
	s_delay_alu instid0(VALU_DEP_1) | instskip(NEXT) | instid1(VALU_DEP_1)
	v_fmac_f32_e32 v43, v72, v48
	v_fmac_f32_e32 v43, v74, v49
	s_delay_alu instid0(VALU_DEP_1)
	v_dual_fmac_f32 v43, v76, v50 :: v_dual_add_nc_u32 v76, 0x800, v28
	v_fmac_f32_e32 v17, v71, v47
	ds_load_b128 v[22:25], v31 offset:2080
	ds_load_b128 v[44:47], v31 offset:2096
	ds_load_2addr_b32 v[70:71], v38 offset0:160 offset1:176
	v_fmac_f32_e32 v43, v78, v51
	s_waitcnt lgkmcnt(7)
	s_delay_alu instid0(VALU_DEP_1) | instskip(SKIP_1) | instid1(VALU_DEP_1)
	v_fmac_f32_e32 v43, v80, v52
	s_waitcnt lgkmcnt(6)
	v_fmac_f32_e32 v43, v82, v53
	s_waitcnt lgkmcnt(5)
	s_delay_alu instid0(VALU_DEP_1) | instskip(SKIP_1) | instid1(VALU_DEP_1)
	v_fmac_f32_e32 v43, v64, v54
	s_waitcnt lgkmcnt(2)
	v_dual_fmac_f32 v40, v80, v22 :: v_dual_fmac_f32 v43, v66, v55
	s_delay_alu instid0(VALU_DEP_1) | instskip(SKIP_1) | instid1(VALU_DEP_1)
	v_dual_fmac_f32 v40, v82, v23 :: v_dual_fmac_f32 v43, v68, v56
	s_waitcnt lgkmcnt(0)
	v_dual_fmac_f32 v40, v64, v24 :: v_dual_fmac_f32 v43, v70, v57
	s_delay_alu instid0(VALU_DEP_1) | instskip(SKIP_1) | instid1(VALU_DEP_2)
	v_fmac_f32_e32 v40, v66, v25
	v_add_nc_u32_e32 v66, 0xc00, v28
	v_fmac_f32_e32 v40, v68, v44
	s_delay_alu instid0(VALU_DEP_1)
	v_dual_fmac_f32 v41, v73, v48 :: v_dual_fmac_f32 v40, v70, v45
	v_fmac_f32_e32 v17, v73, v60
	ds_load_2addr_b32 v[72:73], v38 offset0:192 offset1:208
	s_waitcnt lgkmcnt(0)
	v_dual_fmac_f32 v40, v72, v46 :: v_dual_fmac_f32 v17, v75, v61
	v_fmac_f32_e32 v41, v75, v49
	ds_load_2addr_b32 v[74:75], v38 offset0:224 offset1:240
	v_fmac_f32_e32 v43, v72, v58
	v_fmac_f32_e32 v17, v77, v62
	s_delay_alu instid0(VALU_DEP_1) | instskip(NEXT) | instid1(VALU_DEP_1)
	v_fmac_f32_e32 v17, v79, v63
	v_fmac_f32_e32 v17, v81, v22
	s_delay_alu instid0(VALU_DEP_1) | instskip(SKIP_3) | instid1(VALU_DEP_3)
	v_fmac_f32_e32 v17, v83, v23
	s_waitcnt lgkmcnt(0)
	v_dual_fmac_f32 v40, v74, v47 :: v_dual_fmac_f32 v41, v77, v50
	v_fmac_f32_e32 v43, v74, v59
	v_fmac_f32_e32 v17, v65, v24
	s_delay_alu instid0(VALU_DEP_3)
	v_fmac_f32_e32 v41, v79, v51
	ds_load_b128 v[48:51], v31 offset:64
	ds_load_b128 v[60:63], v31 offset:80
	v_fmac_f32_e32 v17, v67, v25
	ds_load_b128 v[22:25], v31 offset:2112
	v_fmac_f32_e32 v17, v69, v44
	s_delay_alu instid0(VALU_DEP_1) | instskip(NEXT) | instid1(VALU_DEP_1)
	v_fmac_f32_e32 v17, v71, v45
	v_fmac_f32_e32 v17, v73, v46
	s_delay_alu instid0(VALU_DEP_1) | instskip(SKIP_2) | instid1(VALU_DEP_1)
	v_fmac_f32_e32 v17, v75, v47
	ds_load_b128 v[44:47], v31 offset:2128
	v_fmac_f32_e32 v41, v81, v52
	v_fmac_f32_e32 v41, v83, v53
	ds_load_2addr_b32 v[52:53], v76 offset1:16
	v_fmac_f32_e32 v41, v65, v54
	ds_load_2addr_b32 v[64:65], v76 offset0:96 offset1:112
	v_fmac_f32_e32 v41, v67, v55
	ds_load_2addr_b32 v[54:55], v76 offset0:32 offset1:48
	v_fmac_f32_e32 v41, v69, v56
	s_delay_alu instid0(VALU_DEP_1)
	v_fmac_f32_e32 v41, v71, v57
	ds_load_2addr_b32 v[56:57], v76 offset0:64 offset1:80
	s_waitcnt lgkmcnt(3)
	v_fmac_f32_e32 v43, v52, v48
	v_fmac_f32_e32 v40, v52, v22
	;; [unrolled: 1-line block ×4, first 2 shown]
	s_delay_alu instid0(VALU_DEP_1)
	v_fmac_f32_e32 v41, v75, v59
	ds_load_2addr_b32 v[58:59], v76 offset0:128 offset1:144
	s_waitcnt lgkmcnt(2)
	v_fmac_f32_e32 v43, v54, v49
	v_fmac_f32_e32 v40, v54, v23
	;; [unrolled: 1-line block ×4, first 2 shown]
	ds_load_2addr_b32 v[52:53], v76 offset0:160 offset1:176
	v_fmac_f32_e32 v41, v55, v49
	s_waitcnt lgkmcnt(2)
	v_fmac_f32_e32 v43, v56, v50
	ds_load_2addr_b32 v[54:55], v76 offset0:192 offset1:208
	v_fmac_f32_e32 v40, v56, v24
	v_fmac_f32_e32 v17, v57, v24
	;; [unrolled: 1-line block ×4, first 2 shown]
	ds_load_2addr_b32 v[56:57], v76 offset0:224 offset1:240
	v_fmac_f32_e32 v40, v64, v25
	v_fmac_f32_e32 v17, v65, v25
	;; [unrolled: 1-line block ×3, first 2 shown]
	s_waitcnt lgkmcnt(3)
	v_fmac_f32_e32 v43, v58, v60
	ds_load_2addr_b32 v[64:65], v66 offset1:16
	ds_load_b128 v[22:25], v31 offset:96
	v_fmac_f32_e32 v40, v58, v44
	v_fmac_f32_e32 v17, v59, v44
	;; [unrolled: 1-line block ×3, first 2 shown]
	ds_load_b128 v[48:51], v31 offset:2144
	s_waitcnt lgkmcnt(5)
	v_fmac_f32_e32 v43, v52, v61
	ds_load_2addr_b32 v[58:59], v66 offset0:32 offset1:48
	v_fmac_f32_e32 v40, v52, v45
	v_fmac_f32_e32 v41, v53, v61
	;; [unrolled: 1-line block ×3, first 2 shown]
	s_waitcnt lgkmcnt(5)
	v_fmac_f32_e32 v43, v54, v62
	ds_load_2addr_b32 v[60:61], v66 offset0:64 offset1:80
	v_fmac_f32_e32 v40, v54, v46
	v_fmac_f32_e32 v41, v55, v62
	;; [unrolled: 1-line block ×3, first 2 shown]
	s_waitcnt lgkmcnt(5)
	v_fmac_f32_e32 v43, v56, v63
	v_fmac_f32_e32 v40, v56, v47
	;; [unrolled: 1-line block ×3, first 2 shown]
	ds_load_2addr_b32 v[62:63], v66 offset0:96 offset1:112
	v_fmac_f32_e32 v17, v57, v47
	ds_load_b128 v[44:47], v31 offset:112
	s_waitcnt lgkmcnt(5)
	v_fmac_f32_e32 v43, v64, v22
	v_fmac_f32_e32 v41, v65, v22
	ds_load_2addr_b32 v[56:57], v66 offset0:128 offset1:144
	ds_load_b128 v[52:55], v31 offset:2160
	s_waitcnt lgkmcnt(6)
	v_fmac_f32_e32 v40, v64, v48
	v_fmac_f32_e32 v17, v65, v48
	s_waitcnt lgkmcnt(5)
	v_fmac_f32_e32 v43, v58, v23
	ds_load_2addr_b32 v[64:65], v66 offset0:160 offset1:176
	v_dual_fmac_f32 v41, v59, v23 :: v_dual_fmac_f32 v40, v58, v49
	v_fmac_f32_e32 v17, v59, v49
	s_waitcnt lgkmcnt(5)
	v_fmac_f32_e32 v43, v60, v24
	ds_load_2addr_b32 v[22:23], v66 offset0:192 offset1:208
	v_dual_fmac_f32 v41, v61, v24 :: v_dual_fmac_f32 v40, v60, v50
	v_fmac_f32_e32 v17, v61, v50
	ds_load_2addr_b32 v[48:49], v66 offset0:224 offset1:240
	s_waitcnt lgkmcnt(0)
	v_fmac_f32_e32 v43, v62, v25
	v_dual_fmac_f32 v41, v63, v25 :: v_dual_fmac_f32 v40, v62, v51
	v_fmac_f32_e32 v17, v63, v51
	s_barrier
	s_delay_alu instid0(VALU_DEP_3) | instskip(NEXT) | instid1(VALU_DEP_3)
	v_fmac_f32_e32 v43, v56, v44
	v_fmac_f32_e32 v41, v57, v44
	;; [unrolled: 1-line block ×4, first 2 shown]
	buffer_gl0_inv
	v_fmac_f32_e32 v43, v64, v45
	v_fmac_f32_e32 v41, v65, v45
	;; [unrolled: 1-line block ×4, first 2 shown]
	s_delay_alu instid0(VALU_DEP_4) | instskip(NEXT) | instid1(VALU_DEP_4)
	v_fmac_f32_e32 v43, v22, v46
	v_fmac_f32_e32 v41, v23, v46
	s_delay_alu instid0(VALU_DEP_4) | instskip(NEXT) | instid1(VALU_DEP_4)
	v_fmac_f32_e32 v40, v22, v54
	v_fmac_f32_e32 v17, v23, v54
	s_delay_alu instid0(VALU_DEP_4) | instskip(NEXT) | instid1(VALU_DEP_4)
	v_fmac_f32_e32 v43, v48, v47
	v_fmac_f32_e32 v41, v49, v47
	s_delay_alu instid0(VALU_DEP_4) | instskip(NEXT) | instid1(VALU_DEP_4)
	v_fmac_f32_e32 v40, v48, v55
	v_fmac_f32_e32 v17, v49, v55
	s_cbranch_scc1 .LBB10_55
.LBB10_7:                               ;   Parent Loop BB10_4 Depth=1
                                        ; =>  This Inner Loop Header: Depth=2
	v_add_co_u32 v24, s5, v26, s24
	s_delay_alu instid0(VALU_DEP_1) | instskip(SKIP_1) | instid1(VALU_DEP_2)
	v_add_co_ci_u32_e64 v25, null, 0, s25, s5
	v_cmp_eq_u64_e64 s7, s[24:25], v[6:7]
	v_cmp_le_i64_e64 s6, s[12:13], v[24:25]
	v_cmp_gt_i64_e64 s5, v[24:25], v[0:1]
	s_delay_alu instid0(VALU_DEP_3) | instskip(NEXT) | instid1(VALU_DEP_1)
	s_and_b32 s28, s41, s7
	s_or_b32 s7, s6, s5
	s_delay_alu instid0(SALU_CYCLE_1) | instskip(SKIP_1) | instid1(VALU_DEP_1)
	s_or_b32 s8, s7, s28
	v_add_co_u32 v22, s7, v33, s20
	v_add_co_ci_u32_e64 v23, s7, s21, v34, s7
	s_or_b32 s7, s0, s8
	s_delay_alu instid0(SALU_CYCLE_1) | instskip(NEXT) | instid1(SALU_CYCLE_1)
	s_xor_b32 s7, s7, -1
	s_and_saveexec_b32 s8, s7
	s_delay_alu instid0(SALU_CYCLE_1)
	s_xor_b32 s7, exec_lo, s8
	s_cbranch_execz .LBB10_9
; %bb.8:                                ;   in Loop: Header=BB10_7 Depth=2
	global_load_b32 v44, v[22:23], off
	s_waitcnt vmcnt(0)
	ds_store_b32 v30, v44
.LBB10_9:                               ;   in Loop: Header=BB10_7 Depth=2
	s_or_saveexec_b32 s7, s7
	s_xor_b32 s15, s28, -1
	s_xor_b32 exec_lo, exec_lo, s7
	s_cbranch_execz .LBB10_15
; %bb.10:                               ;   in Loop: Header=BB10_7 Depth=2
	s_and_saveexec_b32 s8, s15
	s_delay_alu instid0(SALU_CYCLE_1)
	s_xor_b32 s8, exec_lo, s8
	s_cbranch_execz .LBB10_12
; %bb.11:                               ;   in Loop: Header=BB10_7 Depth=2
	ds_store_b32 v30, v29
.LBB10_12:                              ;   in Loop: Header=BB10_7 Depth=2
	s_and_not1_saveexec_b32 s8, s8
	s_cbranch_execz .LBB10_14
; %bb.13:                               ;   in Loop: Header=BB10_7 Depth=2
	ds_store_b32 v30, v37
.LBB10_14:                              ;   in Loop: Header=BB10_7 Depth=2
	s_or_b32 exec_lo, exec_lo, s8
.LBB10_15:                              ;   in Loop: Header=BB10_7 Depth=2
	s_delay_alu instid0(SALU_CYCLE_1) | instskip(SKIP_2) | instid1(VALU_DEP_2)
	s_or_b32 exec_lo, exec_lo, s7
	v_cmp_eq_u64_e64 s7, s[24:25], v[10:11]
	v_cmp_lt_i64_e64 s8, v[4:5], v[24:25]
	s_and_b32 s7, s41, s7
	s_delay_alu instid0(VALU_DEP_1) | instskip(NEXT) | instid1(SALU_CYCLE_1)
	s_or_b32 s6, s6, s8
	s_or_b32 s6, s6, s7
	s_delay_alu instid0(SALU_CYCLE_1) | instskip(NEXT) | instid1(SALU_CYCLE_1)
	s_or_b32 s6, s3, s6
	s_xor_b32 s6, s6, -1
	s_delay_alu instid0(SALU_CYCLE_1) | instskip(NEXT) | instid1(SALU_CYCLE_1)
	s_and_saveexec_b32 s8, s6
	s_xor_b32 s8, exec_lo, s8
	s_cbranch_execz .LBB10_17
; %bb.16:                               ;   in Loop: Header=BB10_7 Depth=2
	v_add_co_u32 v44, s6, v35, s20
	s_delay_alu instid0(VALU_DEP_1)
	v_add_co_ci_u32_e64 v45, s6, s21, v36, s6
	global_load_b32 v44, v[44:45], off
	s_waitcnt vmcnt(0)
	ds_store_b32 v30, v44 offset:64
.LBB10_17:                              ;   in Loop: Header=BB10_7 Depth=2
	s_and_not1_saveexec_b32 s6, s8
	s_cbranch_execz .LBB10_23
; %bb.18:                               ;   in Loop: Header=BB10_7 Depth=2
	s_xor_b32 s7, s7, -1
	s_delay_alu instid0(SALU_CYCLE_1) | instskip(NEXT) | instid1(SALU_CYCLE_1)
	s_and_saveexec_b32 s8, s7
	s_xor_b32 s7, exec_lo, s8
	s_cbranch_execz .LBB10_20
; %bb.19:                               ;   in Loop: Header=BB10_7 Depth=2
	ds_store_b32 v30, v29 offset:64
.LBB10_20:                              ;   in Loop: Header=BB10_7 Depth=2
	s_and_not1_saveexec_b32 s7, s7
	s_cbranch_execz .LBB10_22
; %bb.21:                               ;   in Loop: Header=BB10_7 Depth=2
	ds_store_b32 v30, v37 offset:64
.LBB10_22:                              ;   in Loop: Header=BB10_7 Depth=2
	s_or_b32 exec_lo, exec_lo, s7
.LBB10_23:                              ;   in Loop: Header=BB10_7 Depth=2
	s_delay_alu instid0(SALU_CYCLE_1) | instskip(SKIP_1) | instid1(VALU_DEP_1)
	s_or_b32 exec_lo, exec_lo, s6
	v_add_co_u32 v24, s6, v24, 16
	v_add_co_ci_u32_e64 v25, s6, 0, v25, s6
	v_cmp_eq_u64_e64 s7, s[24:25], v[12:13]
	s_delay_alu instid0(VALU_DEP_2) | instskip(SKIP_1) | instid1(VALU_DEP_3)
	v_cmp_le_i64_e64 s6, s[12:13], v[24:25]
	v_cmp_gt_i64_e64 s8, v[24:25], v[0:1]
	s_and_b32 s29, s41, s7
	s_delay_alu instid0(VALU_DEP_1) | instskip(NEXT) | instid1(SALU_CYCLE_1)
	s_or_b32 s7, s6, s8
	s_or_b32 s7, s7, s29
	s_delay_alu instid0(SALU_CYCLE_1) | instskip(NEXT) | instid1(SALU_CYCLE_1)
	s_or_b32 s7, s0, s7
	s_xor_b32 s7, s7, -1
	s_delay_alu instid0(SALU_CYCLE_1) | instskip(NEXT) | instid1(SALU_CYCLE_1)
	s_and_saveexec_b32 s8, s7
	s_xor_b32 s7, exec_lo, s8
	s_cbranch_execz .LBB10_25
; %bb.24:                               ;   in Loop: Header=BB10_7 Depth=2
	global_load_b32 v22, v[22:23], off offset:64
	s_waitcnt vmcnt(0)
	ds_store_b32 v30, v22 offset:2048
.LBB10_25:                              ;   in Loop: Header=BB10_7 Depth=2
	s_and_not1_saveexec_b32 s7, s7
	s_cbranch_execz .LBB10_31
; %bb.26:                               ;   in Loop: Header=BB10_7 Depth=2
	s_xor_b32 s8, s29, -1
	s_delay_alu instid0(SALU_CYCLE_1) | instskip(NEXT) | instid1(SALU_CYCLE_1)
	s_and_saveexec_b32 s29, s8
	s_xor_b32 s8, exec_lo, s29
	s_cbranch_execz .LBB10_28
; %bb.27:                               ;   in Loop: Header=BB10_7 Depth=2
	ds_store_b32 v30, v29 offset:2048
.LBB10_28:                              ;   in Loop: Header=BB10_7 Depth=2
	s_and_not1_saveexec_b32 s8, s8
	s_cbranch_execz .LBB10_30
; %bb.29:                               ;   in Loop: Header=BB10_7 Depth=2
	ds_store_b32 v30, v37 offset:2048
.LBB10_30:                              ;   in Loop: Header=BB10_7 Depth=2
	s_or_b32 exec_lo, exec_lo, s8
.LBB10_31:                              ;   in Loop: Header=BB10_7 Depth=2
	s_delay_alu instid0(SALU_CYCLE_1) | instskip(SKIP_1) | instid1(SALU_CYCLE_1)
	s_or_b32 exec_lo, exec_lo, s7
	s_or_b32 s5, s6, s5
	s_or_b32 s5, s5, s28
	s_delay_alu instid0(SALU_CYCLE_1) | instskip(NEXT) | instid1(SALU_CYCLE_1)
	s_or_b32 s5, s3, s5
	s_xor_b32 s5, s5, -1
	s_delay_alu instid0(SALU_CYCLE_1) | instskip(NEXT) | instid1(SALU_CYCLE_1)
	s_and_saveexec_b32 s6, s5
	s_xor_b32 s6, exec_lo, s6
	s_cbranch_execz .LBB10_33
; %bb.32:                               ;   in Loop: Header=BB10_7 Depth=2
	v_add_co_u32 v22, s5, v35, s20
	s_delay_alu instid0(VALU_DEP_1)
	v_add_co_ci_u32_e64 v23, s5, s21, v36, s5
	global_load_b32 v22, v[22:23], off offset:64
	s_waitcnt vmcnt(0)
	ds_store_b32 v30, v22 offset:2112
.LBB10_33:                              ;   in Loop: Header=BB10_7 Depth=2
	s_and_not1_saveexec_b32 s5, s6
	s_cbranch_execz .LBB10_39
; %bb.34:                               ;   in Loop: Header=BB10_7 Depth=2
	s_and_saveexec_b32 s6, s15
	s_delay_alu instid0(SALU_CYCLE_1)
	s_xor_b32 s6, exec_lo, s6
	s_cbranch_execz .LBB10_36
; %bb.35:                               ;   in Loop: Header=BB10_7 Depth=2
	ds_store_b32 v30, v29 offset:2112
.LBB10_36:                              ;   in Loop: Header=BB10_7 Depth=2
	s_and_not1_saveexec_b32 s6, s6
	s_cbranch_execz .LBB10_38
; %bb.37:                               ;   in Loop: Header=BB10_7 Depth=2
	ds_store_b32 v30, v37 offset:2112
.LBB10_38:                              ;   in Loop: Header=BB10_7 Depth=2
	s_or_b32 exec_lo, exec_lo, s6
.LBB10_39:                              ;   in Loop: Header=BB10_7 Depth=2
	s_delay_alu instid0(SALU_CYCLE_1) | instskip(SKIP_1) | instid1(VALU_DEP_1)
	s_or_b32 exec_lo, exec_lo, s5
	v_add_co_u32 v24, s5, v27, s24
	v_add_co_ci_u32_e64 v25, null, 0, s25, s5
	s_delay_alu instid0(VALU_DEP_1) | instskip(NEXT) | instid1(VALU_DEP_1)
	v_cmp_gt_i64_e64 s5, s[12:13], v[24:25]
	s_and_b32 s6, vcc_lo, s5
	s_delay_alu instid0(SALU_CYCLE_1) | instskip(NEXT) | instid1(SALU_CYCLE_1)
	s_xor_b32 s6, s6, -1
	s_and_saveexec_b32 s7, s6
	s_delay_alu instid0(SALU_CYCLE_1)
	s_xor_b32 s6, exec_lo, s7
	s_cbranch_execz .LBB10_41
; %bb.40:                               ;   in Loop: Header=BB10_7 Depth=2
	ds_store_b32 v32, v29
.LBB10_41:                              ;   in Loop: Header=BB10_7 Depth=2
	s_or_saveexec_b32 s7, s6
	v_add_co_u32 v22, s6, v18, s20
	s_delay_alu instid0(VALU_DEP_1)
	v_add_co_ci_u32_e64 v23, s6, s21, v19, s6
	s_xor_b32 exec_lo, exec_lo, s7
	s_cbranch_execz .LBB10_43
; %bb.42:                               ;   in Loop: Header=BB10_7 Depth=2
	global_load_b32 v44, v[22:23], off offset:-64
	s_waitcnt vmcnt(0)
	ds_store_b32 v32, v44
.LBB10_43:                              ;   in Loop: Header=BB10_7 Depth=2
	s_or_b32 exec_lo, exec_lo, s7
	v_cmp_gt_i64_e64 s6, s[18:19], v[24:25]
	s_delay_alu instid0(VALU_DEP_1) | instskip(NEXT) | instid1(SALU_CYCLE_1)
	s_and_b32 s7, vcc_lo, s6
	s_xor_b32 s7, s7, -1
	s_delay_alu instid0(SALU_CYCLE_1) | instskip(NEXT) | instid1(SALU_CYCLE_1)
	s_and_saveexec_b32 s8, s7
	s_xor_b32 s7, exec_lo, s8
	s_cbranch_execz .LBB10_45
; %bb.44:                               ;   in Loop: Header=BB10_7 Depth=2
	ds_store_b32 v32, v29 offset:64
                                        ; implicit-def: $vgpr22_vgpr23
.LBB10_45:                              ;   in Loop: Header=BB10_7 Depth=2
	s_and_not1_saveexec_b32 s7, s7
	s_cbranch_execz .LBB10_47
; %bb.46:                               ;   in Loop: Header=BB10_7 Depth=2
	global_load_b32 v22, v[22:23], off
	s_waitcnt vmcnt(0)
	ds_store_b32 v32, v22 offset:64
.LBB10_47:                              ;   in Loop: Header=BB10_7 Depth=2
	s_or_b32 exec_lo, exec_lo, s7
	s_and_b32 s5, s4, s5
	s_delay_alu instid0(SALU_CYCLE_1) | instskip(NEXT) | instid1(SALU_CYCLE_1)
	s_xor_b32 s5, s5, -1
	s_and_saveexec_b32 s7, s5
	s_delay_alu instid0(SALU_CYCLE_1)
	s_xor_b32 s5, exec_lo, s7
	s_cbranch_execz .LBB10_49
; %bb.48:                               ;   in Loop: Header=BB10_7 Depth=2
	ds_store_b32 v32, v29 offset:2048
.LBB10_49:                              ;   in Loop: Header=BB10_7 Depth=2
	s_and_not1_saveexec_b32 s7, s5
	s_cbranch_execz .LBB10_51
; %bb.50:                               ;   in Loop: Header=BB10_7 Depth=2
	v_add_co_u32 v22, s5, v20, s20
	s_delay_alu instid0(VALU_DEP_1)
	v_add_co_ci_u32_e64 v23, s5, s21, v21, s5
	global_load_b32 v22, v[22:23], off offset:-64
	s_waitcnt vmcnt(0)
	ds_store_b32 v32, v22 offset:2048
.LBB10_51:                              ;   in Loop: Header=BB10_7 Depth=2
	s_or_b32 exec_lo, exec_lo, s7
	s_and_b32 s5, s4, s6
	s_delay_alu instid0(SALU_CYCLE_1) | instskip(NEXT) | instid1(SALU_CYCLE_1)
	s_xor_b32 s5, s5, -1
	s_and_saveexec_b32 s6, s5
	s_delay_alu instid0(SALU_CYCLE_1)
	s_xor_b32 s5, exec_lo, s6
	s_cbranch_execz .LBB10_53
; %bb.52:                               ;   in Loop: Header=BB10_7 Depth=2
	ds_store_b32 v32, v29 offset:2112
.LBB10_53:                              ;   in Loop: Header=BB10_7 Depth=2
	s_and_not1_saveexec_b32 s6, s5
	s_cbranch_execz .LBB10_6
; %bb.54:                               ;   in Loop: Header=BB10_7 Depth=2
	v_add_co_u32 v22, s5, v20, s20
	s_delay_alu instid0(VALU_DEP_1)
	v_add_co_ci_u32_e64 v23, s5, s21, v21, s5
	global_load_b32 v22, v[22:23], off
	s_waitcnt vmcnt(0)
	ds_store_b32 v32, v22 offset:2112
	s_branch .LBB10_6
.LBB10_55:                              ;   in Loop: Header=BB10_4 Depth=1
	s_delay_alu instid0(VALU_DEP_1) | instskip(SKIP_3) | instid1(VALU_DEP_2)
	v_mul_lo_u32 v20, v42, s16
	v_mul_lo_u32 v21, v39, s17
	v_mad_u64_u32 v[18:19], null, v39, s16, 0
	v_cmp_gt_i32_e32 vcc_lo, s10, v39
	v_add3_u32 v19, v19, v21, v20
	s_delay_alu instid0(VALU_DEP_1) | instskip(NEXT) | instid1(VALU_DEP_1)
	v_lshlrev_b64 v[18:19], 2, v[18:19]
	v_add_co_u32 v18, s4, s27, v18
	s_delay_alu instid0(VALU_DEP_1) | instskip(SKIP_1) | instid1(SALU_CYCLE_1)
	v_add_co_ci_u32_e64 v19, s4, s34, v19, s4
	s_and_b32 s4, s1, vcc_lo
	s_and_saveexec_b32 s5, s4
	s_cbranch_execz .LBB10_57
; %bb.56:                               ;   in Loop: Header=BB10_4 Depth=1
	v_add_co_u32 v20, s4, v18, v8
	s_delay_alu instid0(VALU_DEP_1)
	v_add_co_ci_u32_e64 v21, s4, v19, v9, s4
	global_load_b32 v22, v[20:21], off
	s_waitcnt vmcnt(0)
	v_fmac_f32_e32 v22, s33, v43
	global_store_b32 v[20:21], v22, off
.LBB10_57:                              ;   in Loop: Header=BB10_4 Depth=1
	s_or_b32 exec_lo, exec_lo, s5
	s_and_b32 s5, s2, vcc_lo
	s_delay_alu instid0(SALU_CYCLE_1)
	s_and_saveexec_b32 s4, s5
	s_cbranch_execz .LBB10_59
; %bb.58:                               ;   in Loop: Header=BB10_4 Depth=1
	v_lshlrev_b64 v[20:21], 2, v[2:3]
	s_delay_alu instid0(VALU_DEP_1) | instskip(NEXT) | instid1(VALU_DEP_2)
	v_add_co_u32 v18, vcc_lo, v18, v20
	v_add_co_ci_u32_e32 v19, vcc_lo, v19, v21, vcc_lo
	global_load_b32 v20, v[18:19], off
	s_waitcnt vmcnt(0)
	v_fmac_f32_e32 v20, s33, v41
	global_store_b32 v[18:19], v20, off
.LBB10_59:                              ;   in Loop: Header=BB10_4 Depth=1
	s_or_b32 exec_lo, exec_lo, s4
	v_add_nc_u32_e32 v20, 16, v39
	s_delay_alu instid0(VALU_DEP_1) | instskip(SKIP_3) | instid1(VALU_DEP_4)
	v_ashrrev_i32_e32 v21, 31, v20
	v_mul_lo_u32 v22, v20, s17
	v_mad_u64_u32 v[18:19], null, v20, s16, 0
	v_cmp_gt_i32_e32 vcc_lo, s10, v20
	v_mul_lo_u32 v21, v21, s16
	s_delay_alu instid0(VALU_DEP_1) | instskip(NEXT) | instid1(VALU_DEP_1)
	v_add3_u32 v19, v19, v22, v21
	v_lshlrev_b64 v[18:19], 2, v[18:19]
	s_delay_alu instid0(VALU_DEP_1) | instskip(NEXT) | instid1(VALU_DEP_1)
	v_add_co_u32 v18, s4, s27, v18
	v_add_co_ci_u32_e64 v19, s4, s34, v19, s4
	s_and_b32 s4, s1, vcc_lo
	s_delay_alu instid0(SALU_CYCLE_1)
	s_and_saveexec_b32 s5, s4
	s_cbranch_execz .LBB10_61
; %bb.60:                               ;   in Loop: Header=BB10_4 Depth=1
	v_add_co_u32 v20, s4, v18, v8
	s_delay_alu instid0(VALU_DEP_1)
	v_add_co_ci_u32_e64 v21, s4, v19, v9, s4
	global_load_b32 v22, v[20:21], off
	s_waitcnt vmcnt(0)
	v_fmac_f32_e32 v22, s33, v40
	global_store_b32 v[20:21], v22, off
.LBB10_61:                              ;   in Loop: Header=BB10_4 Depth=1
	s_or_b32 exec_lo, exec_lo, s5
	s_and_b32 s5, s2, vcc_lo
	s_delay_alu instid0(SALU_CYCLE_1)
	s_and_saveexec_b32 s4, s5
	s_cbranch_execz .LBB10_3
; %bb.62:                               ;   in Loop: Header=BB10_4 Depth=1
	v_lshlrev_b64 v[20:21], 2, v[2:3]
	s_delay_alu instid0(VALU_DEP_1) | instskip(NEXT) | instid1(VALU_DEP_2)
	v_add_co_u32 v18, vcc_lo, v18, v20
	v_add_co_ci_u32_e32 v19, vcc_lo, v19, v21, vcc_lo
	global_load_b32 v20, v[18:19], off
	s_waitcnt vmcnt(0)
	v_fmac_f32_e32 v20, s33, v17
	global_store_b32 v[18:19], v20, off
	s_branch .LBB10_3
.LBB10_63:
	s_nop 0
	s_sendmsg sendmsg(MSG_DEALLOC_VGPRS)
	s_endpgm
	.section	.rodata,"a",@progbits
	.p2align	6, 0x0
	.amdhsa_kernel _ZL30rocblas_trmm_outofplace_kernelIfLi32ELi2ELb1ELb1ELb1ELb1EPKfS0_fEv17rocblas_diagonal_iiT6_lPT7_lllS5_lllPT8_llli
		.amdhsa_group_segment_fixed_size 8192
		.amdhsa_private_segment_fixed_size 0
		.amdhsa_kernarg_size 392
		.amdhsa_user_sgpr_count 13
		.amdhsa_user_sgpr_dispatch_ptr 0
		.amdhsa_user_sgpr_queue_ptr 0
		.amdhsa_user_sgpr_kernarg_segment_ptr 1
		.amdhsa_user_sgpr_dispatch_id 0
		.amdhsa_user_sgpr_private_segment_size 0
		.amdhsa_wavefront_size32 1
		.amdhsa_uses_dynamic_stack 0
		.amdhsa_enable_private_segment 0
		.amdhsa_system_sgpr_workgroup_id_x 1
		.amdhsa_system_sgpr_workgroup_id_y 1
		.amdhsa_system_sgpr_workgroup_id_z 1
		.amdhsa_system_sgpr_workgroup_info 0
		.amdhsa_system_vgpr_workitem_id 1
		.amdhsa_next_free_vgpr 84
		.amdhsa_next_free_sgpr 44
		.amdhsa_reserve_vcc 1
		.amdhsa_float_round_mode_32 0
		.amdhsa_float_round_mode_16_64 0
		.amdhsa_float_denorm_mode_32 3
		.amdhsa_float_denorm_mode_16_64 3
		.amdhsa_dx10_clamp 1
		.amdhsa_ieee_mode 1
		.amdhsa_fp16_overflow 0
		.amdhsa_workgroup_processor_mode 1
		.amdhsa_memory_ordered 1
		.amdhsa_forward_progress 0
		.amdhsa_shared_vgpr_count 0
		.amdhsa_exception_fp_ieee_invalid_op 0
		.amdhsa_exception_fp_denorm_src 0
		.amdhsa_exception_fp_ieee_div_zero 0
		.amdhsa_exception_fp_ieee_overflow 0
		.amdhsa_exception_fp_ieee_underflow 0
		.amdhsa_exception_fp_ieee_inexact 0
		.amdhsa_exception_int_div_zero 0
	.end_amdhsa_kernel
	.section	.text._ZL30rocblas_trmm_outofplace_kernelIfLi32ELi2ELb1ELb1ELb1ELb1EPKfS0_fEv17rocblas_diagonal_iiT6_lPT7_lllS5_lllPT8_llli,"axG",@progbits,_ZL30rocblas_trmm_outofplace_kernelIfLi32ELi2ELb1ELb1ELb1ELb1EPKfS0_fEv17rocblas_diagonal_iiT6_lPT7_lllS5_lllPT8_llli,comdat
.Lfunc_end10:
	.size	_ZL30rocblas_trmm_outofplace_kernelIfLi32ELi2ELb1ELb1ELb1ELb1EPKfS0_fEv17rocblas_diagonal_iiT6_lPT7_lllS5_lllPT8_llli, .Lfunc_end10-_ZL30rocblas_trmm_outofplace_kernelIfLi32ELi2ELb1ELb1ELb1ELb1EPKfS0_fEv17rocblas_diagonal_iiT6_lPT7_lllS5_lllPT8_llli
                                        ; -- End function
	.section	.AMDGPU.csdata,"",@progbits
; Kernel info:
; codeLenInByte = 3556
; NumSgprs: 46
; NumVgprs: 84
; ScratchSize: 0
; MemoryBound: 0
; FloatMode: 240
; IeeeMode: 1
; LDSByteSize: 8192 bytes/workgroup (compile time only)
; SGPRBlocks: 5
; VGPRBlocks: 10
; NumSGPRsForWavesPerEU: 46
; NumVGPRsForWavesPerEU: 84
; Occupancy: 16
; WaveLimiterHint : 0
; COMPUTE_PGM_RSRC2:SCRATCH_EN: 0
; COMPUTE_PGM_RSRC2:USER_SGPR: 13
; COMPUTE_PGM_RSRC2:TRAP_HANDLER: 0
; COMPUTE_PGM_RSRC2:TGID_X_EN: 1
; COMPUTE_PGM_RSRC2:TGID_Y_EN: 1
; COMPUTE_PGM_RSRC2:TGID_Z_EN: 1
; COMPUTE_PGM_RSRC2:TIDIG_COMP_CNT: 1
	.section	.text._ZL30rocblas_trmm_outofplace_kernelIfLi32ELi2ELb1ELb1ELb1ELb1EfKffEv17rocblas_diagonal_iiT6_lPT7_lllS4_lllPT8_llli,"axG",@progbits,_ZL30rocblas_trmm_outofplace_kernelIfLi32ELi2ELb1ELb1ELb1ELb1EfKffEv17rocblas_diagonal_iiT6_lPT7_lllS4_lllPT8_llli,comdat
	.globl	_ZL30rocblas_trmm_outofplace_kernelIfLi32ELi2ELb1ELb1ELb1ELb1EfKffEv17rocblas_diagonal_iiT6_lPT7_lllS4_lllPT8_llli ; -- Begin function _ZL30rocblas_trmm_outofplace_kernelIfLi32ELi2ELb1ELb1ELb1ELb1EfKffEv17rocblas_diagonal_iiT6_lPT7_lllS4_lllPT8_llli
	.p2align	8
	.type	_ZL30rocblas_trmm_outofplace_kernelIfLi32ELi2ELb1ELb1ELb1ELb1EfKffEv17rocblas_diagonal_iiT6_lPT7_lllS4_lllPT8_llli,@function
_ZL30rocblas_trmm_outofplace_kernelIfLi32ELi2ELb1ELb1ELb1ELb1EfKffEv17rocblas_diagonal_iiT6_lPT7_lllS4_lllPT8_llli: ; @_ZL30rocblas_trmm_outofplace_kernelIfLi32ELi2ELb1ELb1ELb1ELb1EfKffEv17rocblas_diagonal_iiT6_lPT7_lllS4_lllPT8_llli
; %bb.0:
	s_load_b128 s[8:11], s[0:1], 0x0
	s_waitcnt lgkmcnt(0)
	v_cmp_eq_f32_e64 s2, s11, 0
	s_delay_alu instid0(VALU_DEP_1)
	s_and_b32 vcc_lo, exec_lo, s2
	s_cbranch_vccnz .LBB11_63
; %bb.1:
	s_add_i32 s2, s10, -1
	s_delay_alu instid0(SALU_CYCLE_1) | instskip(NEXT) | instid1(SALU_CYCLE_1)
	s_ashr_i32 s3, s2, 31
	s_lshr_b32 s3, s3, 27
	s_delay_alu instid0(SALU_CYCLE_1) | instskip(NEXT) | instid1(SALU_CYCLE_1)
	s_add_i32 s2, s2, s3
	s_ashr_i32 s33, s2, 5
	s_delay_alu instid0(SALU_CYCLE_1)
	s_cmp_gt_i32 s14, s33
	s_cbranch_scc1 .LBB11_63
; %bb.2:
	s_clause 0x2
	s_load_b512 s[16:31], s[0:1], 0x18
	s_load_b256 s[36:43], s[0:1], 0x58
	s_load_b32 s34, s[0:1], 0x84
	v_bfe_u32 v26, v0, 10, 10
	v_dual_mov_b32 v27, 0 :: v_dual_and_b32 v28, 0x3ff, v0
	v_mov_b32_e32 v37, 1.0
	s_mov_b32 s12, s9
	s_delay_alu instid0(VALU_DEP_3) | instskip(SKIP_2) | instid1(VALU_DEP_3)
	v_lshlrev_b32_e32 v0, 7, v26
	v_lshlrev_b32_e32 v18, 2, v26
	;; [unrolled: 1-line block ×3, first 2 shown]
	v_add_nc_u32_e32 v30, 0x1000, v0
	s_delay_alu instid0(VALU_DEP_2) | instskip(SKIP_1) | instid1(VALU_DEP_3)
	v_add_nc_u32_e32 v31, v29, v0
	v_add_nc_u32_e32 v38, 0x400, v29
	;; [unrolled: 1-line block ×3, first 2 shown]
	s_waitcnt lgkmcnt(0)
	s_mul_i32 s1, s15, s23
	s_mul_hi_u32 s2, s15, s22
	s_mul_i32 s0, s15, s22
	s_add_i32 s1, s2, s1
	s_mul_i32 s2, s15, s43
	s_lshl_b64 s[4:5], s[0:1], 2
	s_mul_hi_u32 s1, s15, s42
	s_add_u32 s3, s16, s4
	s_addc_u32 s22, s17, s5
	s_lshl_b64 s[6:7], s[18:19], 2
	s_mul_i32 s0, s15, s42
	s_add_u32 s3, s3, s6
	s_addc_u32 s42, s22, s7
	s_add_i32 s1, s1, s2
	s_mul_hi_u32 s23, s30, s15
	s_lshl_b64 s[0:1], s[0:1], 2
	s_mul_i32 s22, s30, s15
	s_add_u32 s2, s36, s0
	s_addc_u32 s18, s37, s1
	s_lshl_b64 s[0:1], s[38:39], 2
	s_delay_alu instid0(SALU_CYCLE_1)
	s_add_u32 s35, s2, s0
	s_addc_u32 s36, s18, s1
	s_lshl_b32 s37, s13, 5
	s_cmp_gt_i32 s13, -1
	v_add_nc_u32_e32 v0, s37, v28
	s_mul_i32 s2, s31, s15
	s_cselect_b32 s31, -1, 0
	s_cmpk_eq_i32 s8, 0x84
	s_delay_alu instid0(VALU_DEP_1) | instskip(SKIP_3) | instid1(VALU_DEP_3)
	v_ashrrev_i32_e32 v1, 31, v0
	v_mul_lo_u32 v2, v0, s21
	v_mad_u64_u32 v[3:4], null, v0, s20, 0
	s_cselect_b32 s15, -1, 0
	v_mul_lo_u32 v5, v1, s20
	s_ashr_i32 s13, s9, 31
	s_ashr_i32 s30, s10, 31
	v_lshlrev_b64 v[8:9], 2, v[0:1]
	s_add_u32 s18, s9, -16
	s_addc_u32 s19, s13, -1
	s_add_i32 s23, s23, s2
	v_cmp_le_i32_e64 s0, s9, v0
	v_add3_u32 v4, v4, v2, v5
	v_add_nc_u32_e32 v2, 16, v0
	v_cmp_gt_i32_e64 s1, s9, v0
	s_delay_alu instid0(VALU_DEP_3) | instskip(SKIP_3) | instid1(VALU_DEP_4)
	v_lshlrev_b64 v[6:7], 2, v[3:4]
	v_add_co_u32 v4, vcc_lo, v0, 16
	v_add_co_ci_u32_e32 v5, vcc_lo, 0, v1, vcc_lo
	v_cmp_gt_i32_e64 s2, s9, v2
	v_add_co_u32 v6, vcc_lo, s3, v6
	v_add_co_ci_u32_e32 v7, vcc_lo, s42, v7, vcc_lo
	s_lshl_b64 s[8:9], s[22:23], 2
	s_delay_alu instid0(VALU_DEP_2) | instskip(NEXT) | instid1(VALU_DEP_2)
	v_add_co_u32 v33, vcc_lo, v6, v18
	v_add_co_ci_u32_e32 v34, vcc_lo, 0, v7, vcc_lo
	v_sub_co_u32 v6, vcc_lo, v0, v26
	v_subrev_co_ci_u32_e32 v7, vcc_lo, 0, v1, vcc_lo
	s_lshl_b64 s[22:23], s[26:27], 2
	s_delay_alu instid0(VALU_DEP_2) | instskip(NEXT) | instid1(VALU_DEP_2)
	v_add_co_u32 v10, vcc_lo, v6, 16
	v_add_co_ci_u32_e32 v11, vcc_lo, 0, v7, vcc_lo
	s_add_u32 s8, s8, s22
	v_add_co_u32 v12, vcc_lo, v8, 64
	s_addc_u32 s9, s9, s23
	v_add_co_ci_u32_e32 v13, vcc_lo, 0, v9, vcc_lo
	s_add_u32 s8, s24, s8
	s_addc_u32 s24, s25, s9
	s_lshl_b64 s[22:23], s[28:29], 2
	s_lshl_b32 s9, s34, 5
	s_add_u32 s4, s6, s4
	s_addc_u32 s5, s7, s5
	v_mul_lo_u32 v14, s20, v13
	v_mul_lo_u32 v15, s21, v12
	v_mad_u64_u32 v[16:17], null, s20, v12, s[4:5]
	v_add_co_u32 v19, s4, s8, v29
	v_add_co_u32 v12, vcc_lo, v6, -16
	v_add_co_ci_u32_e64 v20, null, s24, 0, s4
	v_add_co_ci_u32_e32 v13, vcc_lo, -1, v7, vcc_lo
	v_add3_u32 v17, v15, v17, v14
	v_add_co_u32 v14, vcc_lo, v19, 64
	s_delay_alu instid0(VALU_DEP_4) | instskip(SKIP_1) | instid1(VALU_DEP_4)
	v_add_co_ci_u32_e32 v15, vcc_lo, 0, v20, vcc_lo
	v_add_co_u32 v18, vcc_lo, v16, v18
	v_add_co_ci_u32_e32 v17, vcc_lo, 0, v17, vcc_lo
	v_cmp_le_i64_e64 s3, s[12:13], v[4:5]
	s_delay_alu instid0(VALU_DEP_3)
	v_add_co_u32 v35, vcc_lo, s16, v18
	v_ashrrev_i32_e32 v3, 31, v2
	v_lshl_add_u32 v16, s14, 5, v26
	v_add_co_ci_u32_e32 v36, vcc_lo, s17, v17, vcc_lo
	s_mov_b32 s24, s10
	s_branch .LBB11_4
.LBB11_3:                               ;   in Loop: Header=BB11_4 Depth=1
	s_or_b32 exec_lo, exec_lo, s4
	v_add_nc_u32_e32 v16, s9, v16
	s_add_i32 s14, s34, s14
	s_delay_alu instid0(SALU_CYCLE_1)
	s_cmp_le_i32 s14, s33
	s_cbranch_scc0 .LBB11_63
.LBB11_4:                               ; =>This Loop Header: Depth=1
                                        ;     Child Loop BB11_7 Depth 2
	v_lshl_add_u32 v39, s14, 5, v26
	v_dual_mov_b32 v43, 0 :: v_dual_mov_b32 v40, 0
	v_mov_b32_e32 v41, 0
	v_mov_b32_e32 v17, 0
	s_delay_alu instid0(VALU_DEP_4)
	v_ashrrev_i32_e32 v42, 31, v39
	s_and_not1_b32 vcc_lo, exec_lo, s31
	s_cbranch_vccnz .LBB11_55
; %bb.5:                                ;   in Loop: Header=BB11_4 Depth=1
	v_ashrrev_i32_e32 v17, 31, v16
	v_mad_u64_u32 v[18:19], null, s22, v16, v[14:15]
	v_mul_lo_u32 v24, s23, v16
	v_mov_b32_e32 v41, 0
	s_delay_alu instid0(VALU_DEP_4) | instskip(SKIP_4) | instid1(VALU_DEP_3)
	v_lshlrev_b64 v[20:21], 2, v[16:17]
	v_mul_lo_u32 v43, s22, v17
	v_dual_mov_b32 v17, 0 :: v_dual_mov_b32 v40, 0
	s_mov_b64 s[16:17], 0
	s_mov_b64 s[20:21], 0
	v_add_co_u32 v25, vcc_lo, v20, 64
	v_add_co_ci_u32_e32 v20, vcc_lo, 0, v21, vcc_lo
	v_sub_co_u32 v22, vcc_lo, s24, v39
	s_delay_alu instid0(VALU_DEP_3) | instskip(NEXT) | instid1(VALU_DEP_3)
	v_mul_lo_u32 v45, s29, v25
	v_mul_lo_u32 v44, s28, v20
	v_mad_u64_u32 v[20:21], null, s28, v25, v[14:15]
	v_sub_co_ci_u32_e32 v23, vcc_lo, s30, v42, vcc_lo
	v_add3_u32 v19, v24, v19, v43
	v_mov_b32_e32 v43, 0
	s_delay_alu instid0(VALU_DEP_3)
	v_cmp_lt_i64_e32 vcc_lo, 0, v[22:23]
	v_cmp_lt_i64_e64 s4, 16, v[22:23]
	v_add3_u32 v21, v45, v21, v44
	s_branch .LBB11_7
.LBB11_6:                               ;   in Loop: Header=BB11_7 Depth=2
	s_or_b32 exec_lo, exec_lo, s6
	s_waitcnt lgkmcnt(0)
	s_waitcnt_vscnt null, 0x0
	s_barrier
	buffer_gl0_inv
	ds_load_2addr_b32 v[64:65], v29 offset1:16
	ds_load_b128 v[22:25], v30
	ds_load_b128 v[44:47], v30 offset:2048
	ds_load_2addr_b32 v[66:67], v29 offset0:32 offset1:48
	ds_load_b128 v[48:51], v30 offset:16
	ds_load_2addr_b32 v[68:69], v29 offset0:64 offset1:80
	ds_load_b128 v[52:55], v30 offset:32
	ds_load_b128 v[56:59], v30 offset:48
	ds_load_2addr_b32 v[70:71], v29 offset0:96 offset1:112
	ds_load_2addr_b32 v[72:73], v29 offset0:128 offset1:144
	ds_load_b128 v[60:63], v30 offset:2064
	ds_load_2addr_b32 v[74:75], v29 offset0:160 offset1:176
	ds_load_2addr_b32 v[76:77], v29 offset0:192 offset1:208
	;; [unrolled: 1-line block ×3, first 2 shown]
	ds_load_2addr_b32 v[80:81], v38 offset1:16
	ds_load_2addr_b32 v[82:83], v38 offset0:32 offset1:48
	s_add_u32 s20, s20, 32
	s_addc_u32 s21, s21, 0
	s_sub_i32 s5, s20, 32
	s_add_u32 s16, s16, 0x80
	s_addc_u32 s17, s17, 0
	s_waitcnt lgkmcnt(13)
	v_dual_fmac_f32 v41, v65, v22 :: v_dual_fmac_f32 v40, v64, v44
	v_fmac_f32_e32 v43, v64, v22
	s_cmp_ge_i32 s5, s37
	s_waitcnt lgkmcnt(12)
	s_delay_alu instid0(VALU_DEP_2) | instskip(SKIP_4) | instid1(VALU_DEP_1)
	v_dual_fmac_f32 v40, v66, v45 :: v_dual_fmac_f32 v17, v65, v44
	ds_load_2addr_b32 v[64:65], v38 offset0:64 offset1:80
	s_waitcnt lgkmcnt(11)
	v_dual_fmac_f32 v40, v68, v46 :: v_dual_fmac_f32 v17, v67, v45
	s_waitcnt lgkmcnt(8)
	v_fmac_f32_e32 v40, v70, v47
	v_fmac_f32_e32 v43, v66, v23
	s_waitcnt lgkmcnt(6)
	s_delay_alu instid0(VALU_DEP_2)
	v_dual_fmac_f32 v17, v69, v46 :: v_dual_fmac_f32 v40, v72, v60
	v_fmac_f32_e32 v41, v67, v23
	ds_load_2addr_b32 v[66:67], v38 offset0:96 offset1:112
	s_waitcnt lgkmcnt(6)
	v_dual_fmac_f32 v40, v74, v61 :: v_dual_fmac_f32 v41, v69, v24
	s_waitcnt lgkmcnt(5)
	s_delay_alu instid0(VALU_DEP_1)
	v_fmac_f32_e32 v40, v76, v62
	v_fmac_f32_e32 v43, v68, v24
	ds_load_2addr_b32 v[68:69], v38 offset0:128 offset1:144
	s_waitcnt lgkmcnt(5)
	v_dual_fmac_f32 v41, v71, v25 :: v_dual_fmac_f32 v40, v78, v63
	v_fmac_f32_e32 v43, v70, v25
	s_delay_alu instid0(VALU_DEP_1) | instskip(NEXT) | instid1(VALU_DEP_1)
	v_fmac_f32_e32 v43, v72, v48
	v_fmac_f32_e32 v43, v74, v49
	s_delay_alu instid0(VALU_DEP_1)
	v_dual_fmac_f32 v43, v76, v50 :: v_dual_add_nc_u32 v76, 0x800, v29
	v_fmac_f32_e32 v17, v71, v47
	ds_load_b128 v[22:25], v30 offset:2080
	ds_load_b128 v[44:47], v30 offset:2096
	ds_load_2addr_b32 v[70:71], v38 offset0:160 offset1:176
	v_fmac_f32_e32 v43, v78, v51
	s_waitcnt lgkmcnt(7)
	s_delay_alu instid0(VALU_DEP_1) | instskip(SKIP_1) | instid1(VALU_DEP_1)
	v_fmac_f32_e32 v43, v80, v52
	s_waitcnt lgkmcnt(6)
	v_fmac_f32_e32 v43, v82, v53
	s_waitcnt lgkmcnt(5)
	s_delay_alu instid0(VALU_DEP_1) | instskip(SKIP_1) | instid1(VALU_DEP_1)
	v_fmac_f32_e32 v43, v64, v54
	s_waitcnt lgkmcnt(2)
	v_dual_fmac_f32 v40, v80, v22 :: v_dual_fmac_f32 v43, v66, v55
	s_delay_alu instid0(VALU_DEP_1) | instskip(SKIP_1) | instid1(VALU_DEP_1)
	v_dual_fmac_f32 v40, v82, v23 :: v_dual_fmac_f32 v43, v68, v56
	s_waitcnt lgkmcnt(0)
	v_dual_fmac_f32 v40, v64, v24 :: v_dual_fmac_f32 v43, v70, v57
	s_delay_alu instid0(VALU_DEP_1) | instskip(SKIP_1) | instid1(VALU_DEP_2)
	v_fmac_f32_e32 v40, v66, v25
	v_add_nc_u32_e32 v66, 0xc00, v29
	v_fmac_f32_e32 v40, v68, v44
	s_delay_alu instid0(VALU_DEP_1)
	v_dual_fmac_f32 v41, v73, v48 :: v_dual_fmac_f32 v40, v70, v45
	v_fmac_f32_e32 v17, v73, v60
	ds_load_2addr_b32 v[72:73], v38 offset0:192 offset1:208
	s_waitcnt lgkmcnt(0)
	v_dual_fmac_f32 v40, v72, v46 :: v_dual_fmac_f32 v17, v75, v61
	v_fmac_f32_e32 v41, v75, v49
	ds_load_2addr_b32 v[74:75], v38 offset0:224 offset1:240
	v_fmac_f32_e32 v43, v72, v58
	v_fmac_f32_e32 v17, v77, v62
	s_delay_alu instid0(VALU_DEP_1) | instskip(NEXT) | instid1(VALU_DEP_1)
	v_fmac_f32_e32 v17, v79, v63
	v_fmac_f32_e32 v17, v81, v22
	s_delay_alu instid0(VALU_DEP_1) | instskip(SKIP_3) | instid1(VALU_DEP_3)
	v_fmac_f32_e32 v17, v83, v23
	s_waitcnt lgkmcnt(0)
	v_dual_fmac_f32 v40, v74, v47 :: v_dual_fmac_f32 v41, v77, v50
	v_fmac_f32_e32 v43, v74, v59
	v_fmac_f32_e32 v17, v65, v24
	s_delay_alu instid0(VALU_DEP_3)
	v_fmac_f32_e32 v41, v79, v51
	ds_load_b128 v[48:51], v30 offset:64
	ds_load_b128 v[60:63], v30 offset:80
	v_fmac_f32_e32 v17, v67, v25
	ds_load_b128 v[22:25], v30 offset:2112
	v_fmac_f32_e32 v17, v69, v44
	s_delay_alu instid0(VALU_DEP_1) | instskip(NEXT) | instid1(VALU_DEP_1)
	v_fmac_f32_e32 v17, v71, v45
	v_fmac_f32_e32 v17, v73, v46
	s_delay_alu instid0(VALU_DEP_1) | instskip(SKIP_2) | instid1(VALU_DEP_1)
	v_fmac_f32_e32 v17, v75, v47
	ds_load_b128 v[44:47], v30 offset:2128
	v_fmac_f32_e32 v41, v81, v52
	v_fmac_f32_e32 v41, v83, v53
	ds_load_2addr_b32 v[52:53], v76 offset1:16
	v_fmac_f32_e32 v41, v65, v54
	ds_load_2addr_b32 v[64:65], v76 offset0:96 offset1:112
	v_fmac_f32_e32 v41, v67, v55
	ds_load_2addr_b32 v[54:55], v76 offset0:32 offset1:48
	v_fmac_f32_e32 v41, v69, v56
	s_delay_alu instid0(VALU_DEP_1)
	v_fmac_f32_e32 v41, v71, v57
	ds_load_2addr_b32 v[56:57], v76 offset0:64 offset1:80
	s_waitcnt lgkmcnt(3)
	v_fmac_f32_e32 v43, v52, v48
	v_fmac_f32_e32 v40, v52, v22
	;; [unrolled: 1-line block ×4, first 2 shown]
	s_delay_alu instid0(VALU_DEP_1)
	v_fmac_f32_e32 v41, v75, v59
	ds_load_2addr_b32 v[58:59], v76 offset0:128 offset1:144
	s_waitcnt lgkmcnt(2)
	v_fmac_f32_e32 v43, v54, v49
	v_fmac_f32_e32 v40, v54, v23
	;; [unrolled: 1-line block ×4, first 2 shown]
	ds_load_2addr_b32 v[52:53], v76 offset0:160 offset1:176
	v_fmac_f32_e32 v41, v55, v49
	s_waitcnt lgkmcnt(2)
	v_fmac_f32_e32 v43, v56, v50
	ds_load_2addr_b32 v[54:55], v76 offset0:192 offset1:208
	v_fmac_f32_e32 v40, v56, v24
	v_fmac_f32_e32 v17, v57, v24
	;; [unrolled: 1-line block ×4, first 2 shown]
	ds_load_2addr_b32 v[56:57], v76 offset0:224 offset1:240
	v_fmac_f32_e32 v40, v64, v25
	v_fmac_f32_e32 v17, v65, v25
	;; [unrolled: 1-line block ×3, first 2 shown]
	s_waitcnt lgkmcnt(3)
	v_fmac_f32_e32 v43, v58, v60
	ds_load_2addr_b32 v[64:65], v66 offset1:16
	ds_load_b128 v[22:25], v30 offset:96
	v_fmac_f32_e32 v40, v58, v44
	v_fmac_f32_e32 v17, v59, v44
	;; [unrolled: 1-line block ×3, first 2 shown]
	ds_load_b128 v[48:51], v30 offset:2144
	s_waitcnt lgkmcnt(5)
	v_fmac_f32_e32 v43, v52, v61
	ds_load_2addr_b32 v[58:59], v66 offset0:32 offset1:48
	v_fmac_f32_e32 v40, v52, v45
	v_fmac_f32_e32 v41, v53, v61
	;; [unrolled: 1-line block ×3, first 2 shown]
	s_waitcnt lgkmcnt(5)
	v_fmac_f32_e32 v43, v54, v62
	ds_load_2addr_b32 v[60:61], v66 offset0:64 offset1:80
	v_fmac_f32_e32 v40, v54, v46
	v_fmac_f32_e32 v41, v55, v62
	;; [unrolled: 1-line block ×3, first 2 shown]
	s_waitcnt lgkmcnt(5)
	v_fmac_f32_e32 v43, v56, v63
	v_fmac_f32_e32 v40, v56, v47
	;; [unrolled: 1-line block ×3, first 2 shown]
	ds_load_2addr_b32 v[62:63], v66 offset0:96 offset1:112
	v_fmac_f32_e32 v17, v57, v47
	ds_load_b128 v[44:47], v30 offset:112
	s_waitcnt lgkmcnt(5)
	v_fmac_f32_e32 v43, v64, v22
	v_fmac_f32_e32 v41, v65, v22
	ds_load_2addr_b32 v[56:57], v66 offset0:128 offset1:144
	ds_load_b128 v[52:55], v30 offset:2160
	s_waitcnt lgkmcnt(6)
	v_fmac_f32_e32 v40, v64, v48
	v_fmac_f32_e32 v17, v65, v48
	s_waitcnt lgkmcnt(5)
	v_fmac_f32_e32 v43, v58, v23
	ds_load_2addr_b32 v[64:65], v66 offset0:160 offset1:176
	v_dual_fmac_f32 v41, v59, v23 :: v_dual_fmac_f32 v40, v58, v49
	v_fmac_f32_e32 v17, v59, v49
	s_waitcnt lgkmcnt(5)
	v_fmac_f32_e32 v43, v60, v24
	ds_load_2addr_b32 v[22:23], v66 offset0:192 offset1:208
	v_dual_fmac_f32 v41, v61, v24 :: v_dual_fmac_f32 v40, v60, v50
	v_fmac_f32_e32 v17, v61, v50
	ds_load_2addr_b32 v[48:49], v66 offset0:224 offset1:240
	s_waitcnt lgkmcnt(0)
	v_fmac_f32_e32 v43, v62, v25
	v_dual_fmac_f32 v41, v63, v25 :: v_dual_fmac_f32 v40, v62, v51
	v_fmac_f32_e32 v17, v63, v51
	s_barrier
	s_delay_alu instid0(VALU_DEP_3) | instskip(NEXT) | instid1(VALU_DEP_3)
	v_fmac_f32_e32 v43, v56, v44
	v_fmac_f32_e32 v41, v57, v44
	v_fmac_f32_e32 v40, v56, v52
	v_fmac_f32_e32 v17, v57, v52
	buffer_gl0_inv
	v_fmac_f32_e32 v43, v64, v45
	v_fmac_f32_e32 v41, v65, v45
	v_fmac_f32_e32 v40, v64, v53
	v_fmac_f32_e32 v17, v65, v53
	s_delay_alu instid0(VALU_DEP_4) | instskip(NEXT) | instid1(VALU_DEP_4)
	v_fmac_f32_e32 v43, v22, v46
	v_fmac_f32_e32 v41, v23, v46
	s_delay_alu instid0(VALU_DEP_4) | instskip(NEXT) | instid1(VALU_DEP_4)
	v_fmac_f32_e32 v40, v22, v54
	v_fmac_f32_e32 v17, v23, v54
	s_delay_alu instid0(VALU_DEP_4) | instskip(NEXT) | instid1(VALU_DEP_4)
	v_fmac_f32_e32 v43, v48, v47
	v_fmac_f32_e32 v41, v49, v47
	s_delay_alu instid0(VALU_DEP_4) | instskip(NEXT) | instid1(VALU_DEP_4)
	v_fmac_f32_e32 v40, v48, v55
	v_fmac_f32_e32 v17, v49, v55
	s_cbranch_scc1 .LBB11_55
.LBB11_7:                               ;   Parent Loop BB11_4 Depth=1
                                        ; =>  This Inner Loop Header: Depth=2
	v_add_co_u32 v24, s5, v26, s20
	s_delay_alu instid0(VALU_DEP_1) | instskip(SKIP_1) | instid1(VALU_DEP_2)
	v_add_co_ci_u32_e64 v25, null, 0, s21, s5
	v_cmp_eq_u64_e64 s7, s[20:21], v[6:7]
	v_cmp_le_i64_e64 s6, s[12:13], v[24:25]
	v_cmp_gt_i64_e64 s5, v[24:25], v[0:1]
	s_delay_alu instid0(VALU_DEP_3) | instskip(NEXT) | instid1(VALU_DEP_1)
	s_and_b32 s26, s15, s7
	s_or_b32 s7, s6, s5
	s_delay_alu instid0(SALU_CYCLE_1) | instskip(SKIP_1) | instid1(VALU_DEP_1)
	s_or_b32 s8, s7, s26
	v_add_co_u32 v22, s7, v33, s16
	v_add_co_ci_u32_e64 v23, s7, s17, v34, s7
	s_or_b32 s7, s0, s8
	s_delay_alu instid0(SALU_CYCLE_1) | instskip(NEXT) | instid1(SALU_CYCLE_1)
	s_xor_b32 s7, s7, -1
	s_and_saveexec_b32 s8, s7
	s_delay_alu instid0(SALU_CYCLE_1)
	s_xor_b32 s7, exec_lo, s8
	s_cbranch_execz .LBB11_9
; %bb.8:                                ;   in Loop: Header=BB11_7 Depth=2
	global_load_b32 v44, v[22:23], off
	s_waitcnt vmcnt(0)
	ds_store_b32 v31, v44
.LBB11_9:                               ;   in Loop: Header=BB11_7 Depth=2
	s_or_saveexec_b32 s7, s7
	s_xor_b32 s25, s26, -1
	s_xor_b32 exec_lo, exec_lo, s7
	s_cbranch_execz .LBB11_15
; %bb.10:                               ;   in Loop: Header=BB11_7 Depth=2
	s_and_saveexec_b32 s8, s25
	s_delay_alu instid0(SALU_CYCLE_1)
	s_xor_b32 s8, exec_lo, s8
	s_cbranch_execz .LBB11_12
; %bb.11:                               ;   in Loop: Header=BB11_7 Depth=2
	ds_store_b32 v31, v27
.LBB11_12:                              ;   in Loop: Header=BB11_7 Depth=2
	s_and_not1_saveexec_b32 s8, s8
	s_cbranch_execz .LBB11_14
; %bb.13:                               ;   in Loop: Header=BB11_7 Depth=2
	ds_store_b32 v31, v37
.LBB11_14:                              ;   in Loop: Header=BB11_7 Depth=2
	s_or_b32 exec_lo, exec_lo, s8
.LBB11_15:                              ;   in Loop: Header=BB11_7 Depth=2
	s_delay_alu instid0(SALU_CYCLE_1) | instskip(SKIP_2) | instid1(VALU_DEP_2)
	s_or_b32 exec_lo, exec_lo, s7
	v_cmp_eq_u64_e64 s7, s[20:21], v[10:11]
	v_cmp_lt_i64_e64 s8, v[4:5], v[24:25]
	s_and_b32 s7, s15, s7
	s_delay_alu instid0(VALU_DEP_1) | instskip(NEXT) | instid1(SALU_CYCLE_1)
	s_or_b32 s6, s6, s8
	s_or_b32 s6, s6, s7
	s_delay_alu instid0(SALU_CYCLE_1) | instskip(NEXT) | instid1(SALU_CYCLE_1)
	s_or_b32 s6, s3, s6
	s_xor_b32 s6, s6, -1
	s_delay_alu instid0(SALU_CYCLE_1) | instskip(NEXT) | instid1(SALU_CYCLE_1)
	s_and_saveexec_b32 s8, s6
	s_xor_b32 s8, exec_lo, s8
	s_cbranch_execz .LBB11_17
; %bb.16:                               ;   in Loop: Header=BB11_7 Depth=2
	v_add_co_u32 v44, s6, v35, s16
	s_delay_alu instid0(VALU_DEP_1)
	v_add_co_ci_u32_e64 v45, s6, s17, v36, s6
	global_load_b32 v44, v[44:45], off
	s_waitcnt vmcnt(0)
	ds_store_b32 v31, v44 offset:64
.LBB11_17:                              ;   in Loop: Header=BB11_7 Depth=2
	s_and_not1_saveexec_b32 s6, s8
	s_cbranch_execz .LBB11_23
; %bb.18:                               ;   in Loop: Header=BB11_7 Depth=2
	s_xor_b32 s7, s7, -1
	s_delay_alu instid0(SALU_CYCLE_1) | instskip(NEXT) | instid1(SALU_CYCLE_1)
	s_and_saveexec_b32 s8, s7
	s_xor_b32 s7, exec_lo, s8
	s_cbranch_execz .LBB11_20
; %bb.19:                               ;   in Loop: Header=BB11_7 Depth=2
	ds_store_b32 v31, v27 offset:64
.LBB11_20:                              ;   in Loop: Header=BB11_7 Depth=2
	s_and_not1_saveexec_b32 s7, s7
	s_cbranch_execz .LBB11_22
; %bb.21:                               ;   in Loop: Header=BB11_7 Depth=2
	ds_store_b32 v31, v37 offset:64
.LBB11_22:                              ;   in Loop: Header=BB11_7 Depth=2
	s_or_b32 exec_lo, exec_lo, s7
.LBB11_23:                              ;   in Loop: Header=BB11_7 Depth=2
	s_delay_alu instid0(SALU_CYCLE_1) | instskip(SKIP_1) | instid1(VALU_DEP_1)
	s_or_b32 exec_lo, exec_lo, s6
	v_add_co_u32 v24, s6, v24, 16
	v_add_co_ci_u32_e64 v25, s6, 0, v25, s6
	v_cmp_eq_u64_e64 s7, s[20:21], v[12:13]
	s_delay_alu instid0(VALU_DEP_2) | instskip(SKIP_1) | instid1(VALU_DEP_3)
	v_cmp_le_i64_e64 s6, s[12:13], v[24:25]
	v_cmp_gt_i64_e64 s8, v[24:25], v[0:1]
	s_and_b32 s27, s15, s7
	s_delay_alu instid0(VALU_DEP_1) | instskip(NEXT) | instid1(SALU_CYCLE_1)
	s_or_b32 s7, s6, s8
	s_or_b32 s7, s7, s27
	s_delay_alu instid0(SALU_CYCLE_1) | instskip(NEXT) | instid1(SALU_CYCLE_1)
	s_or_b32 s7, s0, s7
	s_xor_b32 s7, s7, -1
	s_delay_alu instid0(SALU_CYCLE_1) | instskip(NEXT) | instid1(SALU_CYCLE_1)
	s_and_saveexec_b32 s8, s7
	s_xor_b32 s7, exec_lo, s8
	s_cbranch_execz .LBB11_25
; %bb.24:                               ;   in Loop: Header=BB11_7 Depth=2
	global_load_b32 v22, v[22:23], off offset:64
	s_waitcnt vmcnt(0)
	ds_store_b32 v31, v22 offset:2048
.LBB11_25:                              ;   in Loop: Header=BB11_7 Depth=2
	s_and_not1_saveexec_b32 s7, s7
	s_cbranch_execz .LBB11_31
; %bb.26:                               ;   in Loop: Header=BB11_7 Depth=2
	s_xor_b32 s8, s27, -1
	s_delay_alu instid0(SALU_CYCLE_1) | instskip(NEXT) | instid1(SALU_CYCLE_1)
	s_and_saveexec_b32 s27, s8
	s_xor_b32 s8, exec_lo, s27
	s_cbranch_execz .LBB11_28
; %bb.27:                               ;   in Loop: Header=BB11_7 Depth=2
	ds_store_b32 v31, v27 offset:2048
.LBB11_28:                              ;   in Loop: Header=BB11_7 Depth=2
	s_and_not1_saveexec_b32 s8, s8
	s_cbranch_execz .LBB11_30
; %bb.29:                               ;   in Loop: Header=BB11_7 Depth=2
	ds_store_b32 v31, v37 offset:2048
.LBB11_30:                              ;   in Loop: Header=BB11_7 Depth=2
	s_or_b32 exec_lo, exec_lo, s8
.LBB11_31:                              ;   in Loop: Header=BB11_7 Depth=2
	s_delay_alu instid0(SALU_CYCLE_1) | instskip(SKIP_1) | instid1(SALU_CYCLE_1)
	s_or_b32 exec_lo, exec_lo, s7
	s_or_b32 s5, s6, s5
	s_or_b32 s5, s5, s26
	s_delay_alu instid0(SALU_CYCLE_1) | instskip(NEXT) | instid1(SALU_CYCLE_1)
	s_or_b32 s5, s3, s5
	s_xor_b32 s5, s5, -1
	s_delay_alu instid0(SALU_CYCLE_1) | instskip(NEXT) | instid1(SALU_CYCLE_1)
	s_and_saveexec_b32 s6, s5
	s_xor_b32 s6, exec_lo, s6
	s_cbranch_execz .LBB11_33
; %bb.32:                               ;   in Loop: Header=BB11_7 Depth=2
	v_add_co_u32 v22, s5, v35, s16
	s_delay_alu instid0(VALU_DEP_1)
	v_add_co_ci_u32_e64 v23, s5, s17, v36, s5
	global_load_b32 v22, v[22:23], off offset:64
	s_waitcnt vmcnt(0)
	ds_store_b32 v31, v22 offset:2112
.LBB11_33:                              ;   in Loop: Header=BB11_7 Depth=2
	s_and_not1_saveexec_b32 s5, s6
	s_cbranch_execz .LBB11_39
; %bb.34:                               ;   in Loop: Header=BB11_7 Depth=2
	s_and_saveexec_b32 s6, s25
	s_delay_alu instid0(SALU_CYCLE_1)
	s_xor_b32 s6, exec_lo, s6
	s_cbranch_execz .LBB11_36
; %bb.35:                               ;   in Loop: Header=BB11_7 Depth=2
	ds_store_b32 v31, v27 offset:2112
.LBB11_36:                              ;   in Loop: Header=BB11_7 Depth=2
	s_and_not1_saveexec_b32 s6, s6
	s_cbranch_execz .LBB11_38
; %bb.37:                               ;   in Loop: Header=BB11_7 Depth=2
	ds_store_b32 v31, v37 offset:2112
.LBB11_38:                              ;   in Loop: Header=BB11_7 Depth=2
	s_or_b32 exec_lo, exec_lo, s6
.LBB11_39:                              ;   in Loop: Header=BB11_7 Depth=2
	s_delay_alu instid0(SALU_CYCLE_1) | instskip(SKIP_1) | instid1(VALU_DEP_1)
	s_or_b32 exec_lo, exec_lo, s5
	v_add_co_u32 v24, s5, v28, s20
	v_add_co_ci_u32_e64 v25, null, 0, s21, s5
	s_delay_alu instid0(VALU_DEP_1) | instskip(NEXT) | instid1(VALU_DEP_1)
	v_cmp_gt_i64_e64 s5, s[12:13], v[24:25]
	s_and_b32 s6, vcc_lo, s5
	s_delay_alu instid0(SALU_CYCLE_1) | instskip(NEXT) | instid1(SALU_CYCLE_1)
	s_xor_b32 s6, s6, -1
	s_and_saveexec_b32 s7, s6
	s_delay_alu instid0(SALU_CYCLE_1)
	s_xor_b32 s6, exec_lo, s7
	s_cbranch_execz .LBB11_41
; %bb.40:                               ;   in Loop: Header=BB11_7 Depth=2
	ds_store_b32 v32, v27
.LBB11_41:                              ;   in Loop: Header=BB11_7 Depth=2
	s_or_saveexec_b32 s7, s6
	v_add_co_u32 v22, s6, v18, s16
	s_delay_alu instid0(VALU_DEP_1)
	v_add_co_ci_u32_e64 v23, s6, s17, v19, s6
	s_xor_b32 exec_lo, exec_lo, s7
	s_cbranch_execz .LBB11_43
; %bb.42:                               ;   in Loop: Header=BB11_7 Depth=2
	global_load_b32 v44, v[22:23], off offset:-64
	s_waitcnt vmcnt(0)
	ds_store_b32 v32, v44
.LBB11_43:                              ;   in Loop: Header=BB11_7 Depth=2
	s_or_b32 exec_lo, exec_lo, s7
	v_cmp_gt_i64_e64 s6, s[18:19], v[24:25]
	s_delay_alu instid0(VALU_DEP_1) | instskip(NEXT) | instid1(SALU_CYCLE_1)
	s_and_b32 s7, vcc_lo, s6
	s_xor_b32 s7, s7, -1
	s_delay_alu instid0(SALU_CYCLE_1) | instskip(NEXT) | instid1(SALU_CYCLE_1)
	s_and_saveexec_b32 s8, s7
	s_xor_b32 s7, exec_lo, s8
	s_cbranch_execz .LBB11_45
; %bb.44:                               ;   in Loop: Header=BB11_7 Depth=2
	ds_store_b32 v32, v27 offset:64
                                        ; implicit-def: $vgpr22_vgpr23
.LBB11_45:                              ;   in Loop: Header=BB11_7 Depth=2
	s_and_not1_saveexec_b32 s7, s7
	s_cbranch_execz .LBB11_47
; %bb.46:                               ;   in Loop: Header=BB11_7 Depth=2
	global_load_b32 v22, v[22:23], off
	s_waitcnt vmcnt(0)
	ds_store_b32 v32, v22 offset:64
.LBB11_47:                              ;   in Loop: Header=BB11_7 Depth=2
	s_or_b32 exec_lo, exec_lo, s7
	s_and_b32 s5, s4, s5
	s_delay_alu instid0(SALU_CYCLE_1) | instskip(NEXT) | instid1(SALU_CYCLE_1)
	s_xor_b32 s5, s5, -1
	s_and_saveexec_b32 s7, s5
	s_delay_alu instid0(SALU_CYCLE_1)
	s_xor_b32 s5, exec_lo, s7
	s_cbranch_execz .LBB11_49
; %bb.48:                               ;   in Loop: Header=BB11_7 Depth=2
	ds_store_b32 v32, v27 offset:2048
.LBB11_49:                              ;   in Loop: Header=BB11_7 Depth=2
	s_and_not1_saveexec_b32 s7, s5
	s_cbranch_execz .LBB11_51
; %bb.50:                               ;   in Loop: Header=BB11_7 Depth=2
	v_add_co_u32 v22, s5, v20, s16
	s_delay_alu instid0(VALU_DEP_1)
	v_add_co_ci_u32_e64 v23, s5, s17, v21, s5
	global_load_b32 v22, v[22:23], off offset:-64
	s_waitcnt vmcnt(0)
	ds_store_b32 v32, v22 offset:2048
.LBB11_51:                              ;   in Loop: Header=BB11_7 Depth=2
	s_or_b32 exec_lo, exec_lo, s7
	s_and_b32 s5, s4, s6
	s_delay_alu instid0(SALU_CYCLE_1) | instskip(NEXT) | instid1(SALU_CYCLE_1)
	s_xor_b32 s5, s5, -1
	s_and_saveexec_b32 s6, s5
	s_delay_alu instid0(SALU_CYCLE_1)
	s_xor_b32 s5, exec_lo, s6
	s_cbranch_execz .LBB11_53
; %bb.52:                               ;   in Loop: Header=BB11_7 Depth=2
	ds_store_b32 v32, v27 offset:2112
.LBB11_53:                              ;   in Loop: Header=BB11_7 Depth=2
	s_and_not1_saveexec_b32 s6, s5
	s_cbranch_execz .LBB11_6
; %bb.54:                               ;   in Loop: Header=BB11_7 Depth=2
	v_add_co_u32 v22, s5, v20, s16
	s_delay_alu instid0(VALU_DEP_1)
	v_add_co_ci_u32_e64 v23, s5, s17, v21, s5
	global_load_b32 v22, v[22:23], off
	s_waitcnt vmcnt(0)
	ds_store_b32 v32, v22 offset:2112
	s_branch .LBB11_6
.LBB11_55:                              ;   in Loop: Header=BB11_4 Depth=1
	s_delay_alu instid0(VALU_DEP_1) | instskip(SKIP_3) | instid1(VALU_DEP_2)
	v_mul_lo_u32 v20, v42, s40
	v_mul_lo_u32 v21, v39, s41
	v_mad_u64_u32 v[18:19], null, v39, s40, 0
	v_cmp_gt_i32_e32 vcc_lo, s10, v39
	v_add3_u32 v19, v19, v21, v20
	s_delay_alu instid0(VALU_DEP_1) | instskip(NEXT) | instid1(VALU_DEP_1)
	v_lshlrev_b64 v[18:19], 2, v[18:19]
	v_add_co_u32 v18, s4, s35, v18
	s_delay_alu instid0(VALU_DEP_1) | instskip(SKIP_1) | instid1(SALU_CYCLE_1)
	v_add_co_ci_u32_e64 v19, s4, s36, v19, s4
	s_and_b32 s4, s1, vcc_lo
	s_and_saveexec_b32 s5, s4
	s_cbranch_execz .LBB11_57
; %bb.56:                               ;   in Loop: Header=BB11_4 Depth=1
	v_add_co_u32 v20, s4, v18, v8
	s_delay_alu instid0(VALU_DEP_1)
	v_add_co_ci_u32_e64 v21, s4, v19, v9, s4
	global_load_b32 v22, v[20:21], off
	s_waitcnt vmcnt(0)
	v_fmac_f32_e32 v22, s11, v43
	global_store_b32 v[20:21], v22, off
.LBB11_57:                              ;   in Loop: Header=BB11_4 Depth=1
	s_or_b32 exec_lo, exec_lo, s5
	s_and_b32 s5, s2, vcc_lo
	s_delay_alu instid0(SALU_CYCLE_1)
	s_and_saveexec_b32 s4, s5
	s_cbranch_execz .LBB11_59
; %bb.58:                               ;   in Loop: Header=BB11_4 Depth=1
	v_lshlrev_b64 v[20:21], 2, v[2:3]
	s_delay_alu instid0(VALU_DEP_1) | instskip(NEXT) | instid1(VALU_DEP_2)
	v_add_co_u32 v18, vcc_lo, v18, v20
	v_add_co_ci_u32_e32 v19, vcc_lo, v19, v21, vcc_lo
	global_load_b32 v20, v[18:19], off
	s_waitcnt vmcnt(0)
	v_fmac_f32_e32 v20, s11, v41
	global_store_b32 v[18:19], v20, off
.LBB11_59:                              ;   in Loop: Header=BB11_4 Depth=1
	s_or_b32 exec_lo, exec_lo, s4
	v_add_nc_u32_e32 v20, 16, v39
	s_delay_alu instid0(VALU_DEP_1) | instskip(SKIP_3) | instid1(VALU_DEP_4)
	v_ashrrev_i32_e32 v21, 31, v20
	v_mul_lo_u32 v22, v20, s41
	v_mad_u64_u32 v[18:19], null, v20, s40, 0
	v_cmp_gt_i32_e32 vcc_lo, s10, v20
	v_mul_lo_u32 v21, v21, s40
	s_delay_alu instid0(VALU_DEP_1) | instskip(NEXT) | instid1(VALU_DEP_1)
	v_add3_u32 v19, v19, v22, v21
	v_lshlrev_b64 v[18:19], 2, v[18:19]
	s_delay_alu instid0(VALU_DEP_1) | instskip(NEXT) | instid1(VALU_DEP_1)
	v_add_co_u32 v18, s4, s35, v18
	v_add_co_ci_u32_e64 v19, s4, s36, v19, s4
	s_and_b32 s4, s1, vcc_lo
	s_delay_alu instid0(SALU_CYCLE_1)
	s_and_saveexec_b32 s5, s4
	s_cbranch_execz .LBB11_61
; %bb.60:                               ;   in Loop: Header=BB11_4 Depth=1
	v_add_co_u32 v20, s4, v18, v8
	s_delay_alu instid0(VALU_DEP_1)
	v_add_co_ci_u32_e64 v21, s4, v19, v9, s4
	global_load_b32 v22, v[20:21], off
	s_waitcnt vmcnt(0)
	v_fmac_f32_e32 v22, s11, v40
	global_store_b32 v[20:21], v22, off
.LBB11_61:                              ;   in Loop: Header=BB11_4 Depth=1
	s_or_b32 exec_lo, exec_lo, s5
	s_and_b32 s5, s2, vcc_lo
	s_delay_alu instid0(SALU_CYCLE_1)
	s_and_saveexec_b32 s4, s5
	s_cbranch_execz .LBB11_3
; %bb.62:                               ;   in Loop: Header=BB11_4 Depth=1
	v_lshlrev_b64 v[20:21], 2, v[2:3]
	s_delay_alu instid0(VALU_DEP_1) | instskip(NEXT) | instid1(VALU_DEP_2)
	v_add_co_u32 v18, vcc_lo, v18, v20
	v_add_co_ci_u32_e32 v19, vcc_lo, v19, v21, vcc_lo
	global_load_b32 v20, v[18:19], off
	s_waitcnt vmcnt(0)
	v_fmac_f32_e32 v20, s11, v17
	global_store_b32 v[18:19], v20, off
	s_branch .LBB11_3
.LBB11_63:
	s_nop 0
	s_sendmsg sendmsg(MSG_DEALLOC_VGPRS)
	s_endpgm
	.section	.rodata,"a",@progbits
	.p2align	6, 0x0
	.amdhsa_kernel _ZL30rocblas_trmm_outofplace_kernelIfLi32ELi2ELb1ELb1ELb1ELb1EfKffEv17rocblas_diagonal_iiT6_lPT7_lllS4_lllPT8_llli
		.amdhsa_group_segment_fixed_size 8192
		.amdhsa_private_segment_fixed_size 0
		.amdhsa_kernarg_size 384
		.amdhsa_user_sgpr_count 13
		.amdhsa_user_sgpr_dispatch_ptr 0
		.amdhsa_user_sgpr_queue_ptr 0
		.amdhsa_user_sgpr_kernarg_segment_ptr 1
		.amdhsa_user_sgpr_dispatch_id 0
		.amdhsa_user_sgpr_private_segment_size 0
		.amdhsa_wavefront_size32 1
		.amdhsa_uses_dynamic_stack 0
		.amdhsa_enable_private_segment 0
		.amdhsa_system_sgpr_workgroup_id_x 1
		.amdhsa_system_sgpr_workgroup_id_y 1
		.amdhsa_system_sgpr_workgroup_id_z 1
		.amdhsa_system_sgpr_workgroup_info 0
		.amdhsa_system_vgpr_workitem_id 1
		.amdhsa_next_free_vgpr 84
		.amdhsa_next_free_sgpr 44
		.amdhsa_reserve_vcc 1
		.amdhsa_float_round_mode_32 0
		.amdhsa_float_round_mode_16_64 0
		.amdhsa_float_denorm_mode_32 3
		.amdhsa_float_denorm_mode_16_64 3
		.amdhsa_dx10_clamp 1
		.amdhsa_ieee_mode 1
		.amdhsa_fp16_overflow 0
		.amdhsa_workgroup_processor_mode 1
		.amdhsa_memory_ordered 1
		.amdhsa_forward_progress 0
		.amdhsa_shared_vgpr_count 0
		.amdhsa_exception_fp_ieee_invalid_op 0
		.amdhsa_exception_fp_denorm_src 0
		.amdhsa_exception_fp_ieee_div_zero 0
		.amdhsa_exception_fp_ieee_overflow 0
		.amdhsa_exception_fp_ieee_underflow 0
		.amdhsa_exception_fp_ieee_inexact 0
		.amdhsa_exception_int_div_zero 0
	.end_amdhsa_kernel
	.section	.text._ZL30rocblas_trmm_outofplace_kernelIfLi32ELi2ELb1ELb1ELb1ELb1EfKffEv17rocblas_diagonal_iiT6_lPT7_lllS4_lllPT8_llli,"axG",@progbits,_ZL30rocblas_trmm_outofplace_kernelIfLi32ELi2ELb1ELb1ELb1ELb1EfKffEv17rocblas_diagonal_iiT6_lPT7_lllS4_lllPT8_llli,comdat
.Lfunc_end11:
	.size	_ZL30rocblas_trmm_outofplace_kernelIfLi32ELi2ELb1ELb1ELb1ELb1EfKffEv17rocblas_diagonal_iiT6_lPT7_lllS4_lllPT8_llli, .Lfunc_end11-_ZL30rocblas_trmm_outofplace_kernelIfLi32ELi2ELb1ELb1ELb1ELb1EfKffEv17rocblas_diagonal_iiT6_lPT7_lllS4_lllPT8_llli
                                        ; -- End function
	.section	.AMDGPU.csdata,"",@progbits
; Kernel info:
; codeLenInByte = 3512
; NumSgprs: 46
; NumVgprs: 84
; ScratchSize: 0
; MemoryBound: 0
; FloatMode: 240
; IeeeMode: 1
; LDSByteSize: 8192 bytes/workgroup (compile time only)
; SGPRBlocks: 5
; VGPRBlocks: 10
; NumSGPRsForWavesPerEU: 46
; NumVGPRsForWavesPerEU: 84
; Occupancy: 16
; WaveLimiterHint : 0
; COMPUTE_PGM_RSRC2:SCRATCH_EN: 0
; COMPUTE_PGM_RSRC2:USER_SGPR: 13
; COMPUTE_PGM_RSRC2:TRAP_HANDLER: 0
; COMPUTE_PGM_RSRC2:TGID_X_EN: 1
; COMPUTE_PGM_RSRC2:TGID_Y_EN: 1
; COMPUTE_PGM_RSRC2:TGID_Z_EN: 1
; COMPUTE_PGM_RSRC2:TIDIG_COMP_CNT: 1
	.section	.text._ZL30rocblas_trmm_outofplace_kernelIfLi32ELi2ELb0ELb0ELb0ELb0EPKfS0_fEv17rocblas_diagonal_iiT6_lPT7_lllS5_lllPT8_llli,"axG",@progbits,_ZL30rocblas_trmm_outofplace_kernelIfLi32ELi2ELb0ELb0ELb0ELb0EPKfS0_fEv17rocblas_diagonal_iiT6_lPT7_lllS5_lllPT8_llli,comdat
	.globl	_ZL30rocblas_trmm_outofplace_kernelIfLi32ELi2ELb0ELb0ELb0ELb0EPKfS0_fEv17rocblas_diagonal_iiT6_lPT7_lllS5_lllPT8_llli ; -- Begin function _ZL30rocblas_trmm_outofplace_kernelIfLi32ELi2ELb0ELb0ELb0ELb0EPKfS0_fEv17rocblas_diagonal_iiT6_lPT7_lllS5_lllPT8_llli
	.p2align	8
	.type	_ZL30rocblas_trmm_outofplace_kernelIfLi32ELi2ELb0ELb0ELb0ELb0EPKfS0_fEv17rocblas_diagonal_iiT6_lPT7_lllS5_lllPT8_llli,@function
_ZL30rocblas_trmm_outofplace_kernelIfLi32ELi2ELb0ELb0ELb0ELb0EPKfS0_fEv17rocblas_diagonal_iiT6_lPT7_lllS5_lllPT8_llli: ; @_ZL30rocblas_trmm_outofplace_kernelIfLi32ELi2ELb0ELb0ELb0ELb0EPKfS0_fEv17rocblas_diagonal_iiT6_lPT7_lllS5_lllPT8_llli
; %bb.0:
	s_load_b512 s[16:31], s[0:1], 0x10
	s_waitcnt lgkmcnt(0)
	s_mul_i32 s2, s15, s19
	s_mul_hi_u32 s3, s15, s18
	s_delay_alu instid0(SALU_CYCLE_1) | instskip(SKIP_1) | instid1(SALU_CYCLE_1)
	s_add_i32 s3, s3, s2
	s_mul_i32 s2, s15, s18
	s_lshl_b64 s[2:3], s[2:3], 2
	s_delay_alu instid0(SALU_CYCLE_1) | instskip(SKIP_4) | instid1(VALU_DEP_1)
	s_add_u32 s2, s16, s2
	s_addc_u32 s3, s17, s3
	s_load_b32 s33, s[2:3], 0x0
	s_waitcnt lgkmcnt(0)
	v_cmp_eq_f32_e64 s2, s33, 0
	s_and_b32 vcc_lo, exec_lo, s2
	s_cbranch_vccnz .LBB12_63
; %bb.1:
	s_load_b128 s[8:11], s[0:1], 0x0
	s_waitcnt lgkmcnt(0)
	s_add_i32 s2, s10, -1
	s_delay_alu instid0(SALU_CYCLE_1) | instskip(NEXT) | instid1(SALU_CYCLE_1)
	s_ashr_i32 s3, s2, 31
	s_lshr_b32 s3, s3, 27
	s_delay_alu instid0(SALU_CYCLE_1) | instskip(NEXT) | instid1(SALU_CYCLE_1)
	s_add_i32 s2, s2, s3
	s_ashr_i32 s34, s2, 5
	s_delay_alu instid0(SALU_CYCLE_1)
	s_cmp_gt_i32 s14, s34
	s_cbranch_scc1 .LBB12_63
; %bb.2:
	s_clause 0x2
	s_load_b256 s[36:43], s[0:1], 0x50
	s_load_b128 s[16:19], s[0:1], 0x70
	s_load_b32 s35, s[0:1], 0x8c
	v_dual_mov_b32 v41, 0 :: v_dual_and_b32 v10, 0x3ff, v0
	v_bfe_u32 v36, v0, 10, 10
	v_mov_b32_e32 v42, 1.0
	s_delay_alu instid0(VALU_DEP_3) | instskip(SKIP_1) | instid1(VALU_DEP_4)
	v_lshl_add_u32 v6, s13, 5, v10
	v_lshlrev_b32_e32 v0, 2, v10
	v_lshlrev_b32_e32 v37, 7, v36
	s_delay_alu instid0(VALU_DEP_3) | instskip(SKIP_1) | instid1(VALU_DEP_3)
	v_ashrrev_i32_e32 v7, 31, v6
	v_sub_co_u32 v8, vcc_lo, s9, v6
	v_add_nc_u32_e32 v38, v37, v0
	v_or_b32_e32 v39, 0x1000, v0
	s_delay_alu instid0(VALU_DEP_4)
	v_lshlrev_b64 v[2:3], 2, v[6:7]
	v_add_nc_u32_e32 v0, 16, v6
	s_waitcnt lgkmcnt(0)
	s_mul_i32 s1, s15, s39
	s_mul_hi_u32 s2, s15, s38
	s_mul_i32 s0, s15, s38
	s_add_i32 s1, s2, s1
	s_mul_i32 s3, s15, s19
	s_lshl_b64 s[0:1], s[0:1], 2
	s_mul_hi_u32 s4, s15, s18
	s_add_u32 s5, s28, s0
	s_addc_u32 s6, s29, s1
	s_lshl_b64 s[0:1], s[30:31], 2
	s_mul_i32 s2, s15, s18
	s_add_u32 s5, s5, s0
	s_addc_u32 s6, s6, s1
	s_add_i32 s3, s4, s3
	s_mul_i32 s4, s27, s15
	s_lshl_b64 s[0:1], s[2:3], 2
	v_add_nc_u32_e32 v40, v39, v37
	s_add_u32 s2, s40, s0
	s_addc_u32 s3, s41, s1
	s_lshl_b64 s[0:1], s[42:43], 2
	v_ashrrev_i32_e32 v1, 31, v0
	s_add_u32 s30, s2, s0
	s_addc_u32 s31, s3, s1
	s_cmpk_eq_i32 s8, 0x84
	v_cmp_gt_i32_e64 s1, s9, v6
	s_cselect_b32 s38, -1, 0
	s_ashr_i32 s0, s9, 31
	s_ashr_i32 s11, s10, 31
	v_sub_co_ci_u32_e32 v9, vcc_lo, s0, v7, vcc_lo
	v_add_co_u32 v4, vcc_lo, s5, v2
	s_lshl_b64 s[12:13], s[36:37], 7
	s_mul_hi_u32 s5, s26, s15
	s_add_u32 s18, s10, -16
	s_addc_u32 s19, s11, -1
	s_add_i32 s5, s5, s4
	s_mul_i32 s4, s26, s15
	v_add_co_ci_u32_e32 v5, vcc_lo, s6, v3, vcc_lo
	s_lshl_b32 s3, s14, 5
	s_lshl_b64 s[4:5], s[4:5], 2
	s_lshl_b64 s[6:7], s[22:23], 2
	v_cmp_gt_i64_e32 vcc_lo, 1, v[8:9]
	v_cmp_gt_i64_e64 s0, 17, v[8:9]
	s_lshl_b32 s39, s35, 5
	s_lshl_b64 s[22:23], s[36:37], 2
	v_cmp_gt_i32_e64 s2, s9, v0
	v_add_nc_u32_e32 v6, s3, v10
	v_add_nc_u32_e32 v8, s3, v36
	s_add_u32 s3, s4, s6
	s_addc_u32 s4, s5, s7
	s_add_u32 s20, s20, s3
	s_addc_u32 s21, s21, s4
	s_lshl_b64 s[26:27], s[24:25], 2
	s_branch .LBB12_4
.LBB12_3:                               ;   in Loop: Header=BB12_4 Depth=1
	s_or_b32 exec_lo, exec_lo, s4
	v_add_nc_u32_e32 v6, s39, v6
	v_add_nc_u32_e32 v8, s39, v8
	s_add_i32 s14, s35, s14
	s_delay_alu instid0(SALU_CYCLE_1)
	s_cmp_le_i32 s14, s34
	s_cbranch_scc0 .LBB12_63
.LBB12_4:                               ; =>This Loop Header: Depth=1
                                        ;     Child Loop BB12_7 Depth 2
	s_lshl_b32 s3, s14, 5
	v_ashrrev_i32_e32 v7, 31, v6
	v_dual_mov_b32 v45, 0 :: v_dual_add_nc_u32 v10, s3, v36
	v_ashrrev_i32_e32 v9, 31, v8
	v_dual_mov_b32 v46, 0 :: v_dual_mov_b32 v43, 0
	s_delay_alu instid0(VALU_DEP_3) | instskip(SKIP_2) | instid1(SALU_CYCLE_1)
	v_ashrrev_i32_e32 v11, 31, v10
	v_mov_b32_e32 v44, 0
	s_sub_i32 s15, s10, s3
	s_cmp_lt_i32 s15, 1
	s_cbranch_scc1 .LBB12_55
; %bb.5:                                ;   in Loop: Header=BB12_4 Depth=1
	v_lshlrev_b64 v[16:17], 2, v[8:9]
	v_sub_co_u32 v14, s3, v8, v6
	v_mad_u64_u32 v[12:13], null, s22, v8, 64
	v_mul_lo_u32 v18, s22, v9
	v_mul_lo_u32 v19, s23, v8
	v_sub_co_ci_u32_e64 v15, s3, v9, v7, s3
	v_add_co_u32 v22, s3, v16, 64
	s_delay_alu instid0(VALU_DEP_1)
	v_add_co_ci_u32_e64 v20, s3, 0, v17, s3
	v_mad_u64_u32 v[16:17], null, s26, v8, s[20:21]
	v_mul_lo_u32 v26, s26, v9
	v_mul_lo_u32 v27, s27, v8
	v_add3_u32 v13, v19, v13, v18
	v_mul_lo_u32 v28, s24, v20
	v_mul_lo_u32 v29, s25, v22
	v_mad_u64_u32 v[18:19], null, s24, v22, s[20:21]
	v_mul_lo_u32 v30, s36, v20
	v_mul_lo_u32 v31, s37, v22
	v_mad_u64_u32 v[20:21], null, s36, v22, 64
	v_add_co_u32 v24, s3, v10, 16
	s_delay_alu instid0(VALU_DEP_1) | instskip(SKIP_2) | instid1(VALU_DEP_1)
	v_add_co_ci_u32_e64 v25, s3, 0, v11, s3
	v_add3_u32 v17, v27, v17, v26
	v_add_co_u32 v26, s5, v14, 16
	v_add_co_ci_u32_e64 v27, s5, 0, v15, s5
	v_add3_u32 v19, v29, v19, v28
	v_add_co_u32 v28, s5, v14, -16
	v_lshlrev_b64 v[22:23], 2, v[6:7]
	v_add3_u32 v21, v31, v21, v30
	v_cmp_le_i64_e64 s4, s[10:11], v[24:25]
	v_dual_mov_b32 v31, v5 :: v_dual_mov_b32 v44, 0
	v_cmp_le_i32_e64 s3, s10, v10
	v_add_co_ci_u32_e64 v29, s5, -1, v15, s5
	v_dual_mov_b32 v43, 0 :: v_dual_mov_b32 v30, v4
	v_dual_mov_b32 v45, 0 :: v_dual_mov_b32 v46, 0
	s_mov_b64 s[28:29], 0
	s_branch .LBB12_7
.LBB12_6:                               ;   in Loop: Header=BB12_7 Depth=2
	s_or_b32 exec_lo, exec_lo, s5
	s_waitcnt lgkmcnt(0)
	s_waitcnt_vscnt null, 0x0
	s_barrier
	buffer_gl0_inv
	ds_load_2addr_b32 v[74:75], v39 offset1:16
	ds_load_b128 v[32:35], v37
	ds_load_b128 v[47:50], v37 offset:2048
	ds_load_2addr_b32 v[76:77], v39 offset0:32 offset1:48
	ds_load_b128 v[51:54], v37 offset:16
	ds_load_2addr_b32 v[82:83], v39 offset0:64 offset1:80
	ds_load_b128 v[55:58], v37 offset:32
	ds_load_b128 v[59:62], v37 offset:48
	ds_load_2addr_b32 v[84:85], v39 offset0:96 offset1:112
	ds_load_2addr_b32 v[86:87], v39 offset0:128 offset1:144
	ds_load_b128 v[63:66], v37 offset:2064
	ds_load_2addr_b32 v[88:89], v39 offset0:160 offset1:176
	ds_load_2addr_b32 v[90:91], v39 offset0:192 offset1:208
	ds_load_2addr_b32 v[92:93], v39 offset0:224 offset1:240
	v_add_nc_u32_e32 v94, 0x400, v39
	v_add_co_u32 v30, s5, v30, s12
	s_delay_alu instid0(VALU_DEP_1)
	v_add_co_ci_u32_e64 v31, s5, s13, v31, s5
	v_add_co_u32 v16, s5, 0x80, v16
	s_waitcnt lgkmcnt(12)
	v_fmac_f32_e32 v45, v75, v32
	s_waitcnt lgkmcnt(11)
	v_dual_fmac_f32 v46, v74, v32 :: v_dual_fmac_f32 v43, v75, v47
	v_fmac_f32_e32 v44, v74, v47
	v_add_nc_u32_e32 v95, 0x800, v39
	s_waitcnt lgkmcnt(10)
	v_fmac_f32_e32 v45, v77, v33
	v_dual_fmac_f32 v46, v76, v33 :: v_dual_fmac_f32 v43, v77, v48
	v_fmac_f32_e32 v44, v76, v48
	ds_load_b128 v[67:70], v37 offset:2080
	ds_load_b128 v[71:74], v37 offset:2096
	s_waitcnt lgkmcnt(10)
	v_fmac_f32_e32 v45, v83, v34
	v_dual_fmac_f32 v46, v82, v34 :: v_dual_fmac_f32 v43, v83, v49
	v_fmac_f32_e32 v44, v82, v49
	ds_load_b128 v[75:78], v37 offset:64
	ds_load_b128 v[79:82], v37 offset:80
	s_waitcnt lgkmcnt(9)
	v_fmac_f32_e32 v45, v85, v35
	v_fmac_f32_e32 v46, v84, v35
	ds_load_2addr_b32 v[32:33], v94 offset1:16
	v_fmac_f32_e32 v44, v84, v50
	v_fmac_f32_e32 v43, v85, v50
	s_waitcnt lgkmcnt(9)
	v_fmac_f32_e32 v45, v87, v51
	v_fmac_f32_e32 v46, v86, v51
	ds_load_2addr_b32 v[34:35], v94 offset0:32 offset1:48
	s_waitcnt lgkmcnt(9)
	v_fmac_f32_e32 v44, v86, v63
	v_fmac_f32_e32 v43, v87, v63
	s_waitcnt lgkmcnt(8)
	v_fmac_f32_e32 v45, v89, v52
	v_fmac_f32_e32 v46, v88, v52
	ds_load_2addr_b32 v[47:48], v94 offset0:64 offset1:80
	v_fmac_f32_e32 v44, v88, v64
	v_fmac_f32_e32 v43, v89, v64
	s_waitcnt lgkmcnt(8)
	v_fmac_f32_e32 v45, v91, v53
	v_fmac_f32_e32 v46, v90, v53
	ds_load_2addr_b32 v[49:50], v94 offset0:96 offset1:112
	v_fmac_f32_e32 v44, v90, v65
	v_fmac_f32_e32 v43, v91, v65
	s_waitcnt lgkmcnt(8)
	v_fmac_f32_e32 v45, v93, v54
	v_fmac_f32_e32 v46, v92, v54
	ds_load_2addr_b32 v[51:52], v94 offset0:128 offset1:144
	v_fmac_f32_e32 v44, v92, v66
	v_fmac_f32_e32 v43, v93, v66
	s_waitcnt lgkmcnt(4)
	v_fmac_f32_e32 v45, v33, v55
	v_fmac_f32_e32 v46, v32, v55
	ds_load_2addr_b32 v[53:54], v94 offset0:160 offset1:176
	v_fmac_f32_e32 v44, v32, v67
	v_fmac_f32_e32 v43, v33, v67
	s_waitcnt lgkmcnt(4)
	v_fmac_f32_e32 v45, v35, v56
	v_fmac_f32_e32 v46, v34, v56
	ds_load_2addr_b32 v[55:56], v94 offset0:192 offset1:208
	v_fmac_f32_e32 v44, v34, v68
	ds_load_2addr_b32 v[63:64], v94 offset0:224 offset1:240
	s_waitcnt lgkmcnt(5)
	v_fmac_f32_e32 v45, v48, v57
	v_fmac_f32_e32 v46, v47, v57
	v_add_co_ci_u32_e64 v17, s5, 0, v17, s5
	v_add_co_u32 v18, s5, 0x80, v18
	s_waitcnt lgkmcnt(4)
	v_fmac_f32_e32 v45, v50, v58
	v_dual_fmac_f32 v43, v35, v68 :: v_dual_fmac_f32 v46, v49, v58
	ds_load_2addr_b32 v[57:58], v95 offset1:16
	ds_load_b128 v[32:35], v37 offset:2112
	s_waitcnt lgkmcnt(5)
	v_fmac_f32_e32 v45, v52, v59
	v_fmac_f32_e32 v43, v48, v69
	;; [unrolled: 1-line block ×4, first 2 shown]
	v_add_co_ci_u32_e64 v19, s5, 0, v19, s5
	s_waitcnt lgkmcnt(4)
	v_fmac_f32_e32 v45, v54, v60
	v_fmac_f32_e32 v43, v50, v70
	;; [unrolled: 1-line block ×4, first 2 shown]
	ds_load_b128 v[47:50], v37 offset:2128
	s_waitcnt lgkmcnt(4)
	v_fmac_f32_e32 v45, v56, v61
	v_fmac_f32_e32 v43, v52, v71
	;; [unrolled: 1-line block ×3, first 2 shown]
	ds_load_2addr_b32 v[51:52], v95 offset0:32 offset1:48
	s_waitcnt lgkmcnt(4)
	v_dual_fmac_f32 v46, v55, v61 :: v_dual_fmac_f32 v45, v64, v62
	v_fmac_f32_e32 v43, v54, v72
	v_fmac_f32_e32 v44, v53, v72
	ds_load_2addr_b32 v[53:54], v95 offset0:64 offset1:80
	v_fmac_f32_e32 v46, v63, v62
	ds_load_2addr_b32 v[59:60], v95 offset0:128 offset1:144
	v_fmac_f32_e32 v43, v56, v73
	v_fmac_f32_e32 v44, v55, v73
	ds_load_2addr_b32 v[55:56], v95 offset0:96 offset1:112
	ds_load_2addr_b32 v[61:62], v95 offset0:192 offset1:208
	s_add_u32 s28, s28, 32
	v_fmac_f32_e32 v43, v64, v74
	s_waitcnt lgkmcnt(7)
	v_dual_fmac_f32 v44, v63, v74 :: v_dual_fmac_f32 v45, v58, v75
	v_fmac_f32_e32 v46, v57, v75
	ds_load_2addr_b32 v[63:64], v95 offset0:224 offset1:240
	s_waitcnt lgkmcnt(7)
	v_fmac_f32_e32 v43, v58, v32
	v_fmac_f32_e32 v44, v57, v32
	s_waitcnt lgkmcnt(5)
	v_fmac_f32_e32 v45, v52, v76
	ds_load_2addr_b32 v[57:58], v95 offset0:160 offset1:176
	v_dual_fmac_f32 v46, v51, v76 :: v_dual_fmac_f32 v43, v52, v33
	v_fmac_f32_e32 v44, v51, v33
	s_waitcnt lgkmcnt(5)
	v_fmac_f32_e32 v45, v54, v77
	s_delay_alu instid0(VALU_DEP_3)
	v_dual_fmac_f32 v46, v53, v77 :: v_dual_add_nc_u32 v69, 0xc00, v39
	v_fmac_f32_e32 v43, v54, v34
	v_fmac_f32_e32 v44, v53, v34
	s_waitcnt lgkmcnt(3)
	v_fmac_f32_e32 v45, v56, v78
	s_addc_u32 s29, s29, 0
	v_fmac_f32_e32 v46, v55, v78
	s_cmp_ge_i32 s28, s15
	v_fmac_f32_e32 v44, v55, v35
	s_delay_alu instid0(VALU_DEP_1) | instskip(SKIP_1) | instid1(VALU_DEP_1)
	v_fmac_f32_e32 v44, v59, v47
	s_waitcnt lgkmcnt(0)
	v_dual_fmac_f32 v45, v60, v79 :: v_dual_fmac_f32 v44, v57, v48
	s_delay_alu instid0(VALU_DEP_1)
	v_dual_fmac_f32 v46, v59, v79 :: v_dual_fmac_f32 v45, v58, v80
	v_fmac_f32_e32 v43, v56, v35
	ds_load_2addr_b32 v[65:66], v69 offset1:16
	ds_load_b128 v[32:35], v37 offset:96
	ds_load_b128 v[51:54], v37 offset:2144
	v_fmac_f32_e32 v46, v57, v80
	ds_load_2addr_b32 v[67:68], v69 offset0:64 offset1:80
	v_fmac_f32_e32 v43, v60, v47
	ds_load_2addr_b32 v[59:60], v69 offset0:32 offset1:48
	v_fmac_f32_e32 v46, v61, v81
	v_fmac_f32_e32 v45, v62, v81
	s_delay_alu instid0(VALU_DEP_2) | instskip(NEXT) | instid1(VALU_DEP_2)
	v_dual_fmac_f32 v43, v58, v48 :: v_dual_fmac_f32 v46, v63, v82
	v_dual_fmac_f32 v44, v61, v49 :: v_dual_fmac_f32 v45, v64, v82
	s_delay_alu instid0(VALU_DEP_2)
	v_fmac_f32_e32 v43, v62, v49
	ds_load_2addr_b32 v[61:62], v69 offset0:96 offset1:112
	v_fmac_f32_e32 v44, v63, v50
	s_waitcnt lgkmcnt(4)
	v_dual_fmac_f32 v43, v64, v50 :: v_dual_fmac_f32 v46, v65, v32
	ds_load_b128 v[47:50], v37 offset:112
	s_waitcnt lgkmcnt(4)
	v_dual_fmac_f32 v45, v66, v32 :: v_dual_fmac_f32 v44, v65, v51
	ds_load_2addr_b32 v[63:64], v69 offset0:128 offset1:144
	ds_load_b128 v[55:58], v37 offset:2160
	s_waitcnt lgkmcnt(4)
	v_dual_fmac_f32 v43, v66, v51 :: v_dual_fmac_f32 v46, v59, v33
	ds_load_2addr_b32 v[65:66], v69 offset0:160 offset1:176
	v_dual_fmac_f32 v45, v60, v33 :: v_dual_fmac_f32 v44, v59, v52
	v_dual_fmac_f32 v43, v60, v52 :: v_dual_fmac_f32 v46, v67, v34
	ds_load_2addr_b32 v[32:33], v69 offset0:192 offset1:208
	v_dual_fmac_f32 v45, v68, v34 :: v_dual_fmac_f32 v44, v67, v53
	s_waitcnt lgkmcnt(5)
	v_dual_fmac_f32 v43, v68, v53 :: v_dual_fmac_f32 v46, v61, v35
	ds_load_2addr_b32 v[51:52], v69 offset0:224 offset1:240
	v_dual_fmac_f32 v45, v62, v35 :: v_dual_fmac_f32 v44, v61, v54
	v_fmac_f32_e32 v43, v62, v54
	s_waitcnt lgkmcnt(0)
	s_barrier
	v_fmac_f32_e32 v46, v63, v47
	v_fmac_f32_e32 v45, v64, v47
	buffer_gl0_inv
	v_fmac_f32_e32 v46, v65, v48
	v_dual_fmac_f32 v44, v63, v55 :: v_dual_fmac_f32 v45, v66, v48
	v_fmac_f32_e32 v43, v64, v55
	s_delay_alu instid0(VALU_DEP_3) | instskip(NEXT) | instid1(VALU_DEP_3)
	v_fmac_f32_e32 v46, v32, v49
	v_fmac_f32_e32 v44, v65, v56
	s_delay_alu instid0(VALU_DEP_4) | instskip(NEXT) | instid1(VALU_DEP_3)
	v_fmac_f32_e32 v45, v33, v49
	v_dual_fmac_f32 v43, v66, v56 :: v_dual_fmac_f32 v46, v51, v50
	s_delay_alu instid0(VALU_DEP_3) | instskip(NEXT) | instid1(VALU_DEP_3)
	v_fmac_f32_e32 v44, v32, v57
	v_fmac_f32_e32 v45, v52, v50
	s_delay_alu instid0(VALU_DEP_2) | instskip(NEXT) | instid1(VALU_DEP_1)
	v_dual_fmac_f32 v43, v33, v57 :: v_dual_fmac_f32 v44, v51, v58
	v_fmac_f32_e32 v43, v52, v58
	s_cbranch_scc1 .LBB12_55
.LBB12_7:                               ;   Parent Loop BB12_4 Depth=1
                                        ; =>  This Inner Loop Header: Depth=2
	v_add_co_u32 v32, s5, v6, s28
	s_delay_alu instid0(VALU_DEP_1) | instskip(SKIP_1) | instid1(VALU_DEP_2)
	v_add_co_ci_u32_e64 v33, s5, s29, v7, s5
	v_cmp_eq_u64_e64 s7, s[28:29], v[14:15]
	v_cmp_lt_i64_e64 s5, v[32:33], v[10:11]
	v_cmp_le_i64_e64 s6, s[10:11], v[32:33]
	s_delay_alu instid0(VALU_DEP_3) | instskip(SKIP_1) | instid1(VALU_DEP_3)
	s_and_b32 s41, s38, s7
	v_add_co_u32 v34, s7, v16, v22
	s_or_b32 s8, s3, s5
	v_add_co_ci_u32_e64 v35, s7, v17, v23, s7
	s_delay_alu instid0(VALU_DEP_3) | instskip(NEXT) | instid1(SALU_CYCLE_1)
	s_or_b32 s8, s6, s8
	s_or_b32 s7, s8, s41
	s_delay_alu instid0(SALU_CYCLE_1) | instskip(NEXT) | instid1(SALU_CYCLE_1)
	s_xor_b32 s7, s7, -1
	s_and_saveexec_b32 s8, s7
	s_delay_alu instid0(SALU_CYCLE_1)
	s_xor_b32 s7, exec_lo, s8
	s_cbranch_execz .LBB12_9
; %bb.8:                                ;   in Loop: Header=BB12_7 Depth=2
	global_load_b32 v47, v[34:35], off
	s_waitcnt vmcnt(0)
	ds_store_b32 v38, v47
.LBB12_9:                               ;   in Loop: Header=BB12_7 Depth=2
	s_or_saveexec_b32 s7, s7
	s_xor_b32 s40, s41, -1
	s_xor_b32 exec_lo, exec_lo, s7
	s_cbranch_execz .LBB12_15
; %bb.10:                               ;   in Loop: Header=BB12_7 Depth=2
	s_and_saveexec_b32 s8, s40
	s_delay_alu instid0(SALU_CYCLE_1)
	s_xor_b32 s8, exec_lo, s8
	s_cbranch_execz .LBB12_12
; %bb.11:                               ;   in Loop: Header=BB12_7 Depth=2
	ds_store_b32 v38, v41
.LBB12_12:                              ;   in Loop: Header=BB12_7 Depth=2
	s_and_not1_saveexec_b32 s8, s8
	s_cbranch_execz .LBB12_14
; %bb.13:                               ;   in Loop: Header=BB12_7 Depth=2
	ds_store_b32 v38, v42
.LBB12_14:                              ;   in Loop: Header=BB12_7 Depth=2
	s_or_b32 exec_lo, exec_lo, s8
.LBB12_15:                              ;   in Loop: Header=BB12_7 Depth=2
	s_delay_alu instid0(SALU_CYCLE_1) | instskip(SKIP_1) | instid1(VALU_DEP_1)
	s_or_b32 exec_lo, exec_lo, s7
	v_add_co_u32 v47, s7, v32, 16
	v_add_co_ci_u32_e64 v48, s7, 0, v33, s7
	v_cmp_eq_u64_e64 s9, s[28:29], v[28:29]
	s_delay_alu instid0(VALU_DEP_2) | instskip(SKIP_1) | instid1(VALU_DEP_3)
	v_cmp_lt_i64_e64 s8, v[47:48], v[10:11]
	v_cmp_le_i64_e64 s7, s[10:11], v[47:48]
	s_and_b32 s9, s38, s9
	s_delay_alu instid0(VALU_DEP_2)
	s_or_b32 s8, s3, s8
	s_delay_alu instid0(VALU_DEP_1) | instid1(SALU_CYCLE_1)
	s_or_b32 s8, s7, s8
	s_delay_alu instid0(SALU_CYCLE_1) | instskip(NEXT) | instid1(SALU_CYCLE_1)
	s_or_b32 s8, s8, s9
	s_xor_b32 s8, s8, -1
	s_delay_alu instid0(SALU_CYCLE_1) | instskip(NEXT) | instid1(SALU_CYCLE_1)
	s_and_saveexec_b32 s42, s8
	s_xor_b32 s8, exec_lo, s42
	s_cbranch_execz .LBB12_17
; %bb.16:                               ;   in Loop: Header=BB12_7 Depth=2
	global_load_b32 v34, v[34:35], off offset:64
	s_waitcnt vmcnt(0)
	ds_store_b32 v38, v34 offset:64
.LBB12_17:                              ;   in Loop: Header=BB12_7 Depth=2
	s_and_not1_saveexec_b32 s8, s8
	s_cbranch_execz .LBB12_23
; %bb.18:                               ;   in Loop: Header=BB12_7 Depth=2
	s_xor_b32 s9, s9, -1
	s_delay_alu instid0(SALU_CYCLE_1) | instskip(NEXT) | instid1(SALU_CYCLE_1)
	s_and_saveexec_b32 s42, s9
	s_xor_b32 s9, exec_lo, s42
	s_cbranch_execz .LBB12_20
; %bb.19:                               ;   in Loop: Header=BB12_7 Depth=2
	ds_store_b32 v38, v41 offset:64
.LBB12_20:                              ;   in Loop: Header=BB12_7 Depth=2
	s_and_not1_saveexec_b32 s9, s9
	s_cbranch_execz .LBB12_22
; %bb.21:                               ;   in Loop: Header=BB12_7 Depth=2
	ds_store_b32 v38, v42 offset:64
.LBB12_22:                              ;   in Loop: Header=BB12_7 Depth=2
	s_or_b32 exec_lo, exec_lo, s9
.LBB12_23:                              ;   in Loop: Header=BB12_7 Depth=2
	s_delay_alu instid0(SALU_CYCLE_1) | instskip(SKIP_2) | instid1(VALU_DEP_2)
	s_or_b32 exec_lo, exec_lo, s8
	v_cmp_eq_u64_e64 s8, s[28:29], v[26:27]
	v_cmp_lt_i64_e64 s9, v[32:33], v[24:25]
	s_and_b32 s8, s38, s8
	s_delay_alu instid0(VALU_DEP_1) | instskip(NEXT) | instid1(SALU_CYCLE_1)
	s_or_b32 s9, s4, s9
	s_or_b32 s9, s9, s8
	s_delay_alu instid0(SALU_CYCLE_1) | instskip(NEXT) | instid1(SALU_CYCLE_1)
	s_or_b32 s6, s6, s9
	s_xor_b32 s6, s6, -1
	s_delay_alu instid0(SALU_CYCLE_1) | instskip(NEXT) | instid1(SALU_CYCLE_1)
	s_and_saveexec_b32 s9, s6
	s_xor_b32 s9, exec_lo, s9
	s_cbranch_execz .LBB12_25
; %bb.24:                               ;   in Loop: Header=BB12_7 Depth=2
	v_add_co_u32 v32, s6, v18, v22
	s_delay_alu instid0(VALU_DEP_1)
	v_add_co_ci_u32_e64 v33, s6, v19, v23, s6
	global_load_b32 v32, v[32:33], off
	s_waitcnt vmcnt(0)
	ds_store_b32 v38, v32 offset:2048
.LBB12_25:                              ;   in Loop: Header=BB12_7 Depth=2
	s_and_not1_saveexec_b32 s6, s9
	s_cbranch_execz .LBB12_31
; %bb.26:                               ;   in Loop: Header=BB12_7 Depth=2
	s_xor_b32 s8, s8, -1
	s_delay_alu instid0(SALU_CYCLE_1) | instskip(NEXT) | instid1(SALU_CYCLE_1)
	s_and_saveexec_b32 s9, s8
	s_xor_b32 s8, exec_lo, s9
	s_cbranch_execz .LBB12_28
; %bb.27:                               ;   in Loop: Header=BB12_7 Depth=2
	ds_store_b32 v38, v41 offset:2048
.LBB12_28:                              ;   in Loop: Header=BB12_7 Depth=2
	s_and_not1_saveexec_b32 s8, s8
	s_cbranch_execz .LBB12_30
; %bb.29:                               ;   in Loop: Header=BB12_7 Depth=2
	ds_store_b32 v38, v42 offset:2048
.LBB12_30:                              ;   in Loop: Header=BB12_7 Depth=2
	s_or_b32 exec_lo, exec_lo, s8
.LBB12_31:                              ;   in Loop: Header=BB12_7 Depth=2
	s_delay_alu instid0(SALU_CYCLE_1) | instskip(SKIP_1) | instid1(SALU_CYCLE_1)
	s_or_b32 exec_lo, exec_lo, s6
	s_or_b32 s5, s4, s5
	s_or_b32 s5, s7, s5
	s_delay_alu instid0(SALU_CYCLE_1) | instskip(NEXT) | instid1(SALU_CYCLE_1)
	s_or_b32 s5, s5, s41
	s_xor_b32 s5, s5, -1
	s_delay_alu instid0(SALU_CYCLE_1) | instskip(NEXT) | instid1(SALU_CYCLE_1)
	s_and_saveexec_b32 s6, s5
	s_xor_b32 s6, exec_lo, s6
	s_cbranch_execz .LBB12_33
; %bb.32:                               ;   in Loop: Header=BB12_7 Depth=2
	v_add_co_u32 v32, s5, v18, v22
	s_delay_alu instid0(VALU_DEP_1)
	v_add_co_ci_u32_e64 v33, s5, v19, v23, s5
	global_load_b32 v32, v[32:33], off offset:64
	s_waitcnt vmcnt(0)
	ds_store_b32 v38, v32 offset:2112
.LBB12_33:                              ;   in Loop: Header=BB12_7 Depth=2
	s_and_not1_saveexec_b32 s5, s6
	s_cbranch_execz .LBB12_39
; %bb.34:                               ;   in Loop: Header=BB12_7 Depth=2
	s_and_saveexec_b32 s6, s40
	s_delay_alu instid0(SALU_CYCLE_1)
	s_xor_b32 s6, exec_lo, s6
	s_cbranch_execz .LBB12_36
; %bb.35:                               ;   in Loop: Header=BB12_7 Depth=2
	ds_store_b32 v38, v41 offset:2112
.LBB12_36:                              ;   in Loop: Header=BB12_7 Depth=2
	s_and_not1_saveexec_b32 s6, s6
	s_cbranch_execz .LBB12_38
; %bb.37:                               ;   in Loop: Header=BB12_7 Depth=2
	ds_store_b32 v38, v42 offset:2112
.LBB12_38:                              ;   in Loop: Header=BB12_7 Depth=2
	s_or_b32 exec_lo, exec_lo, s6
.LBB12_39:                              ;   in Loop: Header=BB12_7 Depth=2
	s_delay_alu instid0(SALU_CYCLE_1) | instskip(SKIP_1) | instid1(VALU_DEP_1)
	s_or_b32 exec_lo, exec_lo, s5
	v_add_co_u32 v32, s5, v8, s28
	v_add_co_ci_u32_e64 v33, s5, s29, v9, s5
	v_add_co_u32 v34, s6, v30, v12
	s_delay_alu instid0(VALU_DEP_1) | instskip(NEXT) | instid1(VALU_DEP_3)
	v_add_co_ci_u32_e64 v35, s6, v31, v13, s6
	v_cmp_le_i64_e64 s5, s[10:11], v[32:33]
	s_delay_alu instid0(VALU_DEP_1) | instskip(NEXT) | instid1(SALU_CYCLE_1)
	s_or_b32 s6, s5, vcc_lo
	s_xor_b32 s6, s6, -1
	s_delay_alu instid0(SALU_CYCLE_1) | instskip(NEXT) | instid1(SALU_CYCLE_1)
	s_and_saveexec_b32 s7, s6
	s_xor_b32 s6, exec_lo, s7
	s_cbranch_execz .LBB12_41
; %bb.40:                               ;   in Loop: Header=BB12_7 Depth=2
	global_load_b32 v47, v[34:35], off offset:-64
	s_waitcnt vmcnt(0)
	ds_store_b32 v40, v47
.LBB12_41:                              ;   in Loop: Header=BB12_7 Depth=2
	s_and_not1_saveexec_b32 s6, s6
	s_cbranch_execz .LBB12_43
; %bb.42:                               ;   in Loop: Header=BB12_7 Depth=2
	ds_store_b32 v40, v41
.LBB12_43:                              ;   in Loop: Header=BB12_7 Depth=2
	s_or_b32 exec_lo, exec_lo, s6
	s_or_b32 s5, s5, s0
	s_delay_alu instid0(SALU_CYCLE_1) | instskip(NEXT) | instid1(SALU_CYCLE_1)
	s_xor_b32 s5, s5, -1
	s_and_saveexec_b32 s6, s5
	s_delay_alu instid0(SALU_CYCLE_1)
	s_xor_b32 s5, exec_lo, s6
	s_cbranch_execz .LBB12_45
; %bb.44:                               ;   in Loop: Header=BB12_7 Depth=2
	global_load_b32 v34, v[34:35], off
	s_waitcnt vmcnt(0)
	ds_store_b32 v40, v34 offset:64
.LBB12_45:                              ;   in Loop: Header=BB12_7 Depth=2
	s_and_not1_saveexec_b32 s5, s5
	s_cbranch_execz .LBB12_47
; %bb.46:                               ;   in Loop: Header=BB12_7 Depth=2
	ds_store_b32 v40, v41 offset:64
.LBB12_47:                              ;   in Loop: Header=BB12_7 Depth=2
	s_or_b32 exec_lo, exec_lo, s5
	v_cmp_le_i64_e64 s5, s[18:19], v[32:33]
	s_delay_alu instid0(VALU_DEP_1) | instskip(NEXT) | instid1(SALU_CYCLE_1)
	s_or_b32 s6, s5, vcc_lo
	s_xor_b32 s6, s6, -1
	s_delay_alu instid0(SALU_CYCLE_1) | instskip(NEXT) | instid1(SALU_CYCLE_1)
	s_and_saveexec_b32 s7, s6
	s_xor_b32 s7, exec_lo, s7
	s_cbranch_execz .LBB12_49
; %bb.48:                               ;   in Loop: Header=BB12_7 Depth=2
	v_add_co_u32 v32, s6, v30, v20
	s_delay_alu instid0(VALU_DEP_1)
	v_add_co_ci_u32_e64 v33, s6, v31, v21, s6
	global_load_b32 v32, v[32:33], off offset:-64
	s_waitcnt vmcnt(0)
	ds_store_b32 v40, v32 offset:2048
.LBB12_49:                              ;   in Loop: Header=BB12_7 Depth=2
	s_and_not1_saveexec_b32 s6, s7
	s_cbranch_execz .LBB12_51
; %bb.50:                               ;   in Loop: Header=BB12_7 Depth=2
	ds_store_b32 v40, v41 offset:2048
.LBB12_51:                              ;   in Loop: Header=BB12_7 Depth=2
	s_or_b32 exec_lo, exec_lo, s6
	s_or_b32 s5, s5, s0
	s_delay_alu instid0(SALU_CYCLE_1) | instskip(NEXT) | instid1(SALU_CYCLE_1)
	s_xor_b32 s5, s5, -1
	s_and_saveexec_b32 s6, s5
	s_delay_alu instid0(SALU_CYCLE_1)
	s_xor_b32 s6, exec_lo, s6
	s_cbranch_execz .LBB12_53
; %bb.52:                               ;   in Loop: Header=BB12_7 Depth=2
	v_add_co_u32 v32, s5, v30, v20
	s_delay_alu instid0(VALU_DEP_1)
	v_add_co_ci_u32_e64 v33, s5, v31, v21, s5
	global_load_b32 v32, v[32:33], off
	s_waitcnt vmcnt(0)
	ds_store_b32 v40, v32 offset:2112
.LBB12_53:                              ;   in Loop: Header=BB12_7 Depth=2
	s_and_not1_saveexec_b32 s5, s6
	s_cbranch_execz .LBB12_6
; %bb.54:                               ;   in Loop: Header=BB12_7 Depth=2
	ds_store_b32 v40, v41 offset:2112
	s_branch .LBB12_6
.LBB12_55:                              ;   in Loop: Header=BB12_4 Depth=1
	v_mul_lo_u32 v7, v11, s16
	v_mul_lo_u32 v9, v10, s17
	v_mad_u64_u32 v[11:12], null, v10, s16, 0
	v_cmp_gt_i32_e64 s3, s10, v10
	s_delay_alu instid0(VALU_DEP_2) | instskip(NEXT) | instid1(VALU_DEP_1)
	v_add3_u32 v12, v12, v9, v7
	v_lshlrev_b64 v[11:12], 2, v[11:12]
	s_delay_alu instid0(VALU_DEP_1) | instskip(NEXT) | instid1(VALU_DEP_1)
	v_add_co_u32 v7, s4, s30, v11
	v_add_co_ci_u32_e64 v9, s4, s31, v12, s4
	s_and_b32 s4, s1, s3
	s_delay_alu instid0(SALU_CYCLE_1)
	s_and_saveexec_b32 s5, s4
	s_cbranch_execz .LBB12_57
; %bb.56:                               ;   in Loop: Header=BB12_4 Depth=1
	v_add_co_u32 v11, s4, v7, v2
	s_delay_alu instid0(VALU_DEP_1)
	v_add_co_ci_u32_e64 v12, s4, v9, v3, s4
	global_load_b32 v13, v[11:12], off
	s_waitcnt vmcnt(0)
	v_fmac_f32_e32 v13, s33, v46
	global_store_b32 v[11:12], v13, off
.LBB12_57:                              ;   in Loop: Header=BB12_4 Depth=1
	s_or_b32 exec_lo, exec_lo, s5
	s_and_b32 s3, s2, s3
	s_delay_alu instid0(SALU_CYCLE_1)
	s_and_saveexec_b32 s4, s3
	s_cbranch_execz .LBB12_59
; %bb.58:                               ;   in Loop: Header=BB12_4 Depth=1
	v_lshlrev_b64 v[11:12], 2, v[0:1]
	s_delay_alu instid0(VALU_DEP_1) | instskip(NEXT) | instid1(VALU_DEP_1)
	v_add_co_u32 v11, s3, v7, v11
	v_add_co_ci_u32_e64 v12, s3, v9, v12, s3
	global_load_b32 v7, v[11:12], off
	s_waitcnt vmcnt(0)
	v_fmac_f32_e32 v7, s33, v45
	global_store_b32 v[11:12], v7, off
.LBB12_59:                              ;   in Loop: Header=BB12_4 Depth=1
	s_or_b32 exec_lo, exec_lo, s4
	v_add_nc_u32_e32 v7, 16, v10
	s_delay_alu instid0(VALU_DEP_1) | instskip(SKIP_3) | instid1(VALU_DEP_4)
	v_ashrrev_i32_e32 v11, 31, v7
	v_mul_lo_u32 v12, v7, s17
	v_mad_u64_u32 v[9:10], null, v7, s16, 0
	v_cmp_gt_i32_e64 s3, s10, v7
	v_mul_lo_u32 v11, v11, s16
	s_delay_alu instid0(VALU_DEP_1) | instskip(NEXT) | instid1(VALU_DEP_1)
	v_add3_u32 v10, v10, v12, v11
	v_lshlrev_b64 v[9:10], 2, v[9:10]
	s_delay_alu instid0(VALU_DEP_1) | instskip(NEXT) | instid1(VALU_DEP_1)
	v_add_co_u32 v7, s4, s30, v9
	v_add_co_ci_u32_e64 v9, s4, s31, v10, s4
	s_and_b32 s4, s1, s3
	s_delay_alu instid0(SALU_CYCLE_1)
	s_and_saveexec_b32 s5, s4
	s_cbranch_execz .LBB12_61
; %bb.60:                               ;   in Loop: Header=BB12_4 Depth=1
	v_add_co_u32 v10, s4, v7, v2
	s_delay_alu instid0(VALU_DEP_1)
	v_add_co_ci_u32_e64 v11, s4, v9, v3, s4
	global_load_b32 v12, v[10:11], off
	s_waitcnt vmcnt(0)
	v_fmac_f32_e32 v12, s33, v44
	global_store_b32 v[10:11], v12, off
.LBB12_61:                              ;   in Loop: Header=BB12_4 Depth=1
	s_or_b32 exec_lo, exec_lo, s5
	s_and_b32 s3, s2, s3
	s_delay_alu instid0(SALU_CYCLE_1)
	s_and_saveexec_b32 s4, s3
	s_cbranch_execz .LBB12_3
; %bb.62:                               ;   in Loop: Header=BB12_4 Depth=1
	v_lshlrev_b64 v[10:11], 2, v[0:1]
	s_delay_alu instid0(VALU_DEP_1) | instskip(NEXT) | instid1(VALU_DEP_1)
	v_add_co_u32 v10, s3, v7, v10
	v_add_co_ci_u32_e64 v11, s3, v9, v11, s3
	global_load_b32 v7, v[10:11], off
	s_waitcnt vmcnt(0)
	v_fmac_f32_e32 v7, s33, v43
	global_store_b32 v[10:11], v7, off
	s_branch .LBB12_3
.LBB12_63:
	s_nop 0
	s_sendmsg sendmsg(MSG_DEALLOC_VGPRS)
	s_endpgm
	.section	.rodata,"a",@progbits
	.p2align	6, 0x0
	.amdhsa_kernel _ZL30rocblas_trmm_outofplace_kernelIfLi32ELi2ELb0ELb0ELb0ELb0EPKfS0_fEv17rocblas_diagonal_iiT6_lPT7_lllS5_lllPT8_llli
		.amdhsa_group_segment_fixed_size 8192
		.amdhsa_private_segment_fixed_size 0
		.amdhsa_kernarg_size 392
		.amdhsa_user_sgpr_count 13
		.amdhsa_user_sgpr_dispatch_ptr 0
		.amdhsa_user_sgpr_queue_ptr 0
		.amdhsa_user_sgpr_kernarg_segment_ptr 1
		.amdhsa_user_sgpr_dispatch_id 0
		.amdhsa_user_sgpr_private_segment_size 0
		.amdhsa_wavefront_size32 1
		.amdhsa_uses_dynamic_stack 0
		.amdhsa_enable_private_segment 0
		.amdhsa_system_sgpr_workgroup_id_x 1
		.amdhsa_system_sgpr_workgroup_id_y 1
		.amdhsa_system_sgpr_workgroup_id_z 1
		.amdhsa_system_sgpr_workgroup_info 0
		.amdhsa_system_vgpr_workitem_id 1
		.amdhsa_next_free_vgpr 96
		.amdhsa_next_free_sgpr 44
		.amdhsa_reserve_vcc 1
		.amdhsa_float_round_mode_32 0
		.amdhsa_float_round_mode_16_64 0
		.amdhsa_float_denorm_mode_32 3
		.amdhsa_float_denorm_mode_16_64 3
		.amdhsa_dx10_clamp 1
		.amdhsa_ieee_mode 1
		.amdhsa_fp16_overflow 0
		.amdhsa_workgroup_processor_mode 1
		.amdhsa_memory_ordered 1
		.amdhsa_forward_progress 0
		.amdhsa_shared_vgpr_count 0
		.amdhsa_exception_fp_ieee_invalid_op 0
		.amdhsa_exception_fp_denorm_src 0
		.amdhsa_exception_fp_ieee_div_zero 0
		.amdhsa_exception_fp_ieee_overflow 0
		.amdhsa_exception_fp_ieee_underflow 0
		.amdhsa_exception_fp_ieee_inexact 0
		.amdhsa_exception_int_div_zero 0
	.end_amdhsa_kernel
	.section	.text._ZL30rocblas_trmm_outofplace_kernelIfLi32ELi2ELb0ELb0ELb0ELb0EPKfS0_fEv17rocblas_diagonal_iiT6_lPT7_lllS5_lllPT8_llli,"axG",@progbits,_ZL30rocblas_trmm_outofplace_kernelIfLi32ELi2ELb0ELb0ELb0ELb0EPKfS0_fEv17rocblas_diagonal_iiT6_lPT7_lllS5_lllPT8_llli,comdat
.Lfunc_end12:
	.size	_ZL30rocblas_trmm_outofplace_kernelIfLi32ELi2ELb0ELb0ELb0ELb0EPKfS0_fEv17rocblas_diagonal_iiT6_lPT7_lllS5_lllPT8_llli, .Lfunc_end12-_ZL30rocblas_trmm_outofplace_kernelIfLi32ELi2ELb0ELb0ELb0ELb0EPKfS0_fEv17rocblas_diagonal_iiT6_lPT7_lllS5_lllPT8_llli
                                        ; -- End function
	.section	.AMDGPU.csdata,"",@progbits
; Kernel info:
; codeLenInByte = 3496
; NumSgprs: 46
; NumVgprs: 96
; ScratchSize: 0
; MemoryBound: 0
; FloatMode: 240
; IeeeMode: 1
; LDSByteSize: 8192 bytes/workgroup (compile time only)
; SGPRBlocks: 5
; VGPRBlocks: 11
; NumSGPRsForWavesPerEU: 46
; NumVGPRsForWavesPerEU: 96
; Occupancy: 16
; WaveLimiterHint : 0
; COMPUTE_PGM_RSRC2:SCRATCH_EN: 0
; COMPUTE_PGM_RSRC2:USER_SGPR: 13
; COMPUTE_PGM_RSRC2:TRAP_HANDLER: 0
; COMPUTE_PGM_RSRC2:TGID_X_EN: 1
; COMPUTE_PGM_RSRC2:TGID_Y_EN: 1
; COMPUTE_PGM_RSRC2:TGID_Z_EN: 1
; COMPUTE_PGM_RSRC2:TIDIG_COMP_CNT: 1
	.section	.text._ZL30rocblas_trmm_outofplace_kernelIfLi32ELi2ELb0ELb0ELb0ELb0EfKffEv17rocblas_diagonal_iiT6_lPT7_lllS4_lllPT8_llli,"axG",@progbits,_ZL30rocblas_trmm_outofplace_kernelIfLi32ELi2ELb0ELb0ELb0ELb0EfKffEv17rocblas_diagonal_iiT6_lPT7_lllS4_lllPT8_llli,comdat
	.globl	_ZL30rocblas_trmm_outofplace_kernelIfLi32ELi2ELb0ELb0ELb0ELb0EfKffEv17rocblas_diagonal_iiT6_lPT7_lllS4_lllPT8_llli ; -- Begin function _ZL30rocblas_trmm_outofplace_kernelIfLi32ELi2ELb0ELb0ELb0ELb0EfKffEv17rocblas_diagonal_iiT6_lPT7_lllS4_lllPT8_llli
	.p2align	8
	.type	_ZL30rocblas_trmm_outofplace_kernelIfLi32ELi2ELb0ELb0ELb0ELb0EfKffEv17rocblas_diagonal_iiT6_lPT7_lllS4_lllPT8_llli,@function
_ZL30rocblas_trmm_outofplace_kernelIfLi32ELi2ELb0ELb0ELb0ELb0EfKffEv17rocblas_diagonal_iiT6_lPT7_lllS4_lllPT8_llli: ; @_ZL30rocblas_trmm_outofplace_kernelIfLi32ELi2ELb0ELb0ELb0ELb0EfKffEv17rocblas_diagonal_iiT6_lPT7_lllS4_lllPT8_llli
; %bb.0:
	s_load_b128 s[8:11], s[0:1], 0x0
	s_waitcnt lgkmcnt(0)
	v_cmp_eq_f32_e64 s2, s11, 0
	s_delay_alu instid0(VALU_DEP_1)
	s_and_b32 vcc_lo, exec_lo, s2
	s_cbranch_vccnz .LBB13_63
; %bb.1:
	s_add_i32 s2, s10, -1
	s_delay_alu instid0(SALU_CYCLE_1) | instskip(NEXT) | instid1(SALU_CYCLE_1)
	s_ashr_i32 s3, s2, 31
	s_lshr_b32 s3, s3, 27
	s_delay_alu instid0(SALU_CYCLE_1) | instskip(NEXT) | instid1(SALU_CYCLE_1)
	s_add_i32 s2, s2, s3
	s_ashr_i32 s33, s2, 5
	s_delay_alu instid0(SALU_CYCLE_1)
	s_cmp_gt_i32 s14, s33
	s_cbranch_scc1 .LBB13_63
; %bb.2:
	s_clause 0x2
	s_load_b512 s[16:31], s[0:1], 0x18
	s_load_b256 s[36:43], s[0:1], 0x58
	s_load_b32 s34, s[0:1], 0x84
	v_dual_mov_b32 v41, 0 :: v_dual_and_b32 v10, 0x3ff, v0
	v_bfe_u32 v36, v0, 10, 10
	v_mov_b32_e32 v42, 1.0
	s_mov_b32 s12, s10
	s_delay_alu instid0(VALU_DEP_3) | instskip(SKIP_2) | instid1(VALU_DEP_3)
	v_lshl_add_u32 v6, s13, 5, v10
	v_lshlrev_b32_e32 v0, 2, v10
	v_lshlrev_b32_e32 v37, 7, v36
	v_ashrrev_i32_e32 v7, 31, v6
	v_sub_co_u32 v8, vcc_lo, s9, v6
	s_delay_alu instid0(VALU_DEP_3) | instskip(SKIP_1) | instid1(VALU_DEP_4)
	v_add_nc_u32_e32 v38, v37, v0
	v_or_b32_e32 v39, 0x1000, v0
	v_lshlrev_b64 v[2:3], 2, v[6:7]
	v_add_nc_u32_e32 v0, 16, v6
	s_waitcnt lgkmcnt(0)
	s_mul_i32 s1, s15, s31
	s_mul_hi_u32 s2, s15, s30
	s_mul_i32 s0, s15, s30
	s_add_i32 s1, s2, s1
	s_mul_i32 s3, s15, s43
	s_lshl_b64 s[0:1], s[0:1], 2
	s_mul_hi_u32 s4, s15, s42
	s_add_u32 s5, s24, s0
	s_addc_u32 s6, s25, s1
	s_lshl_b64 s[0:1], s[26:27], 2
	s_mul_i32 s2, s15, s42
	s_add_u32 s5, s5, s0
	s_addc_u32 s6, s6, s1
	s_add_i32 s3, s4, s3
	s_mul_i32 s4, s23, s15
	s_lshl_b64 s[0:1], s[2:3], 2
	v_add_nc_u32_e32 v40, v39, v37
	s_add_u32 s2, s36, s0
	s_addc_u32 s3, s37, s1
	s_lshl_b64 s[0:1], s[38:39], 2
	v_ashrrev_i32_e32 v1, 31, v0
	s_add_u32 s35, s2, s0
	s_addc_u32 s36, s3, s1
	s_cmpk_eq_i32 s8, 0x84
	v_cmp_gt_i32_e64 s1, s9, v6
	s_cselect_b32 s37, -1, 0
	s_ashr_i32 s0, s9, 31
	s_ashr_i32 s13, s10, 31
	v_sub_co_ci_u32_e32 v9, vcc_lo, s0, v7, vcc_lo
	v_add_co_u32 v4, vcc_lo, s5, v2
	s_lshl_b64 s[24:25], s[28:29], 7
	s_mul_hi_u32 s5, s22, s15
	s_add_u32 s26, s10, -16
	s_addc_u32 s27, s13, -1
	s_add_i32 s5, s5, s4
	s_mul_i32 s4, s22, s15
	v_add_co_ci_u32_e32 v5, vcc_lo, s6, v3, vcc_lo
	s_lshl_b32 s3, s14, 5
	s_lshl_b64 s[4:5], s[4:5], 2
	s_lshl_b64 s[6:7], s[18:19], 2
	v_cmp_gt_i64_e32 vcc_lo, 1, v[8:9]
	v_cmp_gt_i64_e64 s0, 17, v[8:9]
	s_lshl_b32 s38, s34, 5
	s_lshl_b64 s[18:19], s[28:29], 2
	v_cmp_gt_i32_e64 s2, s9, v0
	v_add_nc_u32_e32 v6, s3, v10
	v_add_nc_u32_e32 v8, s3, v36
	s_add_u32 s3, s4, s6
	s_addc_u32 s4, s5, s7
	s_add_u32 s16, s16, s3
	s_addc_u32 s17, s17, s4
	s_lshl_b64 s[22:23], s[20:21], 2
	s_branch .LBB13_4
.LBB13_3:                               ;   in Loop: Header=BB13_4 Depth=1
	s_or_b32 exec_lo, exec_lo, s4
	v_add_nc_u32_e32 v6, s38, v6
	v_add_nc_u32_e32 v8, s38, v8
	s_add_i32 s14, s34, s14
	s_delay_alu instid0(SALU_CYCLE_1)
	s_cmp_le_i32 s14, s33
	s_cbranch_scc0 .LBB13_63
.LBB13_4:                               ; =>This Loop Header: Depth=1
                                        ;     Child Loop BB13_7 Depth 2
	s_lshl_b32 s3, s14, 5
	v_ashrrev_i32_e32 v7, 31, v6
	v_dual_mov_b32 v45, 0 :: v_dual_add_nc_u32 v10, s3, v36
	v_ashrrev_i32_e32 v9, 31, v8
	v_dual_mov_b32 v46, 0 :: v_dual_mov_b32 v43, 0
	s_delay_alu instid0(VALU_DEP_3) | instskip(SKIP_2) | instid1(SALU_CYCLE_1)
	v_ashrrev_i32_e32 v11, 31, v10
	v_mov_b32_e32 v44, 0
	s_sub_i32 s15, s10, s3
	s_cmp_lt_i32 s15, 1
	s_cbranch_scc1 .LBB13_55
; %bb.5:                                ;   in Loop: Header=BB13_4 Depth=1
	v_lshlrev_b64 v[16:17], 2, v[8:9]
	v_sub_co_u32 v14, s3, v8, v6
	v_mad_u64_u32 v[12:13], null, s18, v8, 64
	v_mul_lo_u32 v18, s18, v9
	v_mul_lo_u32 v19, s19, v8
	v_sub_co_ci_u32_e64 v15, s3, v9, v7, s3
	v_add_co_u32 v22, s3, v16, 64
	s_delay_alu instid0(VALU_DEP_1)
	v_add_co_ci_u32_e64 v20, s3, 0, v17, s3
	v_mad_u64_u32 v[16:17], null, s22, v8, s[16:17]
	v_mul_lo_u32 v26, s22, v9
	v_mul_lo_u32 v27, s23, v8
	v_add3_u32 v13, v19, v13, v18
	v_mul_lo_u32 v28, s20, v20
	v_mul_lo_u32 v29, s21, v22
	v_mad_u64_u32 v[18:19], null, s20, v22, s[16:17]
	v_mul_lo_u32 v30, s28, v20
	v_mul_lo_u32 v31, s29, v22
	v_mad_u64_u32 v[20:21], null, s28, v22, 64
	v_add_co_u32 v24, s3, v10, 16
	s_delay_alu instid0(VALU_DEP_1) | instskip(SKIP_2) | instid1(VALU_DEP_1)
	v_add_co_ci_u32_e64 v25, s3, 0, v11, s3
	v_add3_u32 v17, v27, v17, v26
	v_add_co_u32 v26, s5, v14, 16
	v_add_co_ci_u32_e64 v27, s5, 0, v15, s5
	v_add3_u32 v19, v29, v19, v28
	v_add_co_u32 v28, s5, v14, -16
	v_lshlrev_b64 v[22:23], 2, v[6:7]
	v_add3_u32 v21, v31, v21, v30
	v_cmp_le_i64_e64 s4, s[12:13], v[24:25]
	v_dual_mov_b32 v31, v5 :: v_dual_mov_b32 v44, 0
	v_cmp_le_i32_e64 s3, s10, v10
	v_add_co_ci_u32_e64 v29, s5, -1, v15, s5
	v_dual_mov_b32 v43, 0 :: v_dual_mov_b32 v30, v4
	v_dual_mov_b32 v45, 0 :: v_dual_mov_b32 v46, 0
	s_mov_b64 s[30:31], 0
	s_branch .LBB13_7
.LBB13_6:                               ;   in Loop: Header=BB13_7 Depth=2
	s_or_b32 exec_lo, exec_lo, s5
	s_waitcnt lgkmcnt(0)
	s_waitcnt_vscnt null, 0x0
	s_barrier
	buffer_gl0_inv
	ds_load_2addr_b32 v[74:75], v39 offset1:16
	ds_load_b128 v[32:35], v37
	ds_load_b128 v[47:50], v37 offset:2048
	ds_load_2addr_b32 v[76:77], v39 offset0:32 offset1:48
	ds_load_b128 v[51:54], v37 offset:16
	ds_load_2addr_b32 v[82:83], v39 offset0:64 offset1:80
	ds_load_b128 v[55:58], v37 offset:32
	ds_load_b128 v[59:62], v37 offset:48
	ds_load_2addr_b32 v[84:85], v39 offset0:96 offset1:112
	ds_load_2addr_b32 v[86:87], v39 offset0:128 offset1:144
	ds_load_b128 v[63:66], v37 offset:2064
	ds_load_2addr_b32 v[88:89], v39 offset0:160 offset1:176
	ds_load_2addr_b32 v[90:91], v39 offset0:192 offset1:208
	;; [unrolled: 1-line block ×3, first 2 shown]
	v_add_nc_u32_e32 v94, 0x400, v39
	v_add_co_u32 v30, s5, v30, s24
	s_delay_alu instid0(VALU_DEP_1)
	v_add_co_ci_u32_e64 v31, s5, s25, v31, s5
	v_add_co_u32 v16, s5, 0x80, v16
	s_waitcnt lgkmcnt(12)
	v_fmac_f32_e32 v45, v75, v32
	s_waitcnt lgkmcnt(11)
	v_dual_fmac_f32 v46, v74, v32 :: v_dual_fmac_f32 v43, v75, v47
	v_fmac_f32_e32 v44, v74, v47
	v_add_nc_u32_e32 v95, 0x800, v39
	s_waitcnt lgkmcnt(10)
	v_fmac_f32_e32 v45, v77, v33
	v_dual_fmac_f32 v46, v76, v33 :: v_dual_fmac_f32 v43, v77, v48
	v_fmac_f32_e32 v44, v76, v48
	ds_load_b128 v[67:70], v37 offset:2080
	ds_load_b128 v[71:74], v37 offset:2096
	s_waitcnt lgkmcnt(10)
	v_fmac_f32_e32 v45, v83, v34
	v_dual_fmac_f32 v46, v82, v34 :: v_dual_fmac_f32 v43, v83, v49
	v_fmac_f32_e32 v44, v82, v49
	ds_load_b128 v[75:78], v37 offset:64
	ds_load_b128 v[79:82], v37 offset:80
	s_waitcnt lgkmcnt(9)
	v_fmac_f32_e32 v45, v85, v35
	v_fmac_f32_e32 v46, v84, v35
	ds_load_2addr_b32 v[32:33], v94 offset1:16
	v_fmac_f32_e32 v44, v84, v50
	v_fmac_f32_e32 v43, v85, v50
	s_waitcnt lgkmcnt(9)
	v_fmac_f32_e32 v45, v87, v51
	v_fmac_f32_e32 v46, v86, v51
	ds_load_2addr_b32 v[34:35], v94 offset0:32 offset1:48
	s_waitcnt lgkmcnt(9)
	v_fmac_f32_e32 v44, v86, v63
	v_fmac_f32_e32 v43, v87, v63
	s_waitcnt lgkmcnt(8)
	v_fmac_f32_e32 v45, v89, v52
	v_fmac_f32_e32 v46, v88, v52
	ds_load_2addr_b32 v[47:48], v94 offset0:64 offset1:80
	v_fmac_f32_e32 v44, v88, v64
	v_fmac_f32_e32 v43, v89, v64
	s_waitcnt lgkmcnt(8)
	v_fmac_f32_e32 v45, v91, v53
	v_fmac_f32_e32 v46, v90, v53
	ds_load_2addr_b32 v[49:50], v94 offset0:96 offset1:112
	;; [unrolled: 6-line block ×5, first 2 shown]
	v_fmac_f32_e32 v44, v34, v68
	ds_load_2addr_b32 v[63:64], v94 offset0:224 offset1:240
	s_waitcnt lgkmcnt(5)
	v_fmac_f32_e32 v45, v48, v57
	v_fmac_f32_e32 v46, v47, v57
	v_add_co_ci_u32_e64 v17, s5, 0, v17, s5
	v_add_co_u32 v18, s5, 0x80, v18
	s_waitcnt lgkmcnt(4)
	v_fmac_f32_e32 v45, v50, v58
	v_dual_fmac_f32 v43, v35, v68 :: v_dual_fmac_f32 v46, v49, v58
	ds_load_2addr_b32 v[57:58], v95 offset1:16
	ds_load_b128 v[32:35], v37 offset:2112
	s_waitcnt lgkmcnt(5)
	v_fmac_f32_e32 v45, v52, v59
	v_fmac_f32_e32 v43, v48, v69
	;; [unrolled: 1-line block ×4, first 2 shown]
	v_add_co_ci_u32_e64 v19, s5, 0, v19, s5
	s_waitcnt lgkmcnt(4)
	v_fmac_f32_e32 v45, v54, v60
	v_fmac_f32_e32 v43, v50, v70
	;; [unrolled: 1-line block ×4, first 2 shown]
	ds_load_b128 v[47:50], v37 offset:2128
	s_waitcnt lgkmcnt(4)
	v_fmac_f32_e32 v45, v56, v61
	v_fmac_f32_e32 v43, v52, v71
	;; [unrolled: 1-line block ×3, first 2 shown]
	ds_load_2addr_b32 v[51:52], v95 offset0:32 offset1:48
	s_waitcnt lgkmcnt(4)
	v_dual_fmac_f32 v46, v55, v61 :: v_dual_fmac_f32 v45, v64, v62
	v_fmac_f32_e32 v43, v54, v72
	v_fmac_f32_e32 v44, v53, v72
	ds_load_2addr_b32 v[53:54], v95 offset0:64 offset1:80
	v_fmac_f32_e32 v46, v63, v62
	ds_load_2addr_b32 v[59:60], v95 offset0:128 offset1:144
	v_fmac_f32_e32 v43, v56, v73
	v_fmac_f32_e32 v44, v55, v73
	ds_load_2addr_b32 v[55:56], v95 offset0:96 offset1:112
	ds_load_2addr_b32 v[61:62], v95 offset0:192 offset1:208
	s_add_u32 s30, s30, 32
	v_fmac_f32_e32 v43, v64, v74
	s_waitcnt lgkmcnt(7)
	v_dual_fmac_f32 v44, v63, v74 :: v_dual_fmac_f32 v45, v58, v75
	v_fmac_f32_e32 v46, v57, v75
	ds_load_2addr_b32 v[63:64], v95 offset0:224 offset1:240
	s_waitcnt lgkmcnt(7)
	v_fmac_f32_e32 v43, v58, v32
	v_fmac_f32_e32 v44, v57, v32
	s_waitcnt lgkmcnt(5)
	v_fmac_f32_e32 v45, v52, v76
	ds_load_2addr_b32 v[57:58], v95 offset0:160 offset1:176
	v_dual_fmac_f32 v46, v51, v76 :: v_dual_fmac_f32 v43, v52, v33
	v_fmac_f32_e32 v44, v51, v33
	s_waitcnt lgkmcnt(5)
	v_fmac_f32_e32 v45, v54, v77
	s_delay_alu instid0(VALU_DEP_3)
	v_dual_fmac_f32 v46, v53, v77 :: v_dual_add_nc_u32 v69, 0xc00, v39
	v_fmac_f32_e32 v43, v54, v34
	v_fmac_f32_e32 v44, v53, v34
	s_waitcnt lgkmcnt(3)
	v_fmac_f32_e32 v45, v56, v78
	s_addc_u32 s31, s31, 0
	v_fmac_f32_e32 v46, v55, v78
	s_cmp_ge_i32 s30, s15
	v_fmac_f32_e32 v44, v55, v35
	s_delay_alu instid0(VALU_DEP_1) | instskip(SKIP_1) | instid1(VALU_DEP_1)
	v_fmac_f32_e32 v44, v59, v47
	s_waitcnt lgkmcnt(0)
	v_dual_fmac_f32 v45, v60, v79 :: v_dual_fmac_f32 v44, v57, v48
	s_delay_alu instid0(VALU_DEP_1)
	v_dual_fmac_f32 v46, v59, v79 :: v_dual_fmac_f32 v45, v58, v80
	v_fmac_f32_e32 v43, v56, v35
	ds_load_2addr_b32 v[65:66], v69 offset1:16
	ds_load_b128 v[32:35], v37 offset:96
	ds_load_b128 v[51:54], v37 offset:2144
	v_fmac_f32_e32 v46, v57, v80
	ds_load_2addr_b32 v[67:68], v69 offset0:64 offset1:80
	v_fmac_f32_e32 v43, v60, v47
	ds_load_2addr_b32 v[59:60], v69 offset0:32 offset1:48
	v_fmac_f32_e32 v46, v61, v81
	v_fmac_f32_e32 v45, v62, v81
	s_delay_alu instid0(VALU_DEP_2) | instskip(NEXT) | instid1(VALU_DEP_2)
	v_dual_fmac_f32 v43, v58, v48 :: v_dual_fmac_f32 v46, v63, v82
	v_dual_fmac_f32 v44, v61, v49 :: v_dual_fmac_f32 v45, v64, v82
	s_delay_alu instid0(VALU_DEP_2)
	v_fmac_f32_e32 v43, v62, v49
	ds_load_2addr_b32 v[61:62], v69 offset0:96 offset1:112
	v_fmac_f32_e32 v44, v63, v50
	s_waitcnt lgkmcnt(4)
	v_dual_fmac_f32 v43, v64, v50 :: v_dual_fmac_f32 v46, v65, v32
	ds_load_b128 v[47:50], v37 offset:112
	s_waitcnt lgkmcnt(4)
	v_dual_fmac_f32 v45, v66, v32 :: v_dual_fmac_f32 v44, v65, v51
	ds_load_2addr_b32 v[63:64], v69 offset0:128 offset1:144
	ds_load_b128 v[55:58], v37 offset:2160
	s_waitcnt lgkmcnt(4)
	v_dual_fmac_f32 v43, v66, v51 :: v_dual_fmac_f32 v46, v59, v33
	ds_load_2addr_b32 v[65:66], v69 offset0:160 offset1:176
	v_dual_fmac_f32 v45, v60, v33 :: v_dual_fmac_f32 v44, v59, v52
	v_dual_fmac_f32 v43, v60, v52 :: v_dual_fmac_f32 v46, v67, v34
	ds_load_2addr_b32 v[32:33], v69 offset0:192 offset1:208
	v_dual_fmac_f32 v45, v68, v34 :: v_dual_fmac_f32 v44, v67, v53
	s_waitcnt lgkmcnt(5)
	v_dual_fmac_f32 v43, v68, v53 :: v_dual_fmac_f32 v46, v61, v35
	ds_load_2addr_b32 v[51:52], v69 offset0:224 offset1:240
	v_dual_fmac_f32 v45, v62, v35 :: v_dual_fmac_f32 v44, v61, v54
	v_fmac_f32_e32 v43, v62, v54
	s_waitcnt lgkmcnt(0)
	s_barrier
	v_fmac_f32_e32 v46, v63, v47
	v_fmac_f32_e32 v45, v64, v47
	buffer_gl0_inv
	v_fmac_f32_e32 v46, v65, v48
	v_dual_fmac_f32 v44, v63, v55 :: v_dual_fmac_f32 v45, v66, v48
	v_fmac_f32_e32 v43, v64, v55
	s_delay_alu instid0(VALU_DEP_3) | instskip(NEXT) | instid1(VALU_DEP_3)
	v_fmac_f32_e32 v46, v32, v49
	v_fmac_f32_e32 v44, v65, v56
	s_delay_alu instid0(VALU_DEP_4) | instskip(NEXT) | instid1(VALU_DEP_3)
	v_fmac_f32_e32 v45, v33, v49
	v_dual_fmac_f32 v43, v66, v56 :: v_dual_fmac_f32 v46, v51, v50
	s_delay_alu instid0(VALU_DEP_3) | instskip(NEXT) | instid1(VALU_DEP_3)
	v_fmac_f32_e32 v44, v32, v57
	v_fmac_f32_e32 v45, v52, v50
	s_delay_alu instid0(VALU_DEP_2) | instskip(NEXT) | instid1(VALU_DEP_1)
	v_dual_fmac_f32 v43, v33, v57 :: v_dual_fmac_f32 v44, v51, v58
	v_fmac_f32_e32 v43, v52, v58
	s_cbranch_scc1 .LBB13_55
.LBB13_7:                               ;   Parent Loop BB13_4 Depth=1
                                        ; =>  This Inner Loop Header: Depth=2
	v_add_co_u32 v32, s5, v6, s30
	s_delay_alu instid0(VALU_DEP_1) | instskip(SKIP_1) | instid1(VALU_DEP_2)
	v_add_co_ci_u32_e64 v33, s5, s31, v7, s5
	v_cmp_eq_u64_e64 s7, s[30:31], v[14:15]
	v_cmp_lt_i64_e64 s5, v[32:33], v[10:11]
	v_cmp_le_i64_e64 s6, s[12:13], v[32:33]
	s_delay_alu instid0(VALU_DEP_3) | instskip(SKIP_1) | instid1(VALU_DEP_3)
	s_and_b32 s42, s37, s7
	v_add_co_u32 v34, s7, v16, v22
	s_or_b32 s8, s3, s5
	v_add_co_ci_u32_e64 v35, s7, v17, v23, s7
	s_delay_alu instid0(VALU_DEP_3) | instskip(NEXT) | instid1(SALU_CYCLE_1)
	s_or_b32 s8, s6, s8
	s_or_b32 s7, s8, s42
	s_delay_alu instid0(SALU_CYCLE_1) | instskip(NEXT) | instid1(SALU_CYCLE_1)
	s_xor_b32 s7, s7, -1
	s_and_saveexec_b32 s8, s7
	s_delay_alu instid0(SALU_CYCLE_1)
	s_xor_b32 s7, exec_lo, s8
	s_cbranch_execz .LBB13_9
; %bb.8:                                ;   in Loop: Header=BB13_7 Depth=2
	global_load_b32 v47, v[34:35], off
	s_waitcnt vmcnt(0)
	ds_store_b32 v38, v47
.LBB13_9:                               ;   in Loop: Header=BB13_7 Depth=2
	s_or_saveexec_b32 s7, s7
	s_xor_b32 s39, s42, -1
	s_xor_b32 exec_lo, exec_lo, s7
	s_cbranch_execz .LBB13_15
; %bb.10:                               ;   in Loop: Header=BB13_7 Depth=2
	s_and_saveexec_b32 s8, s39
	s_delay_alu instid0(SALU_CYCLE_1)
	s_xor_b32 s8, exec_lo, s8
	s_cbranch_execz .LBB13_12
; %bb.11:                               ;   in Loop: Header=BB13_7 Depth=2
	ds_store_b32 v38, v41
.LBB13_12:                              ;   in Loop: Header=BB13_7 Depth=2
	s_and_not1_saveexec_b32 s8, s8
	s_cbranch_execz .LBB13_14
; %bb.13:                               ;   in Loop: Header=BB13_7 Depth=2
	ds_store_b32 v38, v42
.LBB13_14:                              ;   in Loop: Header=BB13_7 Depth=2
	s_or_b32 exec_lo, exec_lo, s8
.LBB13_15:                              ;   in Loop: Header=BB13_7 Depth=2
	s_delay_alu instid0(SALU_CYCLE_1) | instskip(SKIP_1) | instid1(VALU_DEP_1)
	s_or_b32 exec_lo, exec_lo, s7
	v_add_co_u32 v47, s7, v32, 16
	v_add_co_ci_u32_e64 v48, s7, 0, v33, s7
	v_cmp_eq_u64_e64 s9, s[30:31], v[28:29]
	s_delay_alu instid0(VALU_DEP_2) | instskip(SKIP_1) | instid1(VALU_DEP_3)
	v_cmp_lt_i64_e64 s8, v[47:48], v[10:11]
	v_cmp_le_i64_e64 s7, s[12:13], v[47:48]
	s_and_b32 s9, s37, s9
	s_delay_alu instid0(VALU_DEP_2)
	s_or_b32 s8, s3, s8
	s_delay_alu instid0(VALU_DEP_1) | instid1(SALU_CYCLE_1)
	s_or_b32 s8, s7, s8
	s_delay_alu instid0(SALU_CYCLE_1) | instskip(NEXT) | instid1(SALU_CYCLE_1)
	s_or_b32 s8, s8, s9
	s_xor_b32 s8, s8, -1
	s_delay_alu instid0(SALU_CYCLE_1) | instskip(NEXT) | instid1(SALU_CYCLE_1)
	s_and_saveexec_b32 s43, s8
	s_xor_b32 s8, exec_lo, s43
	s_cbranch_execz .LBB13_17
; %bb.16:                               ;   in Loop: Header=BB13_7 Depth=2
	global_load_b32 v34, v[34:35], off offset:64
	s_waitcnt vmcnt(0)
	ds_store_b32 v38, v34 offset:64
.LBB13_17:                              ;   in Loop: Header=BB13_7 Depth=2
	s_and_not1_saveexec_b32 s8, s8
	s_cbranch_execz .LBB13_23
; %bb.18:                               ;   in Loop: Header=BB13_7 Depth=2
	s_xor_b32 s9, s9, -1
	s_delay_alu instid0(SALU_CYCLE_1) | instskip(NEXT) | instid1(SALU_CYCLE_1)
	s_and_saveexec_b32 s43, s9
	s_xor_b32 s9, exec_lo, s43
	s_cbranch_execz .LBB13_20
; %bb.19:                               ;   in Loop: Header=BB13_7 Depth=2
	ds_store_b32 v38, v41 offset:64
.LBB13_20:                              ;   in Loop: Header=BB13_7 Depth=2
	s_and_not1_saveexec_b32 s9, s9
	s_cbranch_execz .LBB13_22
; %bb.21:                               ;   in Loop: Header=BB13_7 Depth=2
	ds_store_b32 v38, v42 offset:64
.LBB13_22:                              ;   in Loop: Header=BB13_7 Depth=2
	s_or_b32 exec_lo, exec_lo, s9
.LBB13_23:                              ;   in Loop: Header=BB13_7 Depth=2
	s_delay_alu instid0(SALU_CYCLE_1) | instskip(SKIP_2) | instid1(VALU_DEP_2)
	s_or_b32 exec_lo, exec_lo, s8
	v_cmp_eq_u64_e64 s8, s[30:31], v[26:27]
	v_cmp_lt_i64_e64 s9, v[32:33], v[24:25]
	s_and_b32 s8, s37, s8
	s_delay_alu instid0(VALU_DEP_1) | instskip(NEXT) | instid1(SALU_CYCLE_1)
	s_or_b32 s9, s4, s9
	s_or_b32 s9, s9, s8
	s_delay_alu instid0(SALU_CYCLE_1) | instskip(NEXT) | instid1(SALU_CYCLE_1)
	s_or_b32 s6, s6, s9
	s_xor_b32 s6, s6, -1
	s_delay_alu instid0(SALU_CYCLE_1) | instskip(NEXT) | instid1(SALU_CYCLE_1)
	s_and_saveexec_b32 s9, s6
	s_xor_b32 s9, exec_lo, s9
	s_cbranch_execz .LBB13_25
; %bb.24:                               ;   in Loop: Header=BB13_7 Depth=2
	v_add_co_u32 v32, s6, v18, v22
	s_delay_alu instid0(VALU_DEP_1)
	v_add_co_ci_u32_e64 v33, s6, v19, v23, s6
	global_load_b32 v32, v[32:33], off
	s_waitcnt vmcnt(0)
	ds_store_b32 v38, v32 offset:2048
.LBB13_25:                              ;   in Loop: Header=BB13_7 Depth=2
	s_and_not1_saveexec_b32 s6, s9
	s_cbranch_execz .LBB13_31
; %bb.26:                               ;   in Loop: Header=BB13_7 Depth=2
	s_xor_b32 s8, s8, -1
	s_delay_alu instid0(SALU_CYCLE_1) | instskip(NEXT) | instid1(SALU_CYCLE_1)
	s_and_saveexec_b32 s9, s8
	s_xor_b32 s8, exec_lo, s9
	s_cbranch_execz .LBB13_28
; %bb.27:                               ;   in Loop: Header=BB13_7 Depth=2
	ds_store_b32 v38, v41 offset:2048
.LBB13_28:                              ;   in Loop: Header=BB13_7 Depth=2
	s_and_not1_saveexec_b32 s8, s8
	s_cbranch_execz .LBB13_30
; %bb.29:                               ;   in Loop: Header=BB13_7 Depth=2
	ds_store_b32 v38, v42 offset:2048
.LBB13_30:                              ;   in Loop: Header=BB13_7 Depth=2
	s_or_b32 exec_lo, exec_lo, s8
.LBB13_31:                              ;   in Loop: Header=BB13_7 Depth=2
	s_delay_alu instid0(SALU_CYCLE_1) | instskip(SKIP_1) | instid1(SALU_CYCLE_1)
	s_or_b32 exec_lo, exec_lo, s6
	s_or_b32 s5, s4, s5
	s_or_b32 s5, s7, s5
	s_delay_alu instid0(SALU_CYCLE_1) | instskip(NEXT) | instid1(SALU_CYCLE_1)
	s_or_b32 s5, s5, s42
	s_xor_b32 s5, s5, -1
	s_delay_alu instid0(SALU_CYCLE_1) | instskip(NEXT) | instid1(SALU_CYCLE_1)
	s_and_saveexec_b32 s6, s5
	s_xor_b32 s6, exec_lo, s6
	s_cbranch_execz .LBB13_33
; %bb.32:                               ;   in Loop: Header=BB13_7 Depth=2
	v_add_co_u32 v32, s5, v18, v22
	s_delay_alu instid0(VALU_DEP_1)
	v_add_co_ci_u32_e64 v33, s5, v19, v23, s5
	global_load_b32 v32, v[32:33], off offset:64
	s_waitcnt vmcnt(0)
	ds_store_b32 v38, v32 offset:2112
.LBB13_33:                              ;   in Loop: Header=BB13_7 Depth=2
	s_and_not1_saveexec_b32 s5, s6
	s_cbranch_execz .LBB13_39
; %bb.34:                               ;   in Loop: Header=BB13_7 Depth=2
	s_and_saveexec_b32 s6, s39
	s_delay_alu instid0(SALU_CYCLE_1)
	s_xor_b32 s6, exec_lo, s6
	s_cbranch_execz .LBB13_36
; %bb.35:                               ;   in Loop: Header=BB13_7 Depth=2
	ds_store_b32 v38, v41 offset:2112
.LBB13_36:                              ;   in Loop: Header=BB13_7 Depth=2
	s_and_not1_saveexec_b32 s6, s6
	s_cbranch_execz .LBB13_38
; %bb.37:                               ;   in Loop: Header=BB13_7 Depth=2
	ds_store_b32 v38, v42 offset:2112
.LBB13_38:                              ;   in Loop: Header=BB13_7 Depth=2
	s_or_b32 exec_lo, exec_lo, s6
.LBB13_39:                              ;   in Loop: Header=BB13_7 Depth=2
	s_delay_alu instid0(SALU_CYCLE_1) | instskip(SKIP_1) | instid1(VALU_DEP_1)
	s_or_b32 exec_lo, exec_lo, s5
	v_add_co_u32 v32, s5, v8, s30
	v_add_co_ci_u32_e64 v33, s5, s31, v9, s5
	v_add_co_u32 v34, s6, v30, v12
	s_delay_alu instid0(VALU_DEP_1) | instskip(NEXT) | instid1(VALU_DEP_3)
	v_add_co_ci_u32_e64 v35, s6, v31, v13, s6
	v_cmp_le_i64_e64 s5, s[12:13], v[32:33]
	s_delay_alu instid0(VALU_DEP_1) | instskip(NEXT) | instid1(SALU_CYCLE_1)
	s_or_b32 s6, s5, vcc_lo
	s_xor_b32 s6, s6, -1
	s_delay_alu instid0(SALU_CYCLE_1) | instskip(NEXT) | instid1(SALU_CYCLE_1)
	s_and_saveexec_b32 s7, s6
	s_xor_b32 s6, exec_lo, s7
	s_cbranch_execz .LBB13_41
; %bb.40:                               ;   in Loop: Header=BB13_7 Depth=2
	global_load_b32 v47, v[34:35], off offset:-64
	s_waitcnt vmcnt(0)
	ds_store_b32 v40, v47
.LBB13_41:                              ;   in Loop: Header=BB13_7 Depth=2
	s_and_not1_saveexec_b32 s6, s6
	s_cbranch_execz .LBB13_43
; %bb.42:                               ;   in Loop: Header=BB13_7 Depth=2
	ds_store_b32 v40, v41
.LBB13_43:                              ;   in Loop: Header=BB13_7 Depth=2
	s_or_b32 exec_lo, exec_lo, s6
	s_or_b32 s5, s5, s0
	s_delay_alu instid0(SALU_CYCLE_1) | instskip(NEXT) | instid1(SALU_CYCLE_1)
	s_xor_b32 s5, s5, -1
	s_and_saveexec_b32 s6, s5
	s_delay_alu instid0(SALU_CYCLE_1)
	s_xor_b32 s5, exec_lo, s6
	s_cbranch_execz .LBB13_45
; %bb.44:                               ;   in Loop: Header=BB13_7 Depth=2
	global_load_b32 v34, v[34:35], off
	s_waitcnt vmcnt(0)
	ds_store_b32 v40, v34 offset:64
.LBB13_45:                              ;   in Loop: Header=BB13_7 Depth=2
	s_and_not1_saveexec_b32 s5, s5
	s_cbranch_execz .LBB13_47
; %bb.46:                               ;   in Loop: Header=BB13_7 Depth=2
	ds_store_b32 v40, v41 offset:64
.LBB13_47:                              ;   in Loop: Header=BB13_7 Depth=2
	s_or_b32 exec_lo, exec_lo, s5
	v_cmp_le_i64_e64 s5, s[26:27], v[32:33]
	s_delay_alu instid0(VALU_DEP_1) | instskip(NEXT) | instid1(SALU_CYCLE_1)
	s_or_b32 s6, s5, vcc_lo
	s_xor_b32 s6, s6, -1
	s_delay_alu instid0(SALU_CYCLE_1) | instskip(NEXT) | instid1(SALU_CYCLE_1)
	s_and_saveexec_b32 s7, s6
	s_xor_b32 s7, exec_lo, s7
	s_cbranch_execz .LBB13_49
; %bb.48:                               ;   in Loop: Header=BB13_7 Depth=2
	v_add_co_u32 v32, s6, v30, v20
	s_delay_alu instid0(VALU_DEP_1)
	v_add_co_ci_u32_e64 v33, s6, v31, v21, s6
	global_load_b32 v32, v[32:33], off offset:-64
	s_waitcnt vmcnt(0)
	ds_store_b32 v40, v32 offset:2048
.LBB13_49:                              ;   in Loop: Header=BB13_7 Depth=2
	s_and_not1_saveexec_b32 s6, s7
	s_cbranch_execz .LBB13_51
; %bb.50:                               ;   in Loop: Header=BB13_7 Depth=2
	ds_store_b32 v40, v41 offset:2048
.LBB13_51:                              ;   in Loop: Header=BB13_7 Depth=2
	s_or_b32 exec_lo, exec_lo, s6
	s_or_b32 s5, s5, s0
	s_delay_alu instid0(SALU_CYCLE_1) | instskip(NEXT) | instid1(SALU_CYCLE_1)
	s_xor_b32 s5, s5, -1
	s_and_saveexec_b32 s6, s5
	s_delay_alu instid0(SALU_CYCLE_1)
	s_xor_b32 s6, exec_lo, s6
	s_cbranch_execz .LBB13_53
; %bb.52:                               ;   in Loop: Header=BB13_7 Depth=2
	v_add_co_u32 v32, s5, v30, v20
	s_delay_alu instid0(VALU_DEP_1)
	v_add_co_ci_u32_e64 v33, s5, v31, v21, s5
	global_load_b32 v32, v[32:33], off
	s_waitcnt vmcnt(0)
	ds_store_b32 v40, v32 offset:2112
.LBB13_53:                              ;   in Loop: Header=BB13_7 Depth=2
	s_and_not1_saveexec_b32 s5, s6
	s_cbranch_execz .LBB13_6
; %bb.54:                               ;   in Loop: Header=BB13_7 Depth=2
	ds_store_b32 v40, v41 offset:2112
	s_branch .LBB13_6
.LBB13_55:                              ;   in Loop: Header=BB13_4 Depth=1
	v_mul_lo_u32 v7, v11, s40
	v_mul_lo_u32 v9, v10, s41
	v_mad_u64_u32 v[11:12], null, v10, s40, 0
	v_cmp_gt_i32_e64 s3, s10, v10
	s_delay_alu instid0(VALU_DEP_2) | instskip(NEXT) | instid1(VALU_DEP_1)
	v_add3_u32 v12, v12, v9, v7
	v_lshlrev_b64 v[11:12], 2, v[11:12]
	s_delay_alu instid0(VALU_DEP_1) | instskip(NEXT) | instid1(VALU_DEP_1)
	v_add_co_u32 v7, s4, s35, v11
	v_add_co_ci_u32_e64 v9, s4, s36, v12, s4
	s_and_b32 s4, s1, s3
	s_delay_alu instid0(SALU_CYCLE_1)
	s_and_saveexec_b32 s5, s4
	s_cbranch_execz .LBB13_57
; %bb.56:                               ;   in Loop: Header=BB13_4 Depth=1
	v_add_co_u32 v11, s4, v7, v2
	s_delay_alu instid0(VALU_DEP_1)
	v_add_co_ci_u32_e64 v12, s4, v9, v3, s4
	global_load_b32 v13, v[11:12], off
	s_waitcnt vmcnt(0)
	v_fmac_f32_e32 v13, s11, v46
	global_store_b32 v[11:12], v13, off
.LBB13_57:                              ;   in Loop: Header=BB13_4 Depth=1
	s_or_b32 exec_lo, exec_lo, s5
	s_and_b32 s3, s2, s3
	s_delay_alu instid0(SALU_CYCLE_1)
	s_and_saveexec_b32 s4, s3
	s_cbranch_execz .LBB13_59
; %bb.58:                               ;   in Loop: Header=BB13_4 Depth=1
	v_lshlrev_b64 v[11:12], 2, v[0:1]
	s_delay_alu instid0(VALU_DEP_1) | instskip(NEXT) | instid1(VALU_DEP_1)
	v_add_co_u32 v11, s3, v7, v11
	v_add_co_ci_u32_e64 v12, s3, v9, v12, s3
	global_load_b32 v7, v[11:12], off
	s_waitcnt vmcnt(0)
	v_fmac_f32_e32 v7, s11, v45
	global_store_b32 v[11:12], v7, off
.LBB13_59:                              ;   in Loop: Header=BB13_4 Depth=1
	s_or_b32 exec_lo, exec_lo, s4
	v_add_nc_u32_e32 v7, 16, v10
	s_delay_alu instid0(VALU_DEP_1) | instskip(SKIP_3) | instid1(VALU_DEP_4)
	v_ashrrev_i32_e32 v11, 31, v7
	v_mul_lo_u32 v12, v7, s41
	v_mad_u64_u32 v[9:10], null, v7, s40, 0
	v_cmp_gt_i32_e64 s3, s10, v7
	v_mul_lo_u32 v11, v11, s40
	s_delay_alu instid0(VALU_DEP_1) | instskip(NEXT) | instid1(VALU_DEP_1)
	v_add3_u32 v10, v10, v12, v11
	v_lshlrev_b64 v[9:10], 2, v[9:10]
	s_delay_alu instid0(VALU_DEP_1) | instskip(NEXT) | instid1(VALU_DEP_1)
	v_add_co_u32 v7, s4, s35, v9
	v_add_co_ci_u32_e64 v9, s4, s36, v10, s4
	s_and_b32 s4, s1, s3
	s_delay_alu instid0(SALU_CYCLE_1)
	s_and_saveexec_b32 s5, s4
	s_cbranch_execz .LBB13_61
; %bb.60:                               ;   in Loop: Header=BB13_4 Depth=1
	v_add_co_u32 v10, s4, v7, v2
	s_delay_alu instid0(VALU_DEP_1)
	v_add_co_ci_u32_e64 v11, s4, v9, v3, s4
	global_load_b32 v12, v[10:11], off
	s_waitcnt vmcnt(0)
	v_fmac_f32_e32 v12, s11, v44
	global_store_b32 v[10:11], v12, off
.LBB13_61:                              ;   in Loop: Header=BB13_4 Depth=1
	s_or_b32 exec_lo, exec_lo, s5
	s_and_b32 s3, s2, s3
	s_delay_alu instid0(SALU_CYCLE_1)
	s_and_saveexec_b32 s4, s3
	s_cbranch_execz .LBB13_3
; %bb.62:                               ;   in Loop: Header=BB13_4 Depth=1
	v_lshlrev_b64 v[10:11], 2, v[0:1]
	s_delay_alu instid0(VALU_DEP_1) | instskip(NEXT) | instid1(VALU_DEP_1)
	v_add_co_u32 v10, s3, v7, v10
	v_add_co_ci_u32_e64 v11, s3, v9, v11, s3
	global_load_b32 v7, v[10:11], off
	s_waitcnt vmcnt(0)
	v_fmac_f32_e32 v7, s11, v43
	global_store_b32 v[10:11], v7, off
	s_branch .LBB13_3
.LBB13_63:
	s_nop 0
	s_sendmsg sendmsg(MSG_DEALLOC_VGPRS)
	s_endpgm
	.section	.rodata,"a",@progbits
	.p2align	6, 0x0
	.amdhsa_kernel _ZL30rocblas_trmm_outofplace_kernelIfLi32ELi2ELb0ELb0ELb0ELb0EfKffEv17rocblas_diagonal_iiT6_lPT7_lllS4_lllPT8_llli
		.amdhsa_group_segment_fixed_size 8192
		.amdhsa_private_segment_fixed_size 0
		.amdhsa_kernarg_size 384
		.amdhsa_user_sgpr_count 13
		.amdhsa_user_sgpr_dispatch_ptr 0
		.amdhsa_user_sgpr_queue_ptr 0
		.amdhsa_user_sgpr_kernarg_segment_ptr 1
		.amdhsa_user_sgpr_dispatch_id 0
		.amdhsa_user_sgpr_private_segment_size 0
		.amdhsa_wavefront_size32 1
		.amdhsa_uses_dynamic_stack 0
		.amdhsa_enable_private_segment 0
		.amdhsa_system_sgpr_workgroup_id_x 1
		.amdhsa_system_sgpr_workgroup_id_y 1
		.amdhsa_system_sgpr_workgroup_id_z 1
		.amdhsa_system_sgpr_workgroup_info 0
		.amdhsa_system_vgpr_workitem_id 1
		.amdhsa_next_free_vgpr 96
		.amdhsa_next_free_sgpr 44
		.amdhsa_reserve_vcc 1
		.amdhsa_float_round_mode_32 0
		.amdhsa_float_round_mode_16_64 0
		.amdhsa_float_denorm_mode_32 3
		.amdhsa_float_denorm_mode_16_64 3
		.amdhsa_dx10_clamp 1
		.amdhsa_ieee_mode 1
		.amdhsa_fp16_overflow 0
		.amdhsa_workgroup_processor_mode 1
		.amdhsa_memory_ordered 1
		.amdhsa_forward_progress 0
		.amdhsa_shared_vgpr_count 0
		.amdhsa_exception_fp_ieee_invalid_op 0
		.amdhsa_exception_fp_denorm_src 0
		.amdhsa_exception_fp_ieee_div_zero 0
		.amdhsa_exception_fp_ieee_overflow 0
		.amdhsa_exception_fp_ieee_underflow 0
		.amdhsa_exception_fp_ieee_inexact 0
		.amdhsa_exception_int_div_zero 0
	.end_amdhsa_kernel
	.section	.text._ZL30rocblas_trmm_outofplace_kernelIfLi32ELi2ELb0ELb0ELb0ELb0EfKffEv17rocblas_diagonal_iiT6_lPT7_lllS4_lllPT8_llli,"axG",@progbits,_ZL30rocblas_trmm_outofplace_kernelIfLi32ELi2ELb0ELb0ELb0ELb0EfKffEv17rocblas_diagonal_iiT6_lPT7_lllS4_lllPT8_llli,comdat
.Lfunc_end13:
	.size	_ZL30rocblas_trmm_outofplace_kernelIfLi32ELi2ELb0ELb0ELb0ELb0EfKffEv17rocblas_diagonal_iiT6_lPT7_lllS4_lllPT8_llli, .Lfunc_end13-_ZL30rocblas_trmm_outofplace_kernelIfLi32ELi2ELb0ELb0ELb0ELb0EfKffEv17rocblas_diagonal_iiT6_lPT7_lllS4_lllPT8_llli
                                        ; -- End function
	.section	.AMDGPU.csdata,"",@progbits
; Kernel info:
; codeLenInByte = 3440
; NumSgprs: 46
; NumVgprs: 96
; ScratchSize: 0
; MemoryBound: 0
; FloatMode: 240
; IeeeMode: 1
; LDSByteSize: 8192 bytes/workgroup (compile time only)
; SGPRBlocks: 5
; VGPRBlocks: 11
; NumSGPRsForWavesPerEU: 46
; NumVGPRsForWavesPerEU: 96
; Occupancy: 16
; WaveLimiterHint : 0
; COMPUTE_PGM_RSRC2:SCRATCH_EN: 0
; COMPUTE_PGM_RSRC2:USER_SGPR: 13
; COMPUTE_PGM_RSRC2:TRAP_HANDLER: 0
; COMPUTE_PGM_RSRC2:TGID_X_EN: 1
; COMPUTE_PGM_RSRC2:TGID_Y_EN: 1
; COMPUTE_PGM_RSRC2:TGID_Z_EN: 1
; COMPUTE_PGM_RSRC2:TIDIG_COMP_CNT: 1
	.section	.text._ZL30rocblas_trmm_outofplace_kernelIfLi32ELi2ELb0ELb1ELb0ELb0EPKfS0_fEv17rocblas_diagonal_iiT6_lPT7_lllS5_lllPT8_llli,"axG",@progbits,_ZL30rocblas_trmm_outofplace_kernelIfLi32ELi2ELb0ELb1ELb0ELb0EPKfS0_fEv17rocblas_diagonal_iiT6_lPT7_lllS5_lllPT8_llli,comdat
	.globl	_ZL30rocblas_trmm_outofplace_kernelIfLi32ELi2ELb0ELb1ELb0ELb0EPKfS0_fEv17rocblas_diagonal_iiT6_lPT7_lllS5_lllPT8_llli ; -- Begin function _ZL30rocblas_trmm_outofplace_kernelIfLi32ELi2ELb0ELb1ELb0ELb0EPKfS0_fEv17rocblas_diagonal_iiT6_lPT7_lllS5_lllPT8_llli
	.p2align	8
	.type	_ZL30rocblas_trmm_outofplace_kernelIfLi32ELi2ELb0ELb1ELb0ELb0EPKfS0_fEv17rocblas_diagonal_iiT6_lPT7_lllS5_lllPT8_llli,@function
_ZL30rocblas_trmm_outofplace_kernelIfLi32ELi2ELb0ELb1ELb0ELb0EPKfS0_fEv17rocblas_diagonal_iiT6_lPT7_lllS5_lllPT8_llli: ; @_ZL30rocblas_trmm_outofplace_kernelIfLi32ELi2ELb0ELb1ELb0ELb0EPKfS0_fEv17rocblas_diagonal_iiT6_lPT7_lllS5_lllPT8_llli
; %bb.0:
	s_load_b512 s[16:31], s[0:1], 0x10
	s_waitcnt lgkmcnt(0)
	s_mul_i32 s2, s15, s19
	s_mul_hi_u32 s3, s15, s18
	s_delay_alu instid0(SALU_CYCLE_1) | instskip(SKIP_1) | instid1(SALU_CYCLE_1)
	s_add_i32 s3, s3, s2
	s_mul_i32 s2, s15, s18
	s_lshl_b64 s[2:3], s[2:3], 2
	s_delay_alu instid0(SALU_CYCLE_1) | instskip(SKIP_4) | instid1(VALU_DEP_1)
	s_add_u32 s2, s16, s2
	s_addc_u32 s3, s17, s3
	s_load_b32 s33, s[2:3], 0x0
	s_waitcnt lgkmcnt(0)
	v_cmp_eq_f32_e64 s2, s33, 0
	s_and_b32 vcc_lo, exec_lo, s2
	s_cbranch_vccnz .LBB14_63
; %bb.1:
	s_load_b128 s[16:19], s[0:1], 0x0
	s_waitcnt lgkmcnt(0)
	s_add_i32 s2, s18, -1
	s_delay_alu instid0(SALU_CYCLE_1) | instskip(NEXT) | instid1(SALU_CYCLE_1)
	s_ashr_i32 s3, s2, 31
	s_lshr_b32 s3, s3, 27
	s_delay_alu instid0(SALU_CYCLE_1) | instskip(NEXT) | instid1(SALU_CYCLE_1)
	s_add_i32 s2, s2, s3
	s_ashr_i32 s34, s2, 5
	s_delay_alu instid0(SALU_CYCLE_1)
	s_cmp_gt_i32 s14, s34
	s_cbranch_scc1 .LBB14_63
; %bb.2:
	s_clause 0x2
	s_load_b128 s[36:39], s[0:1], 0x70
	s_load_b32 s35, s[0:1], 0x8c
	s_load_b256 s[4:11], s[0:1], 0x50
	v_bfe_u32 v33, v0, 10, 10
	v_mov_b32_e32 v36, 0
	v_mov_b32_e32 v42, 1.0
	s_delay_alu instid0(VALU_DEP_3)
	v_lshl_add_u32 v10, v33, 2, 64
	v_lshlrev_b32_e32 v35, 7, v33
	s_waitcnt lgkmcnt(0)
	s_mul_i32 s1, s15, s39
	s_mul_hi_u32 s2, s15, s38
	v_mad_u64_u32 v[6:7], null, s4, v10, 0
	v_and_b32_e32 v32, 0x3ff, v0
	s_mul_i32 s0, s15, s38
	s_add_i32 s1, s2, s1
	v_mad_u64_u32 v[3:4], null, s4, v33, 0
	s_lshl_b64 s[0:1], s[0:1], 2
	v_lshl_add_u32 v8, s13, 5, v32
	s_add_u32 s2, s8, s0
	s_addc_u32 s3, s9, s1
	s_lshl_b64 s[0:1], s[10:11], 2
	s_delay_alu instid0(SALU_CYCLE_1)
	s_add_u32 s38, s2, s0
	v_ashrrev_i32_e32 v9, 31, v8
	s_addc_u32 s39, s3, s1
	s_cmpk_eq_i32 s16, 0x84
	v_mov_b32_e32 v2, v4
	s_cselect_b32 s40, -1, 0
	s_ashr_i32 s1, s17, 31
	v_sub_co_u32 v4, s0, s17, v8
	s_delay_alu instid0(VALU_DEP_1) | instskip(SKIP_3) | instid1(VALU_DEP_1)
	v_sub_co_ci_u32_e64 v5, s0, s1, v9, s0
	s_ashr_i32 s19, s18, 31
	s_lshl_b64 s[10:11], s[4:5], 7
	s_add_u32 s12, s18, -16
	v_cmp_gt_i64_e64 s0, 1, v[4:5]
	v_cmp_gt_i64_e64 s1, 17, v[4:5]
	v_mad_u64_u32 v[4:5], null, s5, v33, v[2:3]
	s_addc_u32 s13, s19, -1
	v_cmp_gt_i32_e32 vcc_lo, s17, v8
	v_add_nc_u32_e32 v0, 16, v8
	s_lshl_b64 s[8:9], s[30:31], 2
	v_lshlrev_b64 v[8:9], 2, v[8:9]
	s_lshl_b32 s41, s35, 5
	s_delay_alu instid0(VALU_DEP_4) | instskip(SKIP_2) | instid1(VALU_DEP_1)
	v_lshlrev_b64 v[4:5], 2, v[3:4]
	v_mov_b32_e32 v3, v7
	v_sub_co_u32 v40, s3, 0, v32
	v_sub_co_ci_u32_e64 v41, null, 0, 0, s3
	s_mul_i32 s3, s7, s15
	s_mul_hi_u32 s7, s6, s15
	s_mul_i32 s6, s6, s15
	s_add_i32 s7, s7, s3
	v_mad_u64_u32 v[12:13], null, s5, v10, v[3:4]
	s_lshl_b64 s[6:7], s[6:7], 2
	v_lshlrev_b32_e32 v34, 2, v32
	s_add_u32 s3, s6, s8
	s_addc_u32 s6, s7, s9
	s_add_u32 s3, s28, s3
	s_addc_u32 s8, s29, s6
	v_add_co_u32 v7, s3, s3, v8
	s_mul_i32 s4, s27, s15
	s_mul_hi_u32 s7, s26, s15
	v_add_co_ci_u32_e64 v11, s3, s8, v9, s3
	s_delay_alu instid0(VALU_DEP_2)
	v_add_co_u32 v10, s3, v7, 64
	v_mov_b32_e32 v7, v12
	v_or_b32_e32 v38, 0x1000, v34
	s_add_i32 s7, s7, s4
	s_mul_i32 s6, s26, s15
	s_lshl_b64 s[4:5], s[22:23], 2
	s_lshl_b64 s[6:7], s[6:7], 2
	v_add_co_ci_u32_e64 v11, s3, 0, v11, s3
	v_add_nc_u32_e32 v37, v35, v34
	v_add_nc_u32_e32 v39, v38, v35
	v_cmp_gt_i32_e64 s2, s17, v0
	v_ashrrev_i32_e32 v1, 31, v0
	v_lshl_add_u32 v2, s14, 5, v33
	s_add_u32 s3, s6, s4
	s_addc_u32 s4, s7, s5
	s_add_u32 s16, s20, s3
	s_addc_u32 s17, s21, s4
	s_lshl_b64 s[20:21], s[24:25], 2
	s_branch .LBB14_4
.LBB14_3:                               ;   in Loop: Header=BB14_4 Depth=1
	s_or_b32 exec_lo, exec_lo, s4
	v_add_nc_u32_e32 v2, s41, v2
	s_add_i32 s14, s35, s14
	s_delay_alu instid0(SALU_CYCLE_1)
	s_cmp_le_i32 s14, s34
	s_cbranch_scc0 .LBB14_63
.LBB14_4:                               ; =>This Loop Header: Depth=1
                                        ;     Child Loop BB14_7 Depth 2
	s_lshl_b32 s15, s14, 5
	v_dual_mov_b32 v44, 0 :: v_dual_mov_b32 v43, 0
	v_dual_mov_b32 v45, 0 :: v_dual_add_nc_u32 v12, s15, v33
	v_mov_b32_e32 v3, 0
	s_cmp_lt_i32 s14, 0
	s_delay_alu instid0(VALU_DEP_2)
	v_ashrrev_i32_e32 v13, 31, v12
	s_cbranch_scc1 .LBB14_55
; %bb.5:                                ;   in Loop: Header=BB14_4 Depth=1
	v_ashrrev_i32_e32 v3, 31, v2
	v_mul_lo_u32 v22, s21, v2
	v_dual_mov_b32 v27, v11 :: v_dual_mov_b32 v44, 0
	v_mov_b32_e32 v43, 0
	s_delay_alu instid0(VALU_DEP_4) | instskip(SKIP_4) | instid1(VALU_DEP_4)
	v_lshlrev_b64 v[14:15], 2, v[2:3]
	v_mul_lo_u32 v23, s20, v3
	v_mov_b32_e32 v45, 0
	s_mov_b64 s[22:23], 0
	v_mov_b32_e32 v26, v10
	v_add_co_u32 v18, s3, v14, 64
	s_delay_alu instid0(VALU_DEP_1) | instskip(SKIP_1) | instid1(VALU_DEP_3)
	v_add_co_ci_u32_e64 v16, s3, 0, v15, s3
	v_mad_u64_u32 v[14:15], null, s20, v2, s[16:17]
	v_mul_lo_u32 v25, s25, v18
	s_delay_alu instid0(VALU_DEP_3) | instskip(SKIP_2) | instid1(VALU_DEP_1)
	v_mul_lo_u32 v24, s24, v16
	v_mad_u64_u32 v[16:17], null, s24, v18, s[16:17]
	v_add_co_u32 v18, s4, v12, 16
	v_add_co_ci_u32_e64 v19, s4, 0, v13, s4
	v_add_co_u32 v20, s4, v40, v2
	s_delay_alu instid0(VALU_DEP_1) | instskip(SKIP_1) | instid1(VALU_DEP_3)
	v_add_co_ci_u32_e64 v21, s4, v41, v3, s4
	v_add3_u32 v15, v22, v15, v23
	v_add_co_u32 v22, s5, v20, 16
	s_delay_alu instid0(VALU_DEP_1)
	v_add_co_ci_u32_e64 v23, s5, 0, v21, s5
	v_add3_u32 v17, v25, v17, v24
	v_add_co_u32 v24, s5, v20, -16
	v_cmp_le_i64_e64 s4, s[18:19], v[18:19]
	v_cmp_le_i32_e64 s3, s18, v12
	v_add_co_ci_u32_e64 v25, s5, -1, v21, s5
	v_mov_b32_e32 v3, 0
	s_branch .LBB14_7
.LBB14_6:                               ;   in Loop: Header=BB14_7 Depth=2
	s_or_b32 exec_lo, exec_lo, s5
	s_waitcnt lgkmcnt(0)
	s_waitcnt_vscnt null, 0x0
	s_barrier
	buffer_gl0_inv
	ds_load_2addr_b32 v[73:74], v38 offset1:16
	ds_load_b128 v[28:31], v35
	ds_load_b128 v[46:49], v35 offset:2048
	ds_load_2addr_b32 v[75:76], v38 offset0:32 offset1:48
	ds_load_b128 v[50:53], v35 offset:16
	ds_load_2addr_b32 v[81:82], v38 offset0:64 offset1:80
	ds_load_b128 v[54:57], v35 offset:32
	ds_load_b128 v[58:61], v35 offset:48
	ds_load_2addr_b32 v[83:84], v38 offset0:96 offset1:112
	ds_load_2addr_b32 v[85:86], v38 offset0:128 offset1:144
	ds_load_b128 v[62:65], v35 offset:2064
	ds_load_2addr_b32 v[87:88], v38 offset0:160 offset1:176
	ds_load_2addr_b32 v[89:90], v38 offset0:192 offset1:208
	;; [unrolled: 1-line block ×3, first 2 shown]
	v_add_nc_u32_e32 v93, 0x400, v38
	v_add_co_u32 v26, s5, v26, s10
	s_delay_alu instid0(VALU_DEP_1)
	v_add_co_ci_u32_e64 v27, s5, s11, v27, s5
	v_add_co_u32 v14, s5, 0x80, v14
	s_waitcnt lgkmcnt(12)
	v_fmac_f32_e32 v44, v74, v28
	v_dual_fmac_f32 v45, v73, v28 :: v_dual_add_nc_u32 v94, 0x800, v38
	v_add_co_ci_u32_e64 v15, s5, 0, v15, s5
	s_waitcnt lgkmcnt(10)
	s_delay_alu instid0(VALU_DEP_3) | instskip(NEXT) | instid1(VALU_DEP_3)
	v_fmac_f32_e32 v44, v76, v29
	v_fmac_f32_e32 v45, v75, v29
	v_add_co_u32 v16, s5, 0x80, v16
	s_add_u32 s22, s22, 32
	s_waitcnt lgkmcnt(8)
	v_fmac_f32_e32 v44, v82, v30
	v_fmac_f32_e32 v43, v73, v46
	ds_load_b128 v[66:69], v35 offset:2080
	ds_load_b128 v[70:73], v35 offset:2096
	v_add_co_ci_u32_e64 v17, s5, 0, v17, s5
	s_waitcnt lgkmcnt(7)
	v_fmac_f32_e32 v44, v84, v31
	v_fmac_f32_e32 v43, v75, v47
	s_addc_u32 s23, s23, 0
	s_sub_i32 s6, s22, 32
	s_waitcnt lgkmcnt(6)
	v_fmac_f32_e32 v44, v86, v50
	v_fmac_f32_e32 v3, v74, v46
	;; [unrolled: 1-line block ×3, first 2 shown]
	s_cmp_ge_i32 s6, s15
	s_waitcnt lgkmcnt(4)
	v_fmac_f32_e32 v44, v88, v51
	v_fmac_f32_e32 v3, v76, v47
	s_waitcnt lgkmcnt(3)
	s_delay_alu instid0(VALU_DEP_2)
	v_dual_fmac_f32 v43, v83, v49 :: v_dual_fmac_f32 v44, v90, v52
	v_fmac_f32_e32 v45, v81, v30
	ds_load_b128 v[74:77], v35 offset:64
	ds_load_b128 v[78:81], v35 offset:80
	ds_load_2addr_b32 v[28:29], v93 offset1:16
	ds_load_2addr_b32 v[46:47], v93 offset0:64 offset1:80
	s_waitcnt lgkmcnt(6)
	v_dual_fmac_f32 v44, v92, v53 :: v_dual_fmac_f32 v3, v82, v48
	s_waitcnt lgkmcnt(1)
	s_delay_alu instid0(VALU_DEP_1)
	v_dual_fmac_f32 v44, v29, v54 :: v_dual_fmac_f32 v3, v84, v49
	ds_load_2addr_b32 v[48:49], v93 offset0:96 offset1:112
	v_fmac_f32_e32 v45, v83, v31
	ds_load_2addr_b32 v[30:31], v93 offset0:32 offset1:48
	s_waitcnt lgkmcnt(0)
	v_dual_fmac_f32 v44, v31, v55 :: v_dual_fmac_f32 v3, v86, v62
	s_delay_alu instid0(VALU_DEP_1) | instskip(NEXT) | instid1(VALU_DEP_1)
	v_fmac_f32_e32 v44, v47, v56
	v_fmac_f32_e32 v44, v49, v57
	v_fmac_f32_e32 v45, v85, v50
	s_delay_alu instid0(VALU_DEP_1) | instskip(SKIP_3) | instid1(VALU_DEP_1)
	v_fmac_f32_e32 v45, v87, v51
	ds_load_2addr_b32 v[50:51], v93 offset0:128 offset1:144
	v_fmac_f32_e32 v3, v88, v63
	v_fmac_f32_e32 v45, v89, v52
	;; [unrolled: 1-line block ×3, first 2 shown]
	ds_load_2addr_b32 v[52:53], v93 offset0:160 offset1:176
	v_fmac_f32_e32 v45, v28, v54
	s_delay_alu instid0(VALU_DEP_1)
	v_fmac_f32_e32 v45, v30, v55
	ds_load_2addr_b32 v[54:55], v93 offset0:192 offset1:208
	s_waitcnt lgkmcnt(2)
	v_dual_fmac_f32 v44, v51, v58 :: v_dual_fmac_f32 v3, v90, v64
	v_fmac_f32_e32 v45, v46, v56
	s_waitcnt lgkmcnt(1)
	s_delay_alu instid0(VALU_DEP_1) | instskip(SKIP_3) | instid1(VALU_DEP_1)
	v_dual_fmac_f32 v45, v48, v57 :: v_dual_fmac_f32 v44, v53, v59
	ds_load_2addr_b32 v[56:57], v94 offset1:16
	v_fmac_f32_e32 v45, v50, v58
	s_waitcnt lgkmcnt(1)
	v_dual_fmac_f32 v45, v52, v59 :: v_dual_fmac_f32 v44, v55, v60
	v_fmac_f32_e32 v43, v85, v62
	ds_load_2addr_b32 v[58:59], v94 offset0:128 offset1:144
	v_fmac_f32_e32 v3, v92, v65
	v_fmac_f32_e32 v45, v54, v60
	;; [unrolled: 1-line block ×3, first 2 shown]
	ds_load_2addr_b32 v[62:63], v93 offset0:224 offset1:240
	v_fmac_f32_e32 v3, v29, v66
	v_fmac_f32_e32 v43, v89, v64
	s_delay_alu instid0(VALU_DEP_2) | instskip(NEXT) | instid1(VALU_DEP_1)
	v_fmac_f32_e32 v3, v31, v67
	v_fmac_f32_e32 v3, v47, v68
	s_delay_alu instid0(VALU_DEP_1)
	v_fmac_f32_e32 v3, v49, v69
	s_waitcnt lgkmcnt(0)
	v_fmac_f32_e32 v45, v62, v61
	v_fmac_f32_e32 v44, v63, v61
	ds_load_2addr_b32 v[60:61], v94 offset0:192 offset1:208
	v_fmac_f32_e32 v43, v91, v65
	v_fmac_f32_e32 v3, v51, v70
	;; [unrolled: 1-line block ×4, first 2 shown]
	s_delay_alu instid0(VALU_DEP_4) | instskip(NEXT) | instid1(VALU_DEP_4)
	v_fmac_f32_e32 v43, v28, v66
	v_fmac_f32_e32 v3, v53, v71
	s_delay_alu instid0(VALU_DEP_2) | instskip(SKIP_3) | instid1(VALU_DEP_2)
	v_fmac_f32_e32 v43, v30, v67
	ds_load_b128 v[28:31], v35 offset:2112
	v_fmac_f32_e32 v3, v55, v72
	v_dual_fmac_f32 v43, v46, v68 :: v_dual_add_nc_u32 v68, 0xc00, v38
	v_fmac_f32_e32 v3, v63, v73
	s_delay_alu instid0(VALU_DEP_2)
	v_fmac_f32_e32 v43, v48, v69
	ds_load_b128 v[46:49], v35 offset:2128
	v_fmac_f32_e32 v43, v50, v70
	ds_load_2addr_b32 v[50:51], v94 offset0:32 offset1:48
	v_fmac_f32_e32 v43, v52, v71
	ds_load_2addr_b32 v[52:53], v94 offset0:64 offset1:80
	s_waitcnt lgkmcnt(3)
	v_fmac_f32_e32 v3, v57, v28
	v_fmac_f32_e32 v43, v54, v72
	ds_load_2addr_b32 v[54:55], v94 offset0:96 offset1:112
	v_fmac_f32_e32 v43, v62, v73
	ds_load_2addr_b32 v[62:63], v94 offset0:224 offset1:240
	v_fmac_f32_e32 v43, v56, v28
	s_waitcnt lgkmcnt(3)
	v_fmac_f32_e32 v45, v50, v75
	v_fmac_f32_e32 v44, v51, v75
	ds_load_2addr_b32 v[56:57], v94 offset0:160 offset1:176
	v_fmac_f32_e32 v3, v51, v29
	v_fmac_f32_e32 v43, v50, v29
	s_waitcnt lgkmcnt(3)
	v_fmac_f32_e32 v45, v52, v76
	v_fmac_f32_e32 v44, v53, v76
	;; [unrolled: 1-line block ×4, first 2 shown]
	s_waitcnt lgkmcnt(2)
	v_fmac_f32_e32 v45, v54, v77
	v_fmac_f32_e32 v44, v55, v77
	;; [unrolled: 1-line block ×4, first 2 shown]
	s_delay_alu instid0(VALU_DEP_4) | instskip(NEXT) | instid1(VALU_DEP_4)
	v_fmac_f32_e32 v45, v58, v78
	v_fmac_f32_e32 v44, v59, v78
	ds_load_2addr_b32 v[64:65], v68 offset1:16
	ds_load_b128 v[28:31], v35 offset:96
	v_fmac_f32_e32 v3, v59, v46
	v_fmac_f32_e32 v43, v58, v46
	ds_load_b128 v[50:53], v35 offset:2144
	ds_load_2addr_b32 v[58:59], v68 offset0:32 offset1:48
	s_waitcnt lgkmcnt(4)
	v_fmac_f32_e32 v45, v56, v79
	v_fmac_f32_e32 v44, v57, v79
	;; [unrolled: 1-line block ×4, first 2 shown]
	ds_load_2addr_b32 v[66:67], v68 offset0:64 offset1:80
	v_fmac_f32_e32 v45, v60, v80
	v_fmac_f32_e32 v44, v61, v80
	;; [unrolled: 1-line block ×4, first 2 shown]
	ds_load_2addr_b32 v[60:61], v68 offset0:96 offset1:112
	v_fmac_f32_e32 v45, v62, v81
	v_fmac_f32_e32 v44, v63, v81
	v_fmac_f32_e32 v43, v62, v49
	v_fmac_f32_e32 v3, v63, v49
	ds_load_b128 v[46:49], v35 offset:112
	s_waitcnt lgkmcnt(5)
	v_fmac_f32_e32 v45, v64, v28
	v_fmac_f32_e32 v44, v65, v28
	ds_load_2addr_b32 v[62:63], v68 offset0:128 offset1:144
	ds_load_b128 v[54:57], v35 offset:2160
	s_waitcnt lgkmcnt(6)
	v_fmac_f32_e32 v43, v64, v50
	v_fmac_f32_e32 v3, v65, v50
	s_waitcnt lgkmcnt(5)
	v_fmac_f32_e32 v45, v58, v29
	ds_load_2addr_b32 v[64:65], v68 offset0:160 offset1:176
	v_dual_fmac_f32 v44, v59, v29 :: v_dual_fmac_f32 v43, v58, v51
	v_fmac_f32_e32 v3, v59, v51
	s_waitcnt lgkmcnt(5)
	v_fmac_f32_e32 v45, v66, v30
	ds_load_2addr_b32 v[28:29], v68 offset0:192 offset1:208
	v_dual_fmac_f32 v44, v67, v30 :: v_dual_fmac_f32 v43, v66, v52
	;; [unrolled: 5-line block ×3, first 2 shown]
	v_fmac_f32_e32 v3, v61, v53
	s_waitcnt lgkmcnt(0)
	v_fmac_f32_e32 v45, v62, v46
	s_delay_alu instid0(VALU_DEP_3)
	v_fmac_f32_e32 v44, v63, v46
	v_fmac_f32_e32 v43, v62, v54
	;; [unrolled: 1-line block ×3, first 2 shown]
	s_barrier
	v_fmac_f32_e32 v45, v64, v47
	v_fmac_f32_e32 v44, v65, v47
	;; [unrolled: 1-line block ×4, first 2 shown]
	buffer_gl0_inv
	v_fmac_f32_e32 v45, v28, v48
	v_fmac_f32_e32 v44, v29, v48
	;; [unrolled: 1-line block ×4, first 2 shown]
	s_delay_alu instid0(VALU_DEP_4) | instskip(NEXT) | instid1(VALU_DEP_4)
	v_fmac_f32_e32 v45, v50, v49
	v_fmac_f32_e32 v44, v51, v49
	s_delay_alu instid0(VALU_DEP_4) | instskip(NEXT) | instid1(VALU_DEP_4)
	v_fmac_f32_e32 v43, v50, v57
	v_fmac_f32_e32 v3, v51, v57
	s_cbranch_scc1 .LBB14_55
.LBB14_7:                               ;   Parent Loop BB14_4 Depth=1
                                        ; =>  This Inner Loop Header: Depth=2
	v_add_co_u32 v28, s5, v32, s22
	s_delay_alu instid0(VALU_DEP_1) | instskip(SKIP_1) | instid1(VALU_DEP_2)
	v_add_co_ci_u32_e64 v29, null, 0, s23, s5
	v_cmp_eq_u64_e64 s6, s[22:23], v[20:21]
	v_cmp_gt_i64_e64 s5, v[28:29], v[12:13]
	s_delay_alu instid0(VALU_DEP_2) | instskip(SKIP_1) | instid1(VALU_DEP_2)
	s_and_b32 s27, s40, s6
	v_cmp_le_i64_e64 s6, s[18:19], v[28:29]
	s_or_b32 s7, s3, s5
	s_delay_alu instid0(SALU_CYCLE_1) | instskip(SKIP_1) | instid1(VALU_DEP_1)
	s_or_b32 s8, s7, s27
	v_add_co_u32 v30, s7, v14, v34
	v_add_co_ci_u32_e64 v31, s7, 0, v15, s7
	s_delay_alu instid0(VALU_DEP_3) | instskip(NEXT) | instid1(SALU_CYCLE_1)
	s_or_b32 s7, s6, s8
	s_xor_b32 s7, s7, -1
	s_delay_alu instid0(SALU_CYCLE_1) | instskip(NEXT) | instid1(SALU_CYCLE_1)
	s_and_saveexec_b32 s8, s7
	s_xor_b32 s7, exec_lo, s8
	s_cbranch_execz .LBB14_9
; %bb.8:                                ;   in Loop: Header=BB14_7 Depth=2
	global_load_b32 v46, v[30:31], off
	s_waitcnt vmcnt(0)
	ds_store_b32 v37, v46
.LBB14_9:                               ;   in Loop: Header=BB14_7 Depth=2
	s_or_saveexec_b32 s7, s7
	s_xor_b32 s26, s27, -1
	s_xor_b32 exec_lo, exec_lo, s7
	s_cbranch_execz .LBB14_15
; %bb.10:                               ;   in Loop: Header=BB14_7 Depth=2
	s_and_saveexec_b32 s8, s26
	s_delay_alu instid0(SALU_CYCLE_1)
	s_xor_b32 s8, exec_lo, s8
	s_cbranch_execz .LBB14_12
; %bb.11:                               ;   in Loop: Header=BB14_7 Depth=2
	ds_store_b32 v37, v36
.LBB14_12:                              ;   in Loop: Header=BB14_7 Depth=2
	s_and_not1_saveexec_b32 s8, s8
	s_cbranch_execz .LBB14_14
; %bb.13:                               ;   in Loop: Header=BB14_7 Depth=2
	ds_store_b32 v37, v42
.LBB14_14:                              ;   in Loop: Header=BB14_7 Depth=2
	s_or_b32 exec_lo, exec_lo, s8
.LBB14_15:                              ;   in Loop: Header=BB14_7 Depth=2
	s_delay_alu instid0(SALU_CYCLE_1) | instskip(SKIP_1) | instid1(VALU_DEP_1)
	s_or_b32 exec_lo, exec_lo, s7
	v_add_co_u32 v46, s7, v28, 16
	v_add_co_ci_u32_e64 v47, s7, 0, v29, s7
	v_cmp_eq_u64_e64 s8, s[22:23], v[24:25]
	s_delay_alu instid0(VALU_DEP_2) | instskip(SKIP_1) | instid1(VALU_DEP_3)
	v_cmp_gt_i64_e64 s9, v[46:47], v[12:13]
	v_cmp_le_i64_e64 s7, s[18:19], v[46:47]
	s_and_b32 s28, s40, s8
	s_delay_alu instid0(VALU_DEP_2) | instskip(NEXT) | instid1(SALU_CYCLE_1)
	s_or_b32 s8, s3, s9
	s_or_b32 s8, s8, s28
	s_delay_alu instid0(VALU_DEP_1) | instid1(SALU_CYCLE_1)
	s_or_b32 s8, s7, s8
	s_delay_alu instid0(SALU_CYCLE_1) | instskip(NEXT) | instid1(SALU_CYCLE_1)
	s_xor_b32 s8, s8, -1
	s_and_saveexec_b32 s9, s8
	s_delay_alu instid0(SALU_CYCLE_1)
	s_xor_b32 s8, exec_lo, s9
	s_cbranch_execz .LBB14_17
; %bb.16:                               ;   in Loop: Header=BB14_7 Depth=2
	global_load_b32 v30, v[30:31], off offset:64
	s_waitcnt vmcnt(0)
	ds_store_b32 v37, v30 offset:64
.LBB14_17:                              ;   in Loop: Header=BB14_7 Depth=2
	s_and_not1_saveexec_b32 s8, s8
	s_cbranch_execz .LBB14_23
; %bb.18:                               ;   in Loop: Header=BB14_7 Depth=2
	s_xor_b32 s9, s28, -1
	s_delay_alu instid0(SALU_CYCLE_1) | instskip(NEXT) | instid1(SALU_CYCLE_1)
	s_and_saveexec_b32 s28, s9
	s_xor_b32 s9, exec_lo, s28
	s_cbranch_execz .LBB14_20
; %bb.19:                               ;   in Loop: Header=BB14_7 Depth=2
	ds_store_b32 v37, v36 offset:64
.LBB14_20:                              ;   in Loop: Header=BB14_7 Depth=2
	s_and_not1_saveexec_b32 s9, s9
	s_cbranch_execz .LBB14_22
; %bb.21:                               ;   in Loop: Header=BB14_7 Depth=2
	ds_store_b32 v37, v42 offset:64
.LBB14_22:                              ;   in Loop: Header=BB14_7 Depth=2
	s_or_b32 exec_lo, exec_lo, s9
.LBB14_23:                              ;   in Loop: Header=BB14_7 Depth=2
	s_delay_alu instid0(SALU_CYCLE_1) | instskip(SKIP_2) | instid1(VALU_DEP_2)
	s_or_b32 exec_lo, exec_lo, s8
	v_cmp_eq_u64_e64 s8, s[22:23], v[22:23]
	v_cmp_gt_i64_e64 s9, v[28:29], v[18:19]
	s_and_b32 s8, s40, s8
	s_delay_alu instid0(VALU_DEP_1) | instskip(NEXT) | instid1(SALU_CYCLE_1)
	s_or_b32 s9, s4, s9
	s_or_b32 s9, s9, s8
	s_delay_alu instid0(SALU_CYCLE_1) | instskip(NEXT) | instid1(SALU_CYCLE_1)
	s_or_b32 s6, s6, s9
	s_xor_b32 s6, s6, -1
	s_delay_alu instid0(SALU_CYCLE_1) | instskip(NEXT) | instid1(SALU_CYCLE_1)
	s_and_saveexec_b32 s9, s6
	s_xor_b32 s9, exec_lo, s9
	s_cbranch_execz .LBB14_25
; %bb.24:                               ;   in Loop: Header=BB14_7 Depth=2
	v_add_co_u32 v28, s6, v16, v34
	s_delay_alu instid0(VALU_DEP_1)
	v_add_co_ci_u32_e64 v29, s6, 0, v17, s6
	global_load_b32 v28, v[28:29], off
	s_waitcnt vmcnt(0)
	ds_store_b32 v37, v28 offset:2048
.LBB14_25:                              ;   in Loop: Header=BB14_7 Depth=2
	s_and_not1_saveexec_b32 s6, s9
	s_cbranch_execz .LBB14_31
; %bb.26:                               ;   in Loop: Header=BB14_7 Depth=2
	s_xor_b32 s8, s8, -1
	s_delay_alu instid0(SALU_CYCLE_1) | instskip(NEXT) | instid1(SALU_CYCLE_1)
	s_and_saveexec_b32 s9, s8
	s_xor_b32 s8, exec_lo, s9
	s_cbranch_execz .LBB14_28
; %bb.27:                               ;   in Loop: Header=BB14_7 Depth=2
	ds_store_b32 v37, v36 offset:2048
.LBB14_28:                              ;   in Loop: Header=BB14_7 Depth=2
	s_and_not1_saveexec_b32 s8, s8
	s_cbranch_execz .LBB14_30
; %bb.29:                               ;   in Loop: Header=BB14_7 Depth=2
	ds_store_b32 v37, v42 offset:2048
.LBB14_30:                              ;   in Loop: Header=BB14_7 Depth=2
	s_or_b32 exec_lo, exec_lo, s8
.LBB14_31:                              ;   in Loop: Header=BB14_7 Depth=2
	s_delay_alu instid0(SALU_CYCLE_1) | instskip(SKIP_1) | instid1(SALU_CYCLE_1)
	s_or_b32 exec_lo, exec_lo, s6
	s_or_b32 s5, s4, s5
	s_or_b32 s5, s5, s27
	s_delay_alu instid0(SALU_CYCLE_1) | instskip(NEXT) | instid1(SALU_CYCLE_1)
	s_or_b32 s5, s7, s5
	s_xor_b32 s5, s5, -1
	s_delay_alu instid0(SALU_CYCLE_1) | instskip(NEXT) | instid1(SALU_CYCLE_1)
	s_and_saveexec_b32 s6, s5
	s_xor_b32 s6, exec_lo, s6
	s_cbranch_execz .LBB14_33
; %bb.32:                               ;   in Loop: Header=BB14_7 Depth=2
	v_add_co_u32 v28, s5, v16, v34
	s_delay_alu instid0(VALU_DEP_1)
	v_add_co_ci_u32_e64 v29, s5, 0, v17, s5
	global_load_b32 v28, v[28:29], off offset:64
	s_waitcnt vmcnt(0)
	ds_store_b32 v37, v28 offset:2112
.LBB14_33:                              ;   in Loop: Header=BB14_7 Depth=2
	s_and_not1_saveexec_b32 s5, s6
	s_cbranch_execz .LBB14_39
; %bb.34:                               ;   in Loop: Header=BB14_7 Depth=2
	s_and_saveexec_b32 s6, s26
	s_delay_alu instid0(SALU_CYCLE_1)
	s_xor_b32 s6, exec_lo, s6
	s_cbranch_execz .LBB14_36
; %bb.35:                               ;   in Loop: Header=BB14_7 Depth=2
	ds_store_b32 v37, v36 offset:2112
.LBB14_36:                              ;   in Loop: Header=BB14_7 Depth=2
	s_and_not1_saveexec_b32 s6, s6
	s_cbranch_execz .LBB14_38
; %bb.37:                               ;   in Loop: Header=BB14_7 Depth=2
	ds_store_b32 v37, v42 offset:2112
.LBB14_38:                              ;   in Loop: Header=BB14_7 Depth=2
	s_or_b32 exec_lo, exec_lo, s6
.LBB14_39:                              ;   in Loop: Header=BB14_7 Depth=2
	s_delay_alu instid0(SALU_CYCLE_1) | instskip(SKIP_1) | instid1(VALU_DEP_1)
	s_or_b32 exec_lo, exec_lo, s5
	v_add_co_u32 v28, s5, v33, s22
	v_add_co_ci_u32_e64 v29, null, 0, s23, s5
	v_add_co_u32 v30, s6, v26, v4
	s_delay_alu instid0(VALU_DEP_1) | instskip(NEXT) | instid1(VALU_DEP_3)
	v_add_co_ci_u32_e64 v31, s6, v27, v5, s6
	v_cmp_le_i64_e64 s5, s[18:19], v[28:29]
	s_delay_alu instid0(VALU_DEP_1) | instskip(NEXT) | instid1(SALU_CYCLE_1)
	s_or_b32 s6, s5, s0
	s_xor_b32 s6, s6, -1
	s_delay_alu instid0(SALU_CYCLE_1) | instskip(NEXT) | instid1(SALU_CYCLE_1)
	s_and_saveexec_b32 s7, s6
	s_xor_b32 s6, exec_lo, s7
	s_cbranch_execz .LBB14_41
; %bb.40:                               ;   in Loop: Header=BB14_7 Depth=2
	global_load_b32 v46, v[30:31], off offset:-64
	s_waitcnt vmcnt(0)
	ds_store_b32 v39, v46
.LBB14_41:                              ;   in Loop: Header=BB14_7 Depth=2
	s_and_not1_saveexec_b32 s6, s6
	s_cbranch_execz .LBB14_43
; %bb.42:                               ;   in Loop: Header=BB14_7 Depth=2
	ds_store_b32 v39, v36
.LBB14_43:                              ;   in Loop: Header=BB14_7 Depth=2
	s_or_b32 exec_lo, exec_lo, s6
	s_or_b32 s5, s5, s1
	s_delay_alu instid0(SALU_CYCLE_1) | instskip(NEXT) | instid1(SALU_CYCLE_1)
	s_xor_b32 s5, s5, -1
	s_and_saveexec_b32 s6, s5
	s_delay_alu instid0(SALU_CYCLE_1)
	s_xor_b32 s5, exec_lo, s6
	s_cbranch_execz .LBB14_45
; %bb.44:                               ;   in Loop: Header=BB14_7 Depth=2
	global_load_b32 v30, v[30:31], off
	s_waitcnt vmcnt(0)
	ds_store_b32 v39, v30 offset:64
.LBB14_45:                              ;   in Loop: Header=BB14_7 Depth=2
	s_and_not1_saveexec_b32 s5, s5
	s_cbranch_execz .LBB14_47
; %bb.46:                               ;   in Loop: Header=BB14_7 Depth=2
	ds_store_b32 v39, v36 offset:64
.LBB14_47:                              ;   in Loop: Header=BB14_7 Depth=2
	s_or_b32 exec_lo, exec_lo, s5
	v_cmp_le_i64_e64 s5, s[12:13], v[28:29]
	s_delay_alu instid0(VALU_DEP_1) | instskip(NEXT) | instid1(SALU_CYCLE_1)
	s_or_b32 s6, s5, s0
	s_xor_b32 s6, s6, -1
	s_delay_alu instid0(SALU_CYCLE_1) | instskip(NEXT) | instid1(SALU_CYCLE_1)
	s_and_saveexec_b32 s7, s6
	s_xor_b32 s7, exec_lo, s7
	s_cbranch_execz .LBB14_49
; %bb.48:                               ;   in Loop: Header=BB14_7 Depth=2
	v_add_co_u32 v28, s6, v26, v6
	s_delay_alu instid0(VALU_DEP_1)
	v_add_co_ci_u32_e64 v29, s6, v27, v7, s6
	global_load_b32 v28, v[28:29], off offset:-64
	s_waitcnt vmcnt(0)
	ds_store_b32 v39, v28 offset:2048
.LBB14_49:                              ;   in Loop: Header=BB14_7 Depth=2
	s_and_not1_saveexec_b32 s6, s7
	s_cbranch_execz .LBB14_51
; %bb.50:                               ;   in Loop: Header=BB14_7 Depth=2
	ds_store_b32 v39, v36 offset:2048
.LBB14_51:                              ;   in Loop: Header=BB14_7 Depth=2
	s_or_b32 exec_lo, exec_lo, s6
	s_or_b32 s5, s5, s1
	s_delay_alu instid0(SALU_CYCLE_1) | instskip(NEXT) | instid1(SALU_CYCLE_1)
	s_xor_b32 s5, s5, -1
	s_and_saveexec_b32 s6, s5
	s_delay_alu instid0(SALU_CYCLE_1)
	s_xor_b32 s6, exec_lo, s6
	s_cbranch_execz .LBB14_53
; %bb.52:                               ;   in Loop: Header=BB14_7 Depth=2
	v_add_co_u32 v28, s5, v26, v6
	s_delay_alu instid0(VALU_DEP_1)
	v_add_co_ci_u32_e64 v29, s5, v27, v7, s5
	global_load_b32 v28, v[28:29], off
	s_waitcnt vmcnt(0)
	ds_store_b32 v39, v28 offset:2112
.LBB14_53:                              ;   in Loop: Header=BB14_7 Depth=2
	s_and_not1_saveexec_b32 s5, s6
	s_cbranch_execz .LBB14_6
; %bb.54:                               ;   in Loop: Header=BB14_7 Depth=2
	ds_store_b32 v39, v36 offset:2112
	s_branch .LBB14_6
.LBB14_55:                              ;   in Loop: Header=BB14_4 Depth=1
	s_delay_alu instid0(VALU_DEP_1) | instskip(SKIP_3) | instid1(VALU_DEP_2)
	v_mul_lo_u32 v15, v13, s36
	v_mul_lo_u32 v16, v12, s37
	v_mad_u64_u32 v[13:14], null, v12, s36, 0
	v_cmp_gt_i32_e64 s3, s18, v12
	v_add3_u32 v14, v14, v16, v15
	s_delay_alu instid0(VALU_DEP_1) | instskip(NEXT) | instid1(VALU_DEP_1)
	v_lshlrev_b64 v[13:14], 2, v[13:14]
	v_add_co_u32 v13, s4, s38, v13
	s_delay_alu instid0(VALU_DEP_1) | instskip(SKIP_1) | instid1(SALU_CYCLE_1)
	v_add_co_ci_u32_e64 v14, s4, s39, v14, s4
	s_and_b32 s4, vcc_lo, s3
	s_and_saveexec_b32 s5, s4
	s_cbranch_execz .LBB14_57
; %bb.56:                               ;   in Loop: Header=BB14_4 Depth=1
	v_add_co_u32 v15, s4, v13, v8
	s_delay_alu instid0(VALU_DEP_1)
	v_add_co_ci_u32_e64 v16, s4, v14, v9, s4
	global_load_b32 v17, v[15:16], off
	s_waitcnt vmcnt(0)
	v_fmac_f32_e32 v17, s33, v45
	global_store_b32 v[15:16], v17, off
.LBB14_57:                              ;   in Loop: Header=BB14_4 Depth=1
	s_or_b32 exec_lo, exec_lo, s5
	s_and_b32 s3, s2, s3
	s_delay_alu instid0(SALU_CYCLE_1)
	s_and_saveexec_b32 s4, s3
	s_cbranch_execz .LBB14_59
; %bb.58:                               ;   in Loop: Header=BB14_4 Depth=1
	v_lshlrev_b64 v[15:16], 2, v[0:1]
	s_delay_alu instid0(VALU_DEP_1) | instskip(NEXT) | instid1(VALU_DEP_1)
	v_add_co_u32 v13, s3, v13, v15
	v_add_co_ci_u32_e64 v14, s3, v14, v16, s3
	global_load_b32 v15, v[13:14], off
	s_waitcnt vmcnt(0)
	v_fmac_f32_e32 v15, s33, v44
	global_store_b32 v[13:14], v15, off
.LBB14_59:                              ;   in Loop: Header=BB14_4 Depth=1
	s_or_b32 exec_lo, exec_lo, s4
	v_add_nc_u32_e32 v14, 16, v12
	s_delay_alu instid0(VALU_DEP_1) | instskip(SKIP_3) | instid1(VALU_DEP_4)
	v_ashrrev_i32_e32 v15, 31, v14
	v_mul_lo_u32 v16, v14, s37
	v_mad_u64_u32 v[12:13], null, v14, s36, 0
	v_cmp_gt_i32_e64 s3, s18, v14
	v_mul_lo_u32 v15, v15, s36
	s_delay_alu instid0(VALU_DEP_1) | instskip(NEXT) | instid1(VALU_DEP_1)
	v_add3_u32 v13, v13, v16, v15
	v_lshlrev_b64 v[12:13], 2, v[12:13]
	s_delay_alu instid0(VALU_DEP_1) | instskip(NEXT) | instid1(VALU_DEP_1)
	v_add_co_u32 v12, s4, s38, v12
	v_add_co_ci_u32_e64 v13, s4, s39, v13, s4
	s_and_b32 s4, vcc_lo, s3
	s_delay_alu instid0(SALU_CYCLE_1)
	s_and_saveexec_b32 s5, s4
	s_cbranch_execz .LBB14_61
; %bb.60:                               ;   in Loop: Header=BB14_4 Depth=1
	v_add_co_u32 v14, s4, v12, v8
	s_delay_alu instid0(VALU_DEP_1)
	v_add_co_ci_u32_e64 v15, s4, v13, v9, s4
	global_load_b32 v16, v[14:15], off
	s_waitcnt vmcnt(0)
	v_fmac_f32_e32 v16, s33, v43
	global_store_b32 v[14:15], v16, off
.LBB14_61:                              ;   in Loop: Header=BB14_4 Depth=1
	s_or_b32 exec_lo, exec_lo, s5
	s_and_b32 s3, s2, s3
	s_delay_alu instid0(SALU_CYCLE_1)
	s_and_saveexec_b32 s4, s3
	s_cbranch_execz .LBB14_3
; %bb.62:                               ;   in Loop: Header=BB14_4 Depth=1
	v_lshlrev_b64 v[14:15], 2, v[0:1]
	s_delay_alu instid0(VALU_DEP_1) | instskip(NEXT) | instid1(VALU_DEP_1)
	v_add_co_u32 v12, s3, v12, v14
	v_add_co_ci_u32_e64 v13, s3, v13, v15, s3
	global_load_b32 v14, v[12:13], off
	s_waitcnt vmcnt(0)
	v_fmac_f32_e32 v14, s33, v3
	global_store_b32 v[12:13], v14, off
	s_branch .LBB14_3
.LBB14_63:
	s_nop 0
	s_sendmsg sendmsg(MSG_DEALLOC_VGPRS)
	s_endpgm
	.section	.rodata,"a",@progbits
	.p2align	6, 0x0
	.amdhsa_kernel _ZL30rocblas_trmm_outofplace_kernelIfLi32ELi2ELb0ELb1ELb0ELb0EPKfS0_fEv17rocblas_diagonal_iiT6_lPT7_lllS5_lllPT8_llli
		.amdhsa_group_segment_fixed_size 8192
		.amdhsa_private_segment_fixed_size 0
		.amdhsa_kernarg_size 392
		.amdhsa_user_sgpr_count 13
		.amdhsa_user_sgpr_dispatch_ptr 0
		.amdhsa_user_sgpr_queue_ptr 0
		.amdhsa_user_sgpr_kernarg_segment_ptr 1
		.amdhsa_user_sgpr_dispatch_id 0
		.amdhsa_user_sgpr_private_segment_size 0
		.amdhsa_wavefront_size32 1
		.amdhsa_uses_dynamic_stack 0
		.amdhsa_enable_private_segment 0
		.amdhsa_system_sgpr_workgroup_id_x 1
		.amdhsa_system_sgpr_workgroup_id_y 1
		.amdhsa_system_sgpr_workgroup_id_z 1
		.amdhsa_system_sgpr_workgroup_info 0
		.amdhsa_system_vgpr_workitem_id 1
		.amdhsa_next_free_vgpr 95
		.amdhsa_next_free_sgpr 42
		.amdhsa_reserve_vcc 1
		.amdhsa_float_round_mode_32 0
		.amdhsa_float_round_mode_16_64 0
		.amdhsa_float_denorm_mode_32 3
		.amdhsa_float_denorm_mode_16_64 3
		.amdhsa_dx10_clamp 1
		.amdhsa_ieee_mode 1
		.amdhsa_fp16_overflow 0
		.amdhsa_workgroup_processor_mode 1
		.amdhsa_memory_ordered 1
		.amdhsa_forward_progress 0
		.amdhsa_shared_vgpr_count 0
		.amdhsa_exception_fp_ieee_invalid_op 0
		.amdhsa_exception_fp_denorm_src 0
		.amdhsa_exception_fp_ieee_div_zero 0
		.amdhsa_exception_fp_ieee_overflow 0
		.amdhsa_exception_fp_ieee_underflow 0
		.amdhsa_exception_fp_ieee_inexact 0
		.amdhsa_exception_int_div_zero 0
	.end_amdhsa_kernel
	.section	.text._ZL30rocblas_trmm_outofplace_kernelIfLi32ELi2ELb0ELb1ELb0ELb0EPKfS0_fEv17rocblas_diagonal_iiT6_lPT7_lllS5_lllPT8_llli,"axG",@progbits,_ZL30rocblas_trmm_outofplace_kernelIfLi32ELi2ELb0ELb1ELb0ELb0EPKfS0_fEv17rocblas_diagonal_iiT6_lPT7_lllS5_lllPT8_llli,comdat
.Lfunc_end14:
	.size	_ZL30rocblas_trmm_outofplace_kernelIfLi32ELi2ELb0ELb1ELb0ELb0EPKfS0_fEv17rocblas_diagonal_iiT6_lPT7_lllS5_lllPT8_llli, .Lfunc_end14-_ZL30rocblas_trmm_outofplace_kernelIfLi32ELi2ELb0ELb1ELb0ELb0EPKfS0_fEv17rocblas_diagonal_iiT6_lPT7_lllS5_lllPT8_llli
                                        ; -- End function
	.section	.AMDGPU.csdata,"",@progbits
; Kernel info:
; codeLenInByte = 3540
; NumSgprs: 44
; NumVgprs: 95
; ScratchSize: 0
; MemoryBound: 0
; FloatMode: 240
; IeeeMode: 1
; LDSByteSize: 8192 bytes/workgroup (compile time only)
; SGPRBlocks: 5
; VGPRBlocks: 11
; NumSGPRsForWavesPerEU: 44
; NumVGPRsForWavesPerEU: 95
; Occupancy: 16
; WaveLimiterHint : 0
; COMPUTE_PGM_RSRC2:SCRATCH_EN: 0
; COMPUTE_PGM_RSRC2:USER_SGPR: 13
; COMPUTE_PGM_RSRC2:TRAP_HANDLER: 0
; COMPUTE_PGM_RSRC2:TGID_X_EN: 1
; COMPUTE_PGM_RSRC2:TGID_Y_EN: 1
; COMPUTE_PGM_RSRC2:TGID_Z_EN: 1
; COMPUTE_PGM_RSRC2:TIDIG_COMP_CNT: 1
	.section	.text._ZL30rocblas_trmm_outofplace_kernelIfLi32ELi2ELb0ELb1ELb0ELb0EfKffEv17rocblas_diagonal_iiT6_lPT7_lllS4_lllPT8_llli,"axG",@progbits,_ZL30rocblas_trmm_outofplace_kernelIfLi32ELi2ELb0ELb1ELb0ELb0EfKffEv17rocblas_diagonal_iiT6_lPT7_lllS4_lllPT8_llli,comdat
	.globl	_ZL30rocblas_trmm_outofplace_kernelIfLi32ELi2ELb0ELb1ELb0ELb0EfKffEv17rocblas_diagonal_iiT6_lPT7_lllS4_lllPT8_llli ; -- Begin function _ZL30rocblas_trmm_outofplace_kernelIfLi32ELi2ELb0ELb1ELb0ELb0EfKffEv17rocblas_diagonal_iiT6_lPT7_lllS4_lllPT8_llli
	.p2align	8
	.type	_ZL30rocblas_trmm_outofplace_kernelIfLi32ELi2ELb0ELb1ELb0ELb0EfKffEv17rocblas_diagonal_iiT6_lPT7_lllS4_lllPT8_llli,@function
_ZL30rocblas_trmm_outofplace_kernelIfLi32ELi2ELb0ELb1ELb0ELb0EfKffEv17rocblas_diagonal_iiT6_lPT7_lllS4_lllPT8_llli: ; @_ZL30rocblas_trmm_outofplace_kernelIfLi32ELi2ELb0ELb1ELb0ELb0EfKffEv17rocblas_diagonal_iiT6_lPT7_lllS4_lllPT8_llli
; %bb.0:
	s_load_b128 s[8:11], s[0:1], 0x0
	s_waitcnt lgkmcnt(0)
	v_cmp_eq_f32_e64 s2, s11, 0
	s_delay_alu instid0(VALU_DEP_1)
	s_and_b32 vcc_lo, exec_lo, s2
	s_cbranch_vccnz .LBB15_63
; %bb.1:
	s_add_i32 s2, s10, -1
	s_delay_alu instid0(SALU_CYCLE_1) | instskip(NEXT) | instid1(SALU_CYCLE_1)
	s_ashr_i32 s3, s2, 31
	s_lshr_b32 s3, s3, 27
	s_delay_alu instid0(SALU_CYCLE_1) | instskip(NEXT) | instid1(SALU_CYCLE_1)
	s_add_i32 s2, s2, s3
	s_ashr_i32 s33, s2, 5
	s_delay_alu instid0(SALU_CYCLE_1)
	s_cmp_gt_i32 s14, s33
	s_cbranch_scc1 .LBB15_63
; %bb.2:
	s_clause 0x1
	s_load_b256 s[36:43], s[0:1], 0x58
	s_load_b512 s[16:31], s[0:1], 0x18
	v_bfe_u32 v33, v0, 10, 10
	s_load_b32 s44, s[0:1], 0x84
	s_mov_b32 s12, s10
	v_mov_b32_e32 v36, 0
	v_mov_b32_e32 v42, 1.0
	v_lshl_add_u32 v10, v33, 2, 64
	v_lshlrev_b32_e32 v35, 7, v33
	s_waitcnt lgkmcnt(0)
	s_mul_i32 s1, s15, s43
	s_mul_hi_u32 s2, s15, s42
	v_mad_u64_u32 v[6:7], null, s28, v10, 0
	v_and_b32_e32 v32, 0x3ff, v0
	s_mul_i32 s0, s15, s42
	s_add_i32 s1, s2, s1
	v_mad_u64_u32 v[3:4], null, s28, v33, 0
	s_lshl_b64 s[0:1], s[0:1], 2
	v_lshl_add_u32 v8, s13, 5, v32
	s_add_u32 s2, s36, s0
	s_addc_u32 s3, s37, s1
	s_lshl_b64 s[0:1], s[38:39], 2
	s_mul_hi_u32 s4, s30, s15
	s_add_u32 s38, s2, s0
	v_ashrrev_i32_e32 v9, 31, v8
	s_addc_u32 s39, s3, s1
	s_cmpk_eq_i32 s8, 0x84
	v_mov_b32_e32 v2, v4
	s_cselect_b32 s42, -1, 0
	s_ashr_i32 s0, s9, 31
	v_sub_co_u32 v4, vcc_lo, s9, v8
	v_sub_co_ci_u32_e32 v5, vcc_lo, s0, v9, vcc_lo
	s_ashr_i32 s13, s10, 31
	s_lshl_b64 s[34:35], s[28:29], 7
	s_add_u32 s36, s10, -16
	s_delay_alu instid0(VALU_DEP_1)
	v_cmp_gt_i64_e32 vcc_lo, 1, v[4:5]
	v_cmp_gt_i64_e64 s0, 17, v[4:5]
	v_mad_u64_u32 v[4:5], null, s29, v33, v[2:3]
	s_addc_u32 s37, s13, -1
	v_add_nc_u32_e32 v0, 16, v8
	v_cmp_gt_i32_e64 s1, s9, v8
	s_lshl_b64 s[6:7], s[26:27], 2
	v_lshlrev_b64 v[8:9], 2, v[8:9]
	v_lshl_add_u32 v2, s14, 5, v33
	v_lshlrev_b64 v[4:5], 2, v[3:4]
	v_mov_b32_e32 v3, v7
	v_sub_co_u32 v40, s3, 0, v32
	s_delay_alu instid0(VALU_DEP_1) | instskip(SKIP_1) | instid1(VALU_DEP_3)
	v_sub_co_ci_u32_e64 v41, null, 0, 0, s3
	s_mul_i32 s3, s31, s15
	v_mad_u64_u32 v[12:13], null, s29, v10, v[3:4]
	s_add_i32 s5, s4, s3
	s_mul_i32 s4, s30, s15
	s_lshl_b32 s30, s44, 5
	s_lshl_b64 s[4:5], s[4:5], 2
	v_lshlrev_b32_e32 v34, 2, v32
	s_add_u32 s3, s4, s6
	s_addc_u32 s4, s5, s7
	s_add_u32 s3, s24, s3
	s_addc_u32 s7, s25, s4
	v_add_co_u32 v7, s3, s3, v8
	s_mul_i32 s5, s23, s15
	s_mul_hi_u32 s6, s22, s15
	v_add_co_ci_u32_e64 v11, s3, s7, v9, s3
	s_delay_alu instid0(VALU_DEP_2)
	v_add_co_u32 v10, s3, v7, 64
	v_mov_b32_e32 v7, v12
	v_or_b32_e32 v38, 0x1000, v34
	s_add_i32 s5, s6, s5
	s_mul_i32 s4, s22, s15
	s_lshl_b64 s[6:7], s[18:19], 2
	s_lshl_b64 s[4:5], s[4:5], 2
	v_add_co_ci_u32_e64 v11, s3, 0, v11, s3
	v_add_nc_u32_e32 v37, v35, v34
	v_add_nc_u32_e32 v39, v38, v35
	v_cmp_gt_i32_e64 s2, s9, v0
	v_ashrrev_i32_e32 v1, 31, v0
	s_add_u32 s3, s4, s6
	s_addc_u32 s4, s5, s7
	s_add_u32 s16, s16, s3
	s_addc_u32 s17, s17, s4
	s_lshl_b64 s[18:19], s[20:21], 2
	s_branch .LBB15_4
.LBB15_3:                               ;   in Loop: Header=BB15_4 Depth=1
	s_or_b32 exec_lo, exec_lo, s4
	v_add_nc_u32_e32 v2, s30, v2
	s_add_i32 s14, s44, s14
	s_delay_alu instid0(SALU_CYCLE_1)
	s_cmp_le_i32 s14, s33
	s_cbranch_scc0 .LBB15_63
.LBB15_4:                               ; =>This Loop Header: Depth=1
                                        ;     Child Loop BB15_7 Depth 2
	s_lshl_b32 s15, s14, 5
	v_dual_mov_b32 v44, 0 :: v_dual_mov_b32 v43, 0
	v_dual_mov_b32 v45, 0 :: v_dual_add_nc_u32 v12, s15, v33
	v_mov_b32_e32 v3, 0
	s_cmp_lt_i32 s14, 0
	s_delay_alu instid0(VALU_DEP_2)
	v_ashrrev_i32_e32 v13, 31, v12
	s_cbranch_scc1 .LBB15_55
; %bb.5:                                ;   in Loop: Header=BB15_4 Depth=1
	v_ashrrev_i32_e32 v3, 31, v2
	v_mul_lo_u32 v22, s19, v2
	v_dual_mov_b32 v27, v11 :: v_dual_mov_b32 v44, 0
	v_mov_b32_e32 v43, 0
	s_delay_alu instid0(VALU_DEP_4) | instskip(SKIP_4) | instid1(VALU_DEP_4)
	v_lshlrev_b64 v[14:15], 2, v[2:3]
	v_mul_lo_u32 v23, s18, v3
	v_mov_b32_e32 v45, 0
	s_mov_b64 s[22:23], 0
	v_mov_b32_e32 v26, v10
	v_add_co_u32 v18, s3, v14, 64
	s_delay_alu instid0(VALU_DEP_1) | instskip(SKIP_1) | instid1(VALU_DEP_3)
	v_add_co_ci_u32_e64 v16, s3, 0, v15, s3
	v_mad_u64_u32 v[14:15], null, s18, v2, s[16:17]
	v_mul_lo_u32 v25, s21, v18
	s_delay_alu instid0(VALU_DEP_3) | instskip(SKIP_2) | instid1(VALU_DEP_1)
	v_mul_lo_u32 v24, s20, v16
	v_mad_u64_u32 v[16:17], null, s20, v18, s[16:17]
	v_add_co_u32 v18, s4, v12, 16
	v_add_co_ci_u32_e64 v19, s4, 0, v13, s4
	v_add_co_u32 v20, s4, v40, v2
	s_delay_alu instid0(VALU_DEP_1) | instskip(SKIP_1) | instid1(VALU_DEP_3)
	v_add_co_ci_u32_e64 v21, s4, v41, v3, s4
	v_add3_u32 v15, v22, v15, v23
	v_add_co_u32 v22, s5, v20, 16
	s_delay_alu instid0(VALU_DEP_1)
	v_add_co_ci_u32_e64 v23, s5, 0, v21, s5
	v_add3_u32 v17, v25, v17, v24
	v_add_co_u32 v24, s5, v20, -16
	v_cmp_le_i64_e64 s4, s[12:13], v[18:19]
	v_cmp_le_i32_e64 s3, s10, v12
	v_add_co_ci_u32_e64 v25, s5, -1, v21, s5
	v_mov_b32_e32 v3, 0
	s_branch .LBB15_7
.LBB15_6:                               ;   in Loop: Header=BB15_7 Depth=2
	s_or_b32 exec_lo, exec_lo, s5
	s_waitcnt lgkmcnt(0)
	s_waitcnt_vscnt null, 0x0
	s_barrier
	buffer_gl0_inv
	ds_load_2addr_b32 v[73:74], v38 offset1:16
	ds_load_b128 v[28:31], v35
	ds_load_b128 v[46:49], v35 offset:2048
	ds_load_2addr_b32 v[75:76], v38 offset0:32 offset1:48
	ds_load_b128 v[50:53], v35 offset:16
	ds_load_2addr_b32 v[81:82], v38 offset0:64 offset1:80
	ds_load_b128 v[54:57], v35 offset:32
	ds_load_b128 v[58:61], v35 offset:48
	ds_load_2addr_b32 v[83:84], v38 offset0:96 offset1:112
	ds_load_2addr_b32 v[85:86], v38 offset0:128 offset1:144
	ds_load_b128 v[62:65], v35 offset:2064
	ds_load_2addr_b32 v[87:88], v38 offset0:160 offset1:176
	ds_load_2addr_b32 v[89:90], v38 offset0:192 offset1:208
	;; [unrolled: 1-line block ×3, first 2 shown]
	v_add_nc_u32_e32 v93, 0x400, v38
	v_add_co_u32 v26, s5, v26, s34
	s_delay_alu instid0(VALU_DEP_1)
	v_add_co_ci_u32_e64 v27, s5, s35, v27, s5
	v_add_co_u32 v14, s5, 0x80, v14
	s_waitcnt lgkmcnt(12)
	v_fmac_f32_e32 v44, v74, v28
	v_dual_fmac_f32 v45, v73, v28 :: v_dual_add_nc_u32 v94, 0x800, v38
	v_add_co_ci_u32_e64 v15, s5, 0, v15, s5
	s_waitcnt lgkmcnt(10)
	s_delay_alu instid0(VALU_DEP_3) | instskip(NEXT) | instid1(VALU_DEP_3)
	v_fmac_f32_e32 v44, v76, v29
	v_fmac_f32_e32 v45, v75, v29
	v_add_co_u32 v16, s5, 0x80, v16
	s_add_u32 s22, s22, 32
	s_waitcnt lgkmcnt(8)
	v_fmac_f32_e32 v44, v82, v30
	v_fmac_f32_e32 v43, v73, v46
	ds_load_b128 v[66:69], v35 offset:2080
	ds_load_b128 v[70:73], v35 offset:2096
	v_add_co_ci_u32_e64 v17, s5, 0, v17, s5
	s_waitcnt lgkmcnt(7)
	v_fmac_f32_e32 v44, v84, v31
	v_fmac_f32_e32 v43, v75, v47
	s_addc_u32 s23, s23, 0
	s_sub_i32 s6, s22, 32
	s_waitcnt lgkmcnt(6)
	v_fmac_f32_e32 v44, v86, v50
	v_fmac_f32_e32 v3, v74, v46
	;; [unrolled: 1-line block ×3, first 2 shown]
	s_cmp_ge_i32 s6, s15
	s_waitcnt lgkmcnt(4)
	v_fmac_f32_e32 v44, v88, v51
	v_fmac_f32_e32 v3, v76, v47
	s_waitcnt lgkmcnt(3)
	s_delay_alu instid0(VALU_DEP_2)
	v_dual_fmac_f32 v43, v83, v49 :: v_dual_fmac_f32 v44, v90, v52
	v_fmac_f32_e32 v45, v81, v30
	ds_load_b128 v[74:77], v35 offset:64
	ds_load_b128 v[78:81], v35 offset:80
	ds_load_2addr_b32 v[28:29], v93 offset1:16
	ds_load_2addr_b32 v[46:47], v93 offset0:64 offset1:80
	s_waitcnt lgkmcnt(6)
	v_dual_fmac_f32 v44, v92, v53 :: v_dual_fmac_f32 v3, v82, v48
	s_waitcnt lgkmcnt(1)
	s_delay_alu instid0(VALU_DEP_1)
	v_dual_fmac_f32 v44, v29, v54 :: v_dual_fmac_f32 v3, v84, v49
	ds_load_2addr_b32 v[48:49], v93 offset0:96 offset1:112
	v_fmac_f32_e32 v45, v83, v31
	ds_load_2addr_b32 v[30:31], v93 offset0:32 offset1:48
	s_waitcnt lgkmcnt(0)
	v_dual_fmac_f32 v44, v31, v55 :: v_dual_fmac_f32 v3, v86, v62
	s_delay_alu instid0(VALU_DEP_1) | instskip(NEXT) | instid1(VALU_DEP_1)
	v_fmac_f32_e32 v44, v47, v56
	v_fmac_f32_e32 v44, v49, v57
	v_fmac_f32_e32 v45, v85, v50
	s_delay_alu instid0(VALU_DEP_1) | instskip(SKIP_3) | instid1(VALU_DEP_1)
	v_fmac_f32_e32 v45, v87, v51
	ds_load_2addr_b32 v[50:51], v93 offset0:128 offset1:144
	v_fmac_f32_e32 v3, v88, v63
	v_fmac_f32_e32 v45, v89, v52
	;; [unrolled: 1-line block ×3, first 2 shown]
	ds_load_2addr_b32 v[52:53], v93 offset0:160 offset1:176
	v_fmac_f32_e32 v45, v28, v54
	s_delay_alu instid0(VALU_DEP_1)
	v_fmac_f32_e32 v45, v30, v55
	ds_load_2addr_b32 v[54:55], v93 offset0:192 offset1:208
	s_waitcnt lgkmcnt(2)
	v_dual_fmac_f32 v44, v51, v58 :: v_dual_fmac_f32 v3, v90, v64
	v_fmac_f32_e32 v45, v46, v56
	s_waitcnt lgkmcnt(1)
	s_delay_alu instid0(VALU_DEP_1) | instskip(SKIP_3) | instid1(VALU_DEP_1)
	v_dual_fmac_f32 v45, v48, v57 :: v_dual_fmac_f32 v44, v53, v59
	ds_load_2addr_b32 v[56:57], v94 offset1:16
	v_fmac_f32_e32 v45, v50, v58
	s_waitcnt lgkmcnt(1)
	v_dual_fmac_f32 v45, v52, v59 :: v_dual_fmac_f32 v44, v55, v60
	v_fmac_f32_e32 v43, v85, v62
	ds_load_2addr_b32 v[58:59], v94 offset0:128 offset1:144
	v_fmac_f32_e32 v3, v92, v65
	v_fmac_f32_e32 v45, v54, v60
	;; [unrolled: 1-line block ×3, first 2 shown]
	ds_load_2addr_b32 v[62:63], v93 offset0:224 offset1:240
	v_fmac_f32_e32 v3, v29, v66
	v_fmac_f32_e32 v43, v89, v64
	s_delay_alu instid0(VALU_DEP_2) | instskip(NEXT) | instid1(VALU_DEP_1)
	v_fmac_f32_e32 v3, v31, v67
	v_fmac_f32_e32 v3, v47, v68
	s_delay_alu instid0(VALU_DEP_1)
	v_fmac_f32_e32 v3, v49, v69
	s_waitcnt lgkmcnt(0)
	v_fmac_f32_e32 v45, v62, v61
	v_fmac_f32_e32 v44, v63, v61
	ds_load_2addr_b32 v[60:61], v94 offset0:192 offset1:208
	v_fmac_f32_e32 v43, v91, v65
	v_fmac_f32_e32 v3, v51, v70
	;; [unrolled: 1-line block ×4, first 2 shown]
	s_delay_alu instid0(VALU_DEP_4) | instskip(NEXT) | instid1(VALU_DEP_4)
	v_fmac_f32_e32 v43, v28, v66
	v_fmac_f32_e32 v3, v53, v71
	s_delay_alu instid0(VALU_DEP_2) | instskip(SKIP_3) | instid1(VALU_DEP_2)
	v_fmac_f32_e32 v43, v30, v67
	ds_load_b128 v[28:31], v35 offset:2112
	v_fmac_f32_e32 v3, v55, v72
	v_dual_fmac_f32 v43, v46, v68 :: v_dual_add_nc_u32 v68, 0xc00, v38
	v_fmac_f32_e32 v3, v63, v73
	s_delay_alu instid0(VALU_DEP_2)
	v_fmac_f32_e32 v43, v48, v69
	ds_load_b128 v[46:49], v35 offset:2128
	v_fmac_f32_e32 v43, v50, v70
	ds_load_2addr_b32 v[50:51], v94 offset0:32 offset1:48
	v_fmac_f32_e32 v43, v52, v71
	ds_load_2addr_b32 v[52:53], v94 offset0:64 offset1:80
	s_waitcnt lgkmcnt(3)
	v_fmac_f32_e32 v3, v57, v28
	v_fmac_f32_e32 v43, v54, v72
	ds_load_2addr_b32 v[54:55], v94 offset0:96 offset1:112
	v_fmac_f32_e32 v43, v62, v73
	ds_load_2addr_b32 v[62:63], v94 offset0:224 offset1:240
	v_fmac_f32_e32 v43, v56, v28
	s_waitcnt lgkmcnt(3)
	v_fmac_f32_e32 v45, v50, v75
	v_fmac_f32_e32 v44, v51, v75
	ds_load_2addr_b32 v[56:57], v94 offset0:160 offset1:176
	v_fmac_f32_e32 v3, v51, v29
	v_fmac_f32_e32 v43, v50, v29
	s_waitcnt lgkmcnt(3)
	v_fmac_f32_e32 v45, v52, v76
	v_fmac_f32_e32 v44, v53, v76
	;; [unrolled: 1-line block ×4, first 2 shown]
	s_waitcnt lgkmcnt(2)
	v_fmac_f32_e32 v45, v54, v77
	v_fmac_f32_e32 v44, v55, v77
	;; [unrolled: 1-line block ×4, first 2 shown]
	s_delay_alu instid0(VALU_DEP_4) | instskip(NEXT) | instid1(VALU_DEP_4)
	v_fmac_f32_e32 v45, v58, v78
	v_fmac_f32_e32 v44, v59, v78
	ds_load_2addr_b32 v[64:65], v68 offset1:16
	ds_load_b128 v[28:31], v35 offset:96
	v_fmac_f32_e32 v3, v59, v46
	v_fmac_f32_e32 v43, v58, v46
	ds_load_b128 v[50:53], v35 offset:2144
	ds_load_2addr_b32 v[58:59], v68 offset0:32 offset1:48
	s_waitcnt lgkmcnt(4)
	v_fmac_f32_e32 v45, v56, v79
	v_fmac_f32_e32 v44, v57, v79
	;; [unrolled: 1-line block ×4, first 2 shown]
	ds_load_2addr_b32 v[66:67], v68 offset0:64 offset1:80
	v_fmac_f32_e32 v45, v60, v80
	v_fmac_f32_e32 v44, v61, v80
	;; [unrolled: 1-line block ×4, first 2 shown]
	ds_load_2addr_b32 v[60:61], v68 offset0:96 offset1:112
	v_fmac_f32_e32 v45, v62, v81
	v_fmac_f32_e32 v44, v63, v81
	;; [unrolled: 1-line block ×4, first 2 shown]
	ds_load_b128 v[46:49], v35 offset:112
	s_waitcnt lgkmcnt(5)
	v_fmac_f32_e32 v45, v64, v28
	v_fmac_f32_e32 v44, v65, v28
	ds_load_2addr_b32 v[62:63], v68 offset0:128 offset1:144
	ds_load_b128 v[54:57], v35 offset:2160
	s_waitcnt lgkmcnt(6)
	v_fmac_f32_e32 v43, v64, v50
	v_fmac_f32_e32 v3, v65, v50
	s_waitcnt lgkmcnt(5)
	v_fmac_f32_e32 v45, v58, v29
	ds_load_2addr_b32 v[64:65], v68 offset0:160 offset1:176
	v_dual_fmac_f32 v44, v59, v29 :: v_dual_fmac_f32 v43, v58, v51
	v_fmac_f32_e32 v3, v59, v51
	s_waitcnt lgkmcnt(5)
	v_fmac_f32_e32 v45, v66, v30
	ds_load_2addr_b32 v[28:29], v68 offset0:192 offset1:208
	v_dual_fmac_f32 v44, v67, v30 :: v_dual_fmac_f32 v43, v66, v52
	;; [unrolled: 5-line block ×3, first 2 shown]
	v_fmac_f32_e32 v3, v61, v53
	s_waitcnt lgkmcnt(0)
	v_fmac_f32_e32 v45, v62, v46
	s_delay_alu instid0(VALU_DEP_3)
	v_fmac_f32_e32 v44, v63, v46
	v_fmac_f32_e32 v43, v62, v54
	;; [unrolled: 1-line block ×3, first 2 shown]
	s_barrier
	v_fmac_f32_e32 v45, v64, v47
	v_fmac_f32_e32 v44, v65, v47
	;; [unrolled: 1-line block ×4, first 2 shown]
	buffer_gl0_inv
	v_fmac_f32_e32 v45, v28, v48
	v_fmac_f32_e32 v44, v29, v48
	;; [unrolled: 1-line block ×4, first 2 shown]
	s_delay_alu instid0(VALU_DEP_4) | instskip(NEXT) | instid1(VALU_DEP_4)
	v_fmac_f32_e32 v45, v50, v49
	v_fmac_f32_e32 v44, v51, v49
	s_delay_alu instid0(VALU_DEP_4) | instskip(NEXT) | instid1(VALU_DEP_4)
	v_fmac_f32_e32 v43, v50, v57
	v_fmac_f32_e32 v3, v51, v57
	s_cbranch_scc1 .LBB15_55
.LBB15_7:                               ;   Parent Loop BB15_4 Depth=1
                                        ; =>  This Inner Loop Header: Depth=2
	v_add_co_u32 v28, s5, v32, s22
	s_delay_alu instid0(VALU_DEP_1) | instskip(SKIP_1) | instid1(VALU_DEP_2)
	v_add_co_ci_u32_e64 v29, null, 0, s23, s5
	v_cmp_eq_u64_e64 s6, s[22:23], v[20:21]
	v_cmp_gt_i64_e64 s5, v[28:29], v[12:13]
	s_delay_alu instid0(VALU_DEP_2) | instskip(SKIP_1) | instid1(VALU_DEP_2)
	s_and_b32 s25, s42, s6
	v_cmp_le_i64_e64 s6, s[12:13], v[28:29]
	s_or_b32 s7, s3, s5
	s_delay_alu instid0(SALU_CYCLE_1) | instskip(SKIP_1) | instid1(VALU_DEP_1)
	s_or_b32 s8, s7, s25
	v_add_co_u32 v30, s7, v14, v34
	v_add_co_ci_u32_e64 v31, s7, 0, v15, s7
	s_delay_alu instid0(VALU_DEP_3) | instskip(NEXT) | instid1(SALU_CYCLE_1)
	s_or_b32 s7, s6, s8
	s_xor_b32 s7, s7, -1
	s_delay_alu instid0(SALU_CYCLE_1) | instskip(NEXT) | instid1(SALU_CYCLE_1)
	s_and_saveexec_b32 s8, s7
	s_xor_b32 s7, exec_lo, s8
	s_cbranch_execz .LBB15_9
; %bb.8:                                ;   in Loop: Header=BB15_7 Depth=2
	global_load_b32 v46, v[30:31], off
	s_waitcnt vmcnt(0)
	ds_store_b32 v37, v46
.LBB15_9:                               ;   in Loop: Header=BB15_7 Depth=2
	s_or_saveexec_b32 s7, s7
	s_xor_b32 s24, s25, -1
	s_xor_b32 exec_lo, exec_lo, s7
	s_cbranch_execz .LBB15_15
; %bb.10:                               ;   in Loop: Header=BB15_7 Depth=2
	s_and_saveexec_b32 s8, s24
	s_delay_alu instid0(SALU_CYCLE_1)
	s_xor_b32 s8, exec_lo, s8
	s_cbranch_execz .LBB15_12
; %bb.11:                               ;   in Loop: Header=BB15_7 Depth=2
	ds_store_b32 v37, v36
.LBB15_12:                              ;   in Loop: Header=BB15_7 Depth=2
	s_and_not1_saveexec_b32 s8, s8
	s_cbranch_execz .LBB15_14
; %bb.13:                               ;   in Loop: Header=BB15_7 Depth=2
	ds_store_b32 v37, v42
.LBB15_14:                              ;   in Loop: Header=BB15_7 Depth=2
	s_or_b32 exec_lo, exec_lo, s8
.LBB15_15:                              ;   in Loop: Header=BB15_7 Depth=2
	s_delay_alu instid0(SALU_CYCLE_1) | instskip(SKIP_1) | instid1(VALU_DEP_1)
	s_or_b32 exec_lo, exec_lo, s7
	v_add_co_u32 v46, s7, v28, 16
	v_add_co_ci_u32_e64 v47, s7, 0, v29, s7
	v_cmp_eq_u64_e64 s8, s[22:23], v[24:25]
	s_delay_alu instid0(VALU_DEP_2) | instskip(SKIP_1) | instid1(VALU_DEP_3)
	v_cmp_gt_i64_e64 s9, v[46:47], v[12:13]
	v_cmp_le_i64_e64 s7, s[12:13], v[46:47]
	s_and_b32 s26, s42, s8
	s_delay_alu instid0(VALU_DEP_2) | instskip(NEXT) | instid1(SALU_CYCLE_1)
	s_or_b32 s8, s3, s9
	s_or_b32 s8, s8, s26
	s_delay_alu instid0(VALU_DEP_1) | instid1(SALU_CYCLE_1)
	s_or_b32 s8, s7, s8
	s_delay_alu instid0(SALU_CYCLE_1) | instskip(NEXT) | instid1(SALU_CYCLE_1)
	s_xor_b32 s8, s8, -1
	s_and_saveexec_b32 s9, s8
	s_delay_alu instid0(SALU_CYCLE_1)
	s_xor_b32 s8, exec_lo, s9
	s_cbranch_execz .LBB15_17
; %bb.16:                               ;   in Loop: Header=BB15_7 Depth=2
	global_load_b32 v30, v[30:31], off offset:64
	s_waitcnt vmcnt(0)
	ds_store_b32 v37, v30 offset:64
.LBB15_17:                              ;   in Loop: Header=BB15_7 Depth=2
	s_and_not1_saveexec_b32 s8, s8
	s_cbranch_execz .LBB15_23
; %bb.18:                               ;   in Loop: Header=BB15_7 Depth=2
	s_xor_b32 s9, s26, -1
	s_delay_alu instid0(SALU_CYCLE_1) | instskip(NEXT) | instid1(SALU_CYCLE_1)
	s_and_saveexec_b32 s26, s9
	s_xor_b32 s9, exec_lo, s26
	s_cbranch_execz .LBB15_20
; %bb.19:                               ;   in Loop: Header=BB15_7 Depth=2
	ds_store_b32 v37, v36 offset:64
.LBB15_20:                              ;   in Loop: Header=BB15_7 Depth=2
	s_and_not1_saveexec_b32 s9, s9
	s_cbranch_execz .LBB15_22
; %bb.21:                               ;   in Loop: Header=BB15_7 Depth=2
	ds_store_b32 v37, v42 offset:64
.LBB15_22:                              ;   in Loop: Header=BB15_7 Depth=2
	s_or_b32 exec_lo, exec_lo, s9
.LBB15_23:                              ;   in Loop: Header=BB15_7 Depth=2
	s_delay_alu instid0(SALU_CYCLE_1) | instskip(SKIP_2) | instid1(VALU_DEP_2)
	s_or_b32 exec_lo, exec_lo, s8
	v_cmp_eq_u64_e64 s8, s[22:23], v[22:23]
	v_cmp_gt_i64_e64 s9, v[28:29], v[18:19]
	s_and_b32 s8, s42, s8
	s_delay_alu instid0(VALU_DEP_1) | instskip(NEXT) | instid1(SALU_CYCLE_1)
	s_or_b32 s9, s4, s9
	s_or_b32 s9, s9, s8
	s_delay_alu instid0(SALU_CYCLE_1) | instskip(NEXT) | instid1(SALU_CYCLE_1)
	s_or_b32 s6, s6, s9
	s_xor_b32 s6, s6, -1
	s_delay_alu instid0(SALU_CYCLE_1) | instskip(NEXT) | instid1(SALU_CYCLE_1)
	s_and_saveexec_b32 s9, s6
	s_xor_b32 s9, exec_lo, s9
	s_cbranch_execz .LBB15_25
; %bb.24:                               ;   in Loop: Header=BB15_7 Depth=2
	v_add_co_u32 v28, s6, v16, v34
	s_delay_alu instid0(VALU_DEP_1)
	v_add_co_ci_u32_e64 v29, s6, 0, v17, s6
	global_load_b32 v28, v[28:29], off
	s_waitcnt vmcnt(0)
	ds_store_b32 v37, v28 offset:2048
.LBB15_25:                              ;   in Loop: Header=BB15_7 Depth=2
	s_and_not1_saveexec_b32 s6, s9
	s_cbranch_execz .LBB15_31
; %bb.26:                               ;   in Loop: Header=BB15_7 Depth=2
	s_xor_b32 s8, s8, -1
	s_delay_alu instid0(SALU_CYCLE_1) | instskip(NEXT) | instid1(SALU_CYCLE_1)
	s_and_saveexec_b32 s9, s8
	s_xor_b32 s8, exec_lo, s9
	s_cbranch_execz .LBB15_28
; %bb.27:                               ;   in Loop: Header=BB15_7 Depth=2
	ds_store_b32 v37, v36 offset:2048
.LBB15_28:                              ;   in Loop: Header=BB15_7 Depth=2
	s_and_not1_saveexec_b32 s8, s8
	s_cbranch_execz .LBB15_30
; %bb.29:                               ;   in Loop: Header=BB15_7 Depth=2
	ds_store_b32 v37, v42 offset:2048
.LBB15_30:                              ;   in Loop: Header=BB15_7 Depth=2
	s_or_b32 exec_lo, exec_lo, s8
.LBB15_31:                              ;   in Loop: Header=BB15_7 Depth=2
	s_delay_alu instid0(SALU_CYCLE_1) | instskip(SKIP_1) | instid1(SALU_CYCLE_1)
	s_or_b32 exec_lo, exec_lo, s6
	s_or_b32 s5, s4, s5
	s_or_b32 s5, s5, s25
	s_delay_alu instid0(SALU_CYCLE_1) | instskip(NEXT) | instid1(SALU_CYCLE_1)
	s_or_b32 s5, s7, s5
	s_xor_b32 s5, s5, -1
	s_delay_alu instid0(SALU_CYCLE_1) | instskip(NEXT) | instid1(SALU_CYCLE_1)
	s_and_saveexec_b32 s6, s5
	s_xor_b32 s6, exec_lo, s6
	s_cbranch_execz .LBB15_33
; %bb.32:                               ;   in Loop: Header=BB15_7 Depth=2
	v_add_co_u32 v28, s5, v16, v34
	s_delay_alu instid0(VALU_DEP_1)
	v_add_co_ci_u32_e64 v29, s5, 0, v17, s5
	global_load_b32 v28, v[28:29], off offset:64
	s_waitcnt vmcnt(0)
	ds_store_b32 v37, v28 offset:2112
.LBB15_33:                              ;   in Loop: Header=BB15_7 Depth=2
	s_and_not1_saveexec_b32 s5, s6
	s_cbranch_execz .LBB15_39
; %bb.34:                               ;   in Loop: Header=BB15_7 Depth=2
	s_and_saveexec_b32 s6, s24
	s_delay_alu instid0(SALU_CYCLE_1)
	s_xor_b32 s6, exec_lo, s6
	s_cbranch_execz .LBB15_36
; %bb.35:                               ;   in Loop: Header=BB15_7 Depth=2
	ds_store_b32 v37, v36 offset:2112
.LBB15_36:                              ;   in Loop: Header=BB15_7 Depth=2
	s_and_not1_saveexec_b32 s6, s6
	s_cbranch_execz .LBB15_38
; %bb.37:                               ;   in Loop: Header=BB15_7 Depth=2
	ds_store_b32 v37, v42 offset:2112
.LBB15_38:                              ;   in Loop: Header=BB15_7 Depth=2
	s_or_b32 exec_lo, exec_lo, s6
.LBB15_39:                              ;   in Loop: Header=BB15_7 Depth=2
	s_delay_alu instid0(SALU_CYCLE_1) | instskip(SKIP_1) | instid1(VALU_DEP_1)
	s_or_b32 exec_lo, exec_lo, s5
	v_add_co_u32 v28, s5, v33, s22
	v_add_co_ci_u32_e64 v29, null, 0, s23, s5
	v_add_co_u32 v30, s6, v26, v4
	s_delay_alu instid0(VALU_DEP_1) | instskip(NEXT) | instid1(VALU_DEP_3)
	v_add_co_ci_u32_e64 v31, s6, v27, v5, s6
	v_cmp_le_i64_e64 s5, s[12:13], v[28:29]
	s_delay_alu instid0(VALU_DEP_1) | instskip(NEXT) | instid1(SALU_CYCLE_1)
	s_or_b32 s6, s5, vcc_lo
	s_xor_b32 s6, s6, -1
	s_delay_alu instid0(SALU_CYCLE_1) | instskip(NEXT) | instid1(SALU_CYCLE_1)
	s_and_saveexec_b32 s7, s6
	s_xor_b32 s6, exec_lo, s7
	s_cbranch_execz .LBB15_41
; %bb.40:                               ;   in Loop: Header=BB15_7 Depth=2
	global_load_b32 v46, v[30:31], off offset:-64
	s_waitcnt vmcnt(0)
	ds_store_b32 v39, v46
.LBB15_41:                              ;   in Loop: Header=BB15_7 Depth=2
	s_and_not1_saveexec_b32 s6, s6
	s_cbranch_execz .LBB15_43
; %bb.42:                               ;   in Loop: Header=BB15_7 Depth=2
	ds_store_b32 v39, v36
.LBB15_43:                              ;   in Loop: Header=BB15_7 Depth=2
	s_or_b32 exec_lo, exec_lo, s6
	s_or_b32 s5, s5, s0
	s_delay_alu instid0(SALU_CYCLE_1) | instskip(NEXT) | instid1(SALU_CYCLE_1)
	s_xor_b32 s5, s5, -1
	s_and_saveexec_b32 s6, s5
	s_delay_alu instid0(SALU_CYCLE_1)
	s_xor_b32 s5, exec_lo, s6
	s_cbranch_execz .LBB15_45
; %bb.44:                               ;   in Loop: Header=BB15_7 Depth=2
	global_load_b32 v30, v[30:31], off
	s_waitcnt vmcnt(0)
	ds_store_b32 v39, v30 offset:64
.LBB15_45:                              ;   in Loop: Header=BB15_7 Depth=2
	s_and_not1_saveexec_b32 s5, s5
	s_cbranch_execz .LBB15_47
; %bb.46:                               ;   in Loop: Header=BB15_7 Depth=2
	ds_store_b32 v39, v36 offset:64
.LBB15_47:                              ;   in Loop: Header=BB15_7 Depth=2
	s_or_b32 exec_lo, exec_lo, s5
	v_cmp_le_i64_e64 s5, s[36:37], v[28:29]
	s_delay_alu instid0(VALU_DEP_1) | instskip(NEXT) | instid1(SALU_CYCLE_1)
	s_or_b32 s6, s5, vcc_lo
	s_xor_b32 s6, s6, -1
	s_delay_alu instid0(SALU_CYCLE_1) | instskip(NEXT) | instid1(SALU_CYCLE_1)
	s_and_saveexec_b32 s7, s6
	s_xor_b32 s7, exec_lo, s7
	s_cbranch_execz .LBB15_49
; %bb.48:                               ;   in Loop: Header=BB15_7 Depth=2
	v_add_co_u32 v28, s6, v26, v6
	s_delay_alu instid0(VALU_DEP_1)
	v_add_co_ci_u32_e64 v29, s6, v27, v7, s6
	global_load_b32 v28, v[28:29], off offset:-64
	s_waitcnt vmcnt(0)
	ds_store_b32 v39, v28 offset:2048
.LBB15_49:                              ;   in Loop: Header=BB15_7 Depth=2
	s_and_not1_saveexec_b32 s6, s7
	s_cbranch_execz .LBB15_51
; %bb.50:                               ;   in Loop: Header=BB15_7 Depth=2
	ds_store_b32 v39, v36 offset:2048
.LBB15_51:                              ;   in Loop: Header=BB15_7 Depth=2
	s_or_b32 exec_lo, exec_lo, s6
	s_or_b32 s5, s5, s0
	s_delay_alu instid0(SALU_CYCLE_1) | instskip(NEXT) | instid1(SALU_CYCLE_1)
	s_xor_b32 s5, s5, -1
	s_and_saveexec_b32 s6, s5
	s_delay_alu instid0(SALU_CYCLE_1)
	s_xor_b32 s6, exec_lo, s6
	s_cbranch_execz .LBB15_53
; %bb.52:                               ;   in Loop: Header=BB15_7 Depth=2
	v_add_co_u32 v28, s5, v26, v6
	s_delay_alu instid0(VALU_DEP_1)
	v_add_co_ci_u32_e64 v29, s5, v27, v7, s5
	global_load_b32 v28, v[28:29], off
	s_waitcnt vmcnt(0)
	ds_store_b32 v39, v28 offset:2112
.LBB15_53:                              ;   in Loop: Header=BB15_7 Depth=2
	s_and_not1_saveexec_b32 s5, s6
	s_cbranch_execz .LBB15_6
; %bb.54:                               ;   in Loop: Header=BB15_7 Depth=2
	ds_store_b32 v39, v36 offset:2112
	s_branch .LBB15_6
.LBB15_55:                              ;   in Loop: Header=BB15_4 Depth=1
	s_delay_alu instid0(VALU_DEP_1) | instskip(SKIP_3) | instid1(VALU_DEP_2)
	v_mul_lo_u32 v15, v13, s40
	v_mul_lo_u32 v16, v12, s41
	v_mad_u64_u32 v[13:14], null, v12, s40, 0
	v_cmp_gt_i32_e64 s3, s10, v12
	v_add3_u32 v14, v14, v16, v15
	s_delay_alu instid0(VALU_DEP_1) | instskip(NEXT) | instid1(VALU_DEP_1)
	v_lshlrev_b64 v[13:14], 2, v[13:14]
	v_add_co_u32 v13, s4, s38, v13
	s_delay_alu instid0(VALU_DEP_1) | instskip(SKIP_1) | instid1(SALU_CYCLE_1)
	v_add_co_ci_u32_e64 v14, s4, s39, v14, s4
	s_and_b32 s4, s1, s3
	s_and_saveexec_b32 s5, s4
	s_cbranch_execz .LBB15_57
; %bb.56:                               ;   in Loop: Header=BB15_4 Depth=1
	v_add_co_u32 v15, s4, v13, v8
	s_delay_alu instid0(VALU_DEP_1)
	v_add_co_ci_u32_e64 v16, s4, v14, v9, s4
	global_load_b32 v17, v[15:16], off
	s_waitcnt vmcnt(0)
	v_fmac_f32_e32 v17, s11, v45
	global_store_b32 v[15:16], v17, off
.LBB15_57:                              ;   in Loop: Header=BB15_4 Depth=1
	s_or_b32 exec_lo, exec_lo, s5
	s_and_b32 s3, s2, s3
	s_delay_alu instid0(SALU_CYCLE_1)
	s_and_saveexec_b32 s4, s3
	s_cbranch_execz .LBB15_59
; %bb.58:                               ;   in Loop: Header=BB15_4 Depth=1
	v_lshlrev_b64 v[15:16], 2, v[0:1]
	s_delay_alu instid0(VALU_DEP_1) | instskip(NEXT) | instid1(VALU_DEP_1)
	v_add_co_u32 v13, s3, v13, v15
	v_add_co_ci_u32_e64 v14, s3, v14, v16, s3
	global_load_b32 v15, v[13:14], off
	s_waitcnt vmcnt(0)
	v_fmac_f32_e32 v15, s11, v44
	global_store_b32 v[13:14], v15, off
.LBB15_59:                              ;   in Loop: Header=BB15_4 Depth=1
	s_or_b32 exec_lo, exec_lo, s4
	v_add_nc_u32_e32 v14, 16, v12
	s_delay_alu instid0(VALU_DEP_1) | instskip(SKIP_3) | instid1(VALU_DEP_4)
	v_ashrrev_i32_e32 v15, 31, v14
	v_mul_lo_u32 v16, v14, s41
	v_mad_u64_u32 v[12:13], null, v14, s40, 0
	v_cmp_gt_i32_e64 s3, s10, v14
	v_mul_lo_u32 v15, v15, s40
	s_delay_alu instid0(VALU_DEP_1) | instskip(NEXT) | instid1(VALU_DEP_1)
	v_add3_u32 v13, v13, v16, v15
	v_lshlrev_b64 v[12:13], 2, v[12:13]
	s_delay_alu instid0(VALU_DEP_1) | instskip(NEXT) | instid1(VALU_DEP_1)
	v_add_co_u32 v12, s4, s38, v12
	v_add_co_ci_u32_e64 v13, s4, s39, v13, s4
	s_and_b32 s4, s1, s3
	s_delay_alu instid0(SALU_CYCLE_1)
	s_and_saveexec_b32 s5, s4
	s_cbranch_execz .LBB15_61
; %bb.60:                               ;   in Loop: Header=BB15_4 Depth=1
	v_add_co_u32 v14, s4, v12, v8
	s_delay_alu instid0(VALU_DEP_1)
	v_add_co_ci_u32_e64 v15, s4, v13, v9, s4
	global_load_b32 v16, v[14:15], off
	s_waitcnt vmcnt(0)
	v_fmac_f32_e32 v16, s11, v43
	global_store_b32 v[14:15], v16, off
.LBB15_61:                              ;   in Loop: Header=BB15_4 Depth=1
	s_or_b32 exec_lo, exec_lo, s5
	s_and_b32 s3, s2, s3
	s_delay_alu instid0(SALU_CYCLE_1)
	s_and_saveexec_b32 s4, s3
	s_cbranch_execz .LBB15_3
; %bb.62:                               ;   in Loop: Header=BB15_4 Depth=1
	v_lshlrev_b64 v[14:15], 2, v[0:1]
	s_delay_alu instid0(VALU_DEP_1) | instskip(NEXT) | instid1(VALU_DEP_1)
	v_add_co_u32 v12, s3, v12, v14
	v_add_co_ci_u32_e64 v13, s3, v13, v15, s3
	global_load_b32 v14, v[12:13], off
	s_waitcnt vmcnt(0)
	v_fmac_f32_e32 v14, s11, v3
	global_store_b32 v[12:13], v14, off
	s_branch .LBB15_3
.LBB15_63:
	s_nop 0
	s_sendmsg sendmsg(MSG_DEALLOC_VGPRS)
	s_endpgm
	.section	.rodata,"a",@progbits
	.p2align	6, 0x0
	.amdhsa_kernel _ZL30rocblas_trmm_outofplace_kernelIfLi32ELi2ELb0ELb1ELb0ELb0EfKffEv17rocblas_diagonal_iiT6_lPT7_lllS4_lllPT8_llli
		.amdhsa_group_segment_fixed_size 8192
		.amdhsa_private_segment_fixed_size 0
		.amdhsa_kernarg_size 384
		.amdhsa_user_sgpr_count 13
		.amdhsa_user_sgpr_dispatch_ptr 0
		.amdhsa_user_sgpr_queue_ptr 0
		.amdhsa_user_sgpr_kernarg_segment_ptr 1
		.amdhsa_user_sgpr_dispatch_id 0
		.amdhsa_user_sgpr_private_segment_size 0
		.amdhsa_wavefront_size32 1
		.amdhsa_uses_dynamic_stack 0
		.amdhsa_enable_private_segment 0
		.amdhsa_system_sgpr_workgroup_id_x 1
		.amdhsa_system_sgpr_workgroup_id_y 1
		.amdhsa_system_sgpr_workgroup_id_z 1
		.amdhsa_system_sgpr_workgroup_info 0
		.amdhsa_system_vgpr_workitem_id 1
		.amdhsa_next_free_vgpr 95
		.amdhsa_next_free_sgpr 45
		.amdhsa_reserve_vcc 1
		.amdhsa_float_round_mode_32 0
		.amdhsa_float_round_mode_16_64 0
		.amdhsa_float_denorm_mode_32 3
		.amdhsa_float_denorm_mode_16_64 3
		.amdhsa_dx10_clamp 1
		.amdhsa_ieee_mode 1
		.amdhsa_fp16_overflow 0
		.amdhsa_workgroup_processor_mode 1
		.amdhsa_memory_ordered 1
		.amdhsa_forward_progress 0
		.amdhsa_shared_vgpr_count 0
		.amdhsa_exception_fp_ieee_invalid_op 0
		.amdhsa_exception_fp_denorm_src 0
		.amdhsa_exception_fp_ieee_div_zero 0
		.amdhsa_exception_fp_ieee_overflow 0
		.amdhsa_exception_fp_ieee_underflow 0
		.amdhsa_exception_fp_ieee_inexact 0
		.amdhsa_exception_int_div_zero 0
	.end_amdhsa_kernel
	.section	.text._ZL30rocblas_trmm_outofplace_kernelIfLi32ELi2ELb0ELb1ELb0ELb0EfKffEv17rocblas_diagonal_iiT6_lPT7_lllS4_lllPT8_llli,"axG",@progbits,_ZL30rocblas_trmm_outofplace_kernelIfLi32ELi2ELb0ELb1ELb0ELb0EfKffEv17rocblas_diagonal_iiT6_lPT7_lllS4_lllPT8_llli,comdat
.Lfunc_end15:
	.size	_ZL30rocblas_trmm_outofplace_kernelIfLi32ELi2ELb0ELb1ELb0ELb0EfKffEv17rocblas_diagonal_iiT6_lPT7_lllS4_lllPT8_llli, .Lfunc_end15-_ZL30rocblas_trmm_outofplace_kernelIfLi32ELi2ELb0ELb1ELb0ELb0EfKffEv17rocblas_diagonal_iiT6_lPT7_lllS4_lllPT8_llli
                                        ; -- End function
	.section	.AMDGPU.csdata,"",@progbits
; Kernel info:
; codeLenInByte = 3476
; NumSgprs: 47
; NumVgprs: 95
; ScratchSize: 0
; MemoryBound: 0
; FloatMode: 240
; IeeeMode: 1
; LDSByteSize: 8192 bytes/workgroup (compile time only)
; SGPRBlocks: 5
; VGPRBlocks: 11
; NumSGPRsForWavesPerEU: 47
; NumVGPRsForWavesPerEU: 95
; Occupancy: 16
; WaveLimiterHint : 0
; COMPUTE_PGM_RSRC2:SCRATCH_EN: 0
; COMPUTE_PGM_RSRC2:USER_SGPR: 13
; COMPUTE_PGM_RSRC2:TRAP_HANDLER: 0
; COMPUTE_PGM_RSRC2:TGID_X_EN: 1
; COMPUTE_PGM_RSRC2:TGID_Y_EN: 1
; COMPUTE_PGM_RSRC2:TGID_Z_EN: 1
; COMPUTE_PGM_RSRC2:TIDIG_COMP_CNT: 1
	.section	.text._ZL30rocblas_trmm_outofplace_kernelIfLi32ELi2ELb0ELb0ELb1ELb0EPKfS0_fEv17rocblas_diagonal_iiT6_lPT7_lllS5_lllPT8_llli,"axG",@progbits,_ZL30rocblas_trmm_outofplace_kernelIfLi32ELi2ELb0ELb0ELb1ELb0EPKfS0_fEv17rocblas_diagonal_iiT6_lPT7_lllS5_lllPT8_llli,comdat
	.globl	_ZL30rocblas_trmm_outofplace_kernelIfLi32ELi2ELb0ELb0ELb1ELb0EPKfS0_fEv17rocblas_diagonal_iiT6_lPT7_lllS5_lllPT8_llli ; -- Begin function _ZL30rocblas_trmm_outofplace_kernelIfLi32ELi2ELb0ELb0ELb1ELb0EPKfS0_fEv17rocblas_diagonal_iiT6_lPT7_lllS5_lllPT8_llli
	.p2align	8
	.type	_ZL30rocblas_trmm_outofplace_kernelIfLi32ELi2ELb0ELb0ELb1ELb0EPKfS0_fEv17rocblas_diagonal_iiT6_lPT7_lllS5_lllPT8_llli,@function
_ZL30rocblas_trmm_outofplace_kernelIfLi32ELi2ELb0ELb0ELb1ELb0EPKfS0_fEv17rocblas_diagonal_iiT6_lPT7_lllS5_lllPT8_llli: ; @_ZL30rocblas_trmm_outofplace_kernelIfLi32ELi2ELb0ELb0ELb1ELb0EPKfS0_fEv17rocblas_diagonal_iiT6_lPT7_lllS5_lllPT8_llli
; %bb.0:
	s_load_b512 s[16:31], s[0:1], 0x10
	s_waitcnt lgkmcnt(0)
	s_mul_i32 s2, s15, s19
	s_mul_hi_u32 s3, s15, s18
	s_delay_alu instid0(SALU_CYCLE_1) | instskip(SKIP_1) | instid1(SALU_CYCLE_1)
	s_add_i32 s3, s3, s2
	s_mul_i32 s2, s15, s18
	s_lshl_b64 s[2:3], s[2:3], 2
	s_delay_alu instid0(SALU_CYCLE_1) | instskip(SKIP_4) | instid1(VALU_DEP_1)
	s_add_u32 s2, s16, s2
	s_addc_u32 s3, s17, s3
	s_load_b32 s33, s[2:3], 0x0
	s_waitcnt lgkmcnt(0)
	v_cmp_eq_f32_e64 s2, s33, 0
	s_and_b32 vcc_lo, exec_lo, s2
	s_cbranch_vccnz .LBB16_63
; %bb.1:
	s_load_b128 s[16:19], s[0:1], 0x0
	s_waitcnt lgkmcnt(0)
	s_add_i32 s2, s18, -1
	s_delay_alu instid0(SALU_CYCLE_1) | instskip(NEXT) | instid1(SALU_CYCLE_1)
	s_ashr_i32 s3, s2, 31
	s_lshr_b32 s3, s3, 27
	s_delay_alu instid0(SALU_CYCLE_1) | instskip(NEXT) | instid1(SALU_CYCLE_1)
	s_add_i32 s2, s2, s3
	s_ashr_i32 s40, s2, 5
	s_delay_alu instid0(SALU_CYCLE_1)
	s_cmp_gt_i32 s14, s40
	s_cbranch_scc1 .LBB16_63
; %bb.2:
	v_and_b32_e32 v38, 0x3ff, v0
	s_clause 0x1
	s_load_b128 s[36:39], s[0:1], 0x70
	s_load_b32 s41, s[0:1], 0x8c
	s_mul_i32 s3, s15, s27
	s_mul_hi_u32 s4, s15, s26
	v_mad_u64_u32 v[1:2], null, v38, s24, 0
	s_add_i32 s3, s4, s3
	s_load_b256 s[4:11], s[0:1], 0x50
	v_bfe_u32 v39, v0, 10, 10
	s_mul_i32 s2, s15, s26
	v_lshl_add_u32 v9, s13, 5, v38
	s_lshl_b64 s[26:27], s[2:3], 2
	s_delay_alu instid0(VALU_DEP_3) | instskip(SKIP_3) | instid1(VALU_DEP_1)
	v_dual_mov_b32 v0, v2 :: v_dual_lshlrev_b32 v5, 2, v38
	s_add_u32 s2, s20, s26
	s_addc_u32 s3, s21, s27
	s_lshl_b64 s[34:35], s[22:23], 2
	v_mad_u64_u32 v[2:3], null, v38, s25, v[0:1]
	s_add_u32 s2, s2, s34
	s_waitcnt lgkmcnt(0)
	s_mul_i32 s1, s15, s39
	s_mul_hi_u32 s12, s15, s38
	s_addc_u32 s3, s3, s35
	s_mul_i32 s0, s15, s38
	s_add_i32 s1, s12, s1
	v_lshlrev_b64 v[0:1], 2, v[1:2]
	s_lshl_b64 s[0:1], s[0:1], 2
	v_mad_u64_u32 v[12:13], null, s4, v39, 0
	s_add_u32 s8, s8, s0
	s_addc_u32 s9, s9, s1
	s_lshl_b64 s[0:1], s[10:11], 2
	v_add_co_u32 v0, vcc_lo, s2, v0
	s_add_u32 s38, s8, s0
	s_addc_u32 s39, s9, s1
	s_cmpk_eq_i32 s16, 0x84
	v_add_co_ci_u32_e32 v1, vcc_lo, s3, v1, vcc_lo
	s_cselect_b32 s42, -1, 0
	s_ashr_i32 s19, s18, 31
	s_ashr_i32 s0, s17, 31
	s_lshl_b64 s[10:11], s[24:25], 7
	s_lshl_b64 s[12:13], s[4:5], 7
	s_mul_i32 s3, s7, s15
	s_mul_hi_u32 s7, s6, s15
	s_add_u32 s22, s18, -16
	s_addc_u32 s23, s19, -1
	s_add_i32 s7, s7, s3
	s_mul_i32 s6, s6, s15
	v_mov_b32_e32 v4, v13
	s_lshl_b64 s[6:7], s[6:7], 2
	s_lshl_b64 s[8:9], s[30:31], 2
	s_lshl_b32 s15, s41, 5
	s_add_u32 s3, s6, s8
	s_addc_u32 s6, s7, s9
	s_add_u32 s3, s28, s3
	v_mad_u64_u32 v[13:14], null, s5, v39, v[4:5]
	s_addc_u32 s8, s29, s6
	v_dual_mov_b32 v40, 0 :: v_dual_lshlrev_b32 v41, 7, v39
	v_add_nc_u32_e32 v14, 64, v5
	s_add_u32 s6, s20, s34
	v_lshl_add_u32 v15, v39, 2, 64
	s_addc_u32 s7, s21, s35
	s_add_u32 s6, s6, s26
	s_addc_u32 s7, s7, s27
	v_ashrrev_i32_e32 v10, 31, v9
	v_or_b32_e32 v42, 0x1000, v5
	v_add_nc_u32_e32 v43, v41, v5
	v_mad_u64_u32 v[4:5], null, s24, v14, s[6:7]
	v_mad_u64_u32 v[6:7], null, s4, v15, 0
	v_sub_co_u32 v2, vcc_lo, s17, v9
	v_sub_co_ci_u32_e32 v3, vcc_lo, s0, v10, vcc_lo
	v_lshl_add_u32 v8, s14, 5, v39
	v_lshlrev_b64 v[10:11], 2, v[9:10]
	v_mad_u64_u32 v[16:17], null, s25, v14, v[5:6]
	s_delay_alu instid0(VALU_DEP_4) | instskip(NEXT) | instid1(VALU_DEP_4)
	v_cmp_gt_i64_e32 vcc_lo, 1, v[2:3]
	v_mad_u64_u32 v[17:18], null, s5, v15, v[7:8]
	s_delay_alu instid0(VALU_DEP_4) | instskip(SKIP_3) | instid1(VALU_DEP_4)
	v_add_co_u32 v5, s3, s3, v10
	v_cmp_gt_i64_e64 s0, 17, v[2:3]
	v_dual_mov_b32 v47, 1.0 :: v_dual_add_nc_u32 v2, 16, v9
	v_add_co_ci_u32_e64 v7, s3, s8, v11, s3
	v_add_co_u32 v14, s3, v5, 64
	v_mov_b32_e32 v5, v16
	v_sub_co_u32 v45, s4, 0, v38
	v_lshlrev_b64 v[12:13], 2, v[12:13]
	v_add_nc_u32_e32 v44, v42, v41
	v_cmp_gt_i32_e64 s1, s17, v9
	v_cmp_gt_i32_e64 s2, s17, v2
	v_ashrrev_i32_e32 v3, 31, v2
	v_sub_co_ci_u32_e64 v46, null, 0, 0, s4
	v_add_co_ci_u32_e64 v15, s3, 0, v7, s3
	v_mov_b32_e32 v7, v17
	s_branch .LBB16_4
.LBB16_3:                               ;   in Loop: Header=BB16_4 Depth=1
	s_or_b32 exec_lo, exec_lo, s4
	v_add_nc_u32_e32 v8, s15, v8
	s_add_i32 s14, s41, s14
	s_delay_alu instid0(SALU_CYCLE_1)
	s_cmp_le_i32 s14, s40
	s_cbranch_scc0 .LBB16_63
.LBB16_4:                               ; =>This Loop Header: Depth=1
                                        ;     Child Loop BB16_7 Depth 2
	s_lshl_b32 s20, s14, 5
	v_dual_mov_b32 v50, 0 :: v_dual_mov_b32 v9, 0
	v_dual_mov_b32 v49, 0 :: v_dual_add_nc_u32 v16, s20, v39
	v_mov_b32_e32 v48, 0
	s_cmp_lt_i32 s14, 0
	s_delay_alu instid0(VALU_DEP_2)
	v_ashrrev_i32_e32 v17, 31, v16
	s_cbranch_scc1 .LBB16_55
; %bb.5:                                ;   in Loop: Header=BB16_4 Depth=1
	v_ashrrev_i32_e32 v9, 31, v8
	v_add_co_u32 v18, s3, v16, 16
	s_delay_alu instid0(VALU_DEP_1) | instskip(SKIP_1) | instid1(VALU_DEP_1)
	v_add_co_ci_u32_e64 v19, s3, 0, v17, s3
	v_add_co_u32 v20, s3, v45, v8
	v_add_co_ci_u32_e64 v21, s3, v46, v9, s3
	v_lshlrev_b64 v[22:23], 2, v[8:9]
	s_delay_alu instid0(VALU_DEP_3) | instskip(NEXT) | instid1(VALU_DEP_1)
	v_add_co_u32 v24, s5, v20, 16
	v_add_co_ci_u32_e64 v25, s5, 0, v21, s5
	v_add_co_u32 v26, s5, v20, -16
	v_cmp_le_i64_e64 s4, s[18:19], v[18:19]
	v_mov_b32_e32 v29, v1
	v_mov_b32_e32 v31, v5
	v_dual_mov_b32 v33, v15 :: v_dual_mov_b32 v48, 0
	v_cmp_le_i32_e64 s3, s18, v16
	v_add_co_ci_u32_e64 v27, s5, -1, v21, s5
	v_dual_mov_b32 v9, 0 :: v_dual_mov_b32 v28, v0
	v_mov_b32_e32 v30, v4
	v_dual_mov_b32 v32, v14 :: v_dual_mov_b32 v49, 0
	v_mov_b32_e32 v50, 0
	s_mov_b64 s[16:17], 0
	s_branch .LBB16_7
.LBB16_6:                               ;   in Loop: Header=BB16_7 Depth=2
	s_or_b32 exec_lo, exec_lo, s5
	s_waitcnt lgkmcnt(0)
	s_waitcnt_vscnt null, 0x0
	s_barrier
	buffer_gl0_inv
	ds_load_2addr_b32 v[78:79], v42 offset1:16
	ds_load_b128 v[34:37], v41
	ds_load_b128 v[51:54], v41 offset:2048
	ds_load_2addr_b32 v[80:81], v42 offset0:32 offset1:48
	ds_load_b128 v[55:58], v41 offset:16
	ds_load_2addr_b32 v[86:87], v42 offset0:64 offset1:80
	ds_load_b128 v[59:62], v41 offset:32
	ds_load_b128 v[63:66], v41 offset:48
	ds_load_2addr_b32 v[88:89], v42 offset0:96 offset1:112
	ds_load_2addr_b32 v[90:91], v42 offset0:128 offset1:144
	ds_load_b128 v[67:70], v41 offset:2064
	ds_load_2addr_b32 v[92:93], v42 offset0:160 offset1:176
	ds_load_2addr_b32 v[94:95], v42 offset0:192 offset1:208
	;; [unrolled: 1-line block ×3, first 2 shown]
	v_add_nc_u32_e32 v98, 0x400, v42
	v_add_co_u32 v32, s5, v32, s12
	s_delay_alu instid0(VALU_DEP_1)
	v_add_co_ci_u32_e64 v33, s5, s13, v33, s5
	v_add_co_u32 v30, s5, v30, s10
	s_waitcnt lgkmcnt(11)
	v_dual_fmac_f32 v49, v79, v34 :: v_dual_fmac_f32 v48, v78, v51
	v_dual_fmac_f32 v50, v78, v34 :: v_dual_fmac_f32 v9, v79, v51
	v_add_nc_u32_e32 v99, 0x800, v42
	s_waitcnt lgkmcnt(10)
	s_delay_alu instid0(VALU_DEP_3)
	v_fmac_f32_e32 v49, v81, v35
	ds_load_b128 v[71:74], v41 offset:2080
	ds_load_b128 v[75:78], v41 offset:2096
	v_dual_fmac_f32 v50, v80, v35 :: v_dual_fmac_f32 v9, v81, v52
	v_fmac_f32_e32 v48, v80, v52
	s_waitcnt lgkmcnt(10)
	v_fmac_f32_e32 v49, v87, v36
	v_add_co_ci_u32_e64 v31, s5, s11, v31, s5
	v_dual_fmac_f32 v50, v86, v36 :: v_dual_fmac_f32 v9, v87, v53
	s_waitcnt lgkmcnt(7)
	s_delay_alu instid0(VALU_DEP_3)
	v_fmac_f32_e32 v49, v89, v37
	v_fmac_f32_e32 v48, v86, v53
	ds_load_b128 v[79:82], v41 offset:64
	ds_load_b128 v[83:86], v41 offset:80
	v_fmac_f32_e32 v50, v88, v37
	ds_load_2addr_b32 v[34:35], v98 offset1:16
	v_fmac_f32_e32 v9, v89, v54
	s_waitcnt lgkmcnt(9)
	v_dual_fmac_f32 v48, v88, v54 :: v_dual_fmac_f32 v49, v91, v55
	v_fmac_f32_e32 v50, v90, v55
	ds_load_2addr_b32 v[36:37], v98 offset0:32 offset1:48
	s_waitcnt lgkmcnt(9)
	v_fmac_f32_e32 v9, v91, v67
	s_waitcnt lgkmcnt(8)
	v_dual_fmac_f32 v48, v90, v67 :: v_dual_fmac_f32 v49, v93, v56
	v_fmac_f32_e32 v50, v92, v56
	ds_load_2addr_b32 v[51:52], v98 offset0:64 offset1:80
	v_fmac_f32_e32 v9, v93, v68
	s_waitcnt lgkmcnt(8)
	v_dual_fmac_f32 v48, v92, v68 :: v_dual_fmac_f32 v49, v95, v57
	v_fmac_f32_e32 v50, v94, v57
	ds_load_2addr_b32 v[53:54], v98 offset0:96 offset1:112
	;; [unrolled: 5-line block ×5, first 2 shown]
	v_fmac_f32_e32 v9, v37, v72
	ds_load_2addr_b32 v[67:68], v98 offset0:224 offset1:240
	v_add_co_u32 v28, s5, v28, s10
	s_waitcnt lgkmcnt(5)
	v_fmac_f32_e32 v50, v51, v61
	v_fmac_f32_e32 v49, v52, v61
	;; [unrolled: 1-line block ×3, first 2 shown]
	s_add_u32 s16, s16, 32
	v_add_co_ci_u32_e64 v29, s5, s11, v29, s5
	s_waitcnt lgkmcnt(4)
	v_fmac_f32_e32 v50, v53, v62
	v_dual_fmac_f32 v48, v36, v72 :: v_dual_fmac_f32 v49, v54, v62
	ds_load_2addr_b32 v[61:62], v99 offset1:16
	v_fmac_f32_e32 v9, v54, v74
	ds_load_b128 v[34:37], v41 offset:2112
	s_waitcnt lgkmcnt(5)
	v_dual_fmac_f32 v48, v51, v73 :: v_dual_fmac_f32 v49, v56, v63
	v_fmac_f32_e32 v50, v55, v63
	v_fmac_f32_e32 v9, v56, v75
	s_addc_u32 s17, s17, 0
	s_waitcnt lgkmcnt(4)
	v_dual_fmac_f32 v48, v53, v74 :: v_dual_fmac_f32 v49, v58, v64
	v_fmac_f32_e32 v50, v57, v64
	v_fmac_f32_e32 v9, v58, v76
	ds_load_b128 v[51:54], v41 offset:2128
	v_fmac_f32_e32 v48, v55, v75
	ds_load_2addr_b32 v[55:56], v99 offset0:32 offset1:48
	s_waitcnt lgkmcnt(5)
	v_fmac_f32_e32 v49, v60, v65
	v_fmac_f32_e32 v50, v59, v65
	v_dual_fmac_f32 v9, v60, v77 :: v_dual_fmac_f32 v48, v57, v76
	ds_load_2addr_b32 v[57:58], v99 offset0:64 offset1:80
	s_waitcnt lgkmcnt(5)
	v_fmac_f32_e32 v49, v68, v66
	v_fmac_f32_e32 v50, v67, v66
	v_dual_fmac_f32 v9, v68, v78 :: v_dual_fmac_f32 v48, v59, v77
	ds_load_2addr_b32 v[59:60], v99 offset0:96 offset1:112
	ds_load_2addr_b32 v[63:64], v99 offset0:128 offset1:144
	s_waitcnt lgkmcnt(5)
	v_dual_fmac_f32 v50, v61, v79 :: v_dual_fmac_f32 v9, v62, v34
	v_dual_fmac_f32 v48, v67, v78 :: v_dual_fmac_f32 v49, v62, v79
	ds_load_2addr_b32 v[65:66], v99 offset0:192 offset1:208
	ds_load_2addr_b32 v[67:68], v99 offset0:224 offset1:240
	s_sub_i32 s6, s16, 32
	v_fmac_f32_e32 v48, v61, v34
	s_waitcnt lgkmcnt(5)
	v_dual_fmac_f32 v50, v55, v80 :: v_dual_fmac_f32 v9, v56, v35
	v_fmac_f32_e32 v49, v56, v80
	ds_load_2addr_b32 v[61:62], v99 offset0:160 offset1:176
	v_fmac_f32_e32 v48, v55, v35
	s_waitcnt lgkmcnt(5)
	v_dual_fmac_f32 v50, v57, v81 :: v_dual_fmac_f32 v9, v58, v36
	v_fmac_f32_e32 v49, v58, v81
	s_cmp_ge_i32 s6, s20
	v_fmac_f32_e32 v48, v57, v36
	s_waitcnt lgkmcnt(4)
	v_dual_fmac_f32 v50, v59, v82 :: v_dual_fmac_f32 v9, v60, v37
	v_fmac_f32_e32 v49, v60, v82
	s_delay_alu instid0(VALU_DEP_3) | instskip(SKIP_1) | instid1(VALU_DEP_3)
	v_dual_fmac_f32 v48, v59, v37 :: v_dual_add_nc_u32 v73, 0xc00, v42
	s_waitcnt lgkmcnt(3)
	v_fmac_f32_e32 v50, v63, v83
	ds_load_2addr_b32 v[69:70], v73 offset1:16
	ds_load_b128 v[34:37], v41 offset:96
	v_fmac_f32_e32 v49, v64, v83
	ds_load_b128 v[55:58], v41 offset:2144
	ds_load_2addr_b32 v[71:72], v73 offset0:64 offset1:80
	s_waitcnt lgkmcnt(4)
	v_fmac_f32_e32 v50, v61, v84
	v_dual_fmac_f32 v48, v63, v51 :: v_dual_fmac_f32 v49, v62, v84
	v_fmac_f32_e32 v9, v64, v51
	ds_load_2addr_b32 v[63:64], v73 offset0:32 offset1:48
	v_fmac_f32_e32 v50, v65, v85
	v_dual_fmac_f32 v48, v61, v52 :: v_dual_fmac_f32 v49, v66, v85
	s_delay_alu instid0(VALU_DEP_2) | instskip(NEXT) | instid1(VALU_DEP_2)
	v_dual_fmac_f32 v9, v62, v52 :: v_dual_fmac_f32 v50, v67, v86
	v_dual_fmac_f32 v48, v65, v53 :: v_dual_fmac_f32 v49, v68, v86
	s_delay_alu instid0(VALU_DEP_2)
	v_fmac_f32_e32 v9, v66, v53
	ds_load_2addr_b32 v[65:66], v73 offset0:96 offset1:112
	v_fmac_f32_e32 v48, v67, v54
	v_fmac_f32_e32 v9, v68, v54
	ds_load_b128 v[51:54], v41 offset:112
	ds_load_2addr_b32 v[67:68], v73 offset0:128 offset1:144
	ds_load_b128 v[59:62], v41 offset:2160
	s_waitcnt lgkmcnt(6)
	v_fmac_f32_e32 v48, v69, v55
	v_dual_fmac_f32 v50, v69, v34 :: v_dual_fmac_f32 v9, v70, v55
	v_fmac_f32_e32 v49, v70, v34
	ds_load_2addr_b32 v[69:70], v73 offset0:160 offset1:176
	s_waitcnt lgkmcnt(5)
	v_fmac_f32_e32 v48, v63, v56
	v_dual_fmac_f32 v50, v63, v35 :: v_dual_fmac_f32 v9, v64, v56
	v_fmac_f32_e32 v49, v64, v35
	ds_load_2addr_b32 v[34:35], v73 offset0:192 offset1:208
	v_fmac_f32_e32 v48, v71, v57
	v_dual_fmac_f32 v50, v71, v36 :: v_dual_fmac_f32 v9, v72, v57
	v_fmac_f32_e32 v49, v72, v36
	ds_load_2addr_b32 v[55:56], v73 offset0:224 offset1:240
	s_waitcnt lgkmcnt(6)
	v_fmac_f32_e32 v48, v65, v58
	v_dual_fmac_f32 v50, v65, v37 :: v_dual_fmac_f32 v9, v66, v58
	v_fmac_f32_e32 v49, v66, v37
	s_waitcnt lgkmcnt(0)
	s_barrier
	s_delay_alu instid0(VALU_DEP_2) | instskip(SKIP_2) | instid1(VALU_DEP_1)
	v_fmac_f32_e32 v50, v67, v51
	buffer_gl0_inv
	v_dual_fmac_f32 v49, v68, v51 :: v_dual_fmac_f32 v50, v69, v52
	v_dual_fmac_f32 v48, v67, v59 :: v_dual_fmac_f32 v49, v70, v52
	s_delay_alu instid0(VALU_DEP_1) | instskip(NEXT) | instid1(VALU_DEP_2)
	v_dual_fmac_f32 v9, v68, v59 :: v_dual_fmac_f32 v48, v69, v60
	v_fmac_f32_e32 v49, v35, v53
	s_delay_alu instid0(VALU_DEP_1) | instskip(NEXT) | instid1(VALU_DEP_1)
	v_dual_fmac_f32 v50, v34, v53 :: v_dual_fmac_f32 v49, v56, v54
	v_dual_fmac_f32 v9, v70, v60 :: v_dual_fmac_f32 v50, v55, v54
	s_delay_alu instid0(VALU_DEP_1) | instskip(NEXT) | instid1(VALU_DEP_1)
	v_fmac_f32_e32 v9, v35, v61
	v_dual_fmac_f32 v48, v34, v61 :: v_dual_fmac_f32 v9, v56, v62
	s_delay_alu instid0(VALU_DEP_1)
	v_fmac_f32_e32 v48, v55, v62
	s_cbranch_scc1 .LBB16_55
.LBB16_7:                               ;   Parent Loop BB16_4 Depth=1
                                        ; =>  This Inner Loop Header: Depth=2
	v_add_co_u32 v34, s5, v38, s16
	s_delay_alu instid0(VALU_DEP_1) | instskip(SKIP_1) | instid1(VALU_DEP_2)
	v_add_co_ci_u32_e64 v35, null, 0, s17, s5
	v_cmp_eq_u64_e64 s6, s[16:17], v[20:21]
	v_cmp_gt_i64_e64 s5, v[34:35], v[16:17]
	s_delay_alu instid0(VALU_DEP_2) | instskip(SKIP_1) | instid1(VALU_DEP_2)
	s_and_b32 s24, s42, s6
	v_cmp_le_i64_e64 s6, s[18:19], v[34:35]
	s_or_b32 s7, s3, s5
	s_delay_alu instid0(SALU_CYCLE_1) | instskip(SKIP_1) | instid1(VALU_DEP_1)
	s_or_b32 s8, s7, s24
	v_add_co_u32 v36, s7, v28, v22
	v_add_co_ci_u32_e64 v37, s7, v29, v23, s7
	s_delay_alu instid0(VALU_DEP_3) | instskip(NEXT) | instid1(SALU_CYCLE_1)
	s_or_b32 s7, s6, s8
	s_xor_b32 s7, s7, -1
	s_delay_alu instid0(SALU_CYCLE_1) | instskip(NEXT) | instid1(SALU_CYCLE_1)
	s_and_saveexec_b32 s8, s7
	s_xor_b32 s7, exec_lo, s8
	s_cbranch_execz .LBB16_9
; %bb.8:                                ;   in Loop: Header=BB16_7 Depth=2
	global_load_b32 v51, v[36:37], off
	s_waitcnt vmcnt(0)
	ds_store_b32 v43, v51
.LBB16_9:                               ;   in Loop: Header=BB16_7 Depth=2
	s_or_saveexec_b32 s7, s7
	s_xor_b32 s21, s24, -1
	s_xor_b32 exec_lo, exec_lo, s7
	s_cbranch_execz .LBB16_15
; %bb.10:                               ;   in Loop: Header=BB16_7 Depth=2
	s_and_saveexec_b32 s8, s21
	s_delay_alu instid0(SALU_CYCLE_1)
	s_xor_b32 s8, exec_lo, s8
	s_cbranch_execz .LBB16_12
; %bb.11:                               ;   in Loop: Header=BB16_7 Depth=2
	ds_store_b32 v43, v40
.LBB16_12:                              ;   in Loop: Header=BB16_7 Depth=2
	s_and_not1_saveexec_b32 s8, s8
	s_cbranch_execz .LBB16_14
; %bb.13:                               ;   in Loop: Header=BB16_7 Depth=2
	ds_store_b32 v43, v47
.LBB16_14:                              ;   in Loop: Header=BB16_7 Depth=2
	s_or_b32 exec_lo, exec_lo, s8
.LBB16_15:                              ;   in Loop: Header=BB16_7 Depth=2
	s_delay_alu instid0(SALU_CYCLE_1) | instskip(SKIP_1) | instid1(VALU_DEP_1)
	s_or_b32 exec_lo, exec_lo, s7
	v_add_co_u32 v51, s7, v34, 16
	v_add_co_ci_u32_e64 v52, s7, 0, v35, s7
	v_cmp_eq_u64_e64 s8, s[16:17], v[26:27]
	s_delay_alu instid0(VALU_DEP_2) | instskip(SKIP_1) | instid1(VALU_DEP_3)
	v_cmp_gt_i64_e64 s9, v[51:52], v[16:17]
	v_cmp_le_i64_e64 s7, s[18:19], v[51:52]
	s_and_b32 s25, s42, s8
	s_delay_alu instid0(VALU_DEP_2) | instskip(NEXT) | instid1(SALU_CYCLE_1)
	s_or_b32 s8, s3, s9
	s_or_b32 s8, s8, s25
	s_delay_alu instid0(VALU_DEP_1) | instid1(SALU_CYCLE_1)
	s_or_b32 s8, s7, s8
	s_delay_alu instid0(SALU_CYCLE_1) | instskip(NEXT) | instid1(SALU_CYCLE_1)
	s_xor_b32 s8, s8, -1
	s_and_saveexec_b32 s9, s8
	s_delay_alu instid0(SALU_CYCLE_1)
	s_xor_b32 s9, exec_lo, s9
	s_cbranch_execz .LBB16_17
; %bb.16:                               ;   in Loop: Header=BB16_7 Depth=2
	v_add_co_u32 v51, s8, v30, v22
	s_delay_alu instid0(VALU_DEP_1)
	v_add_co_ci_u32_e64 v52, s8, v31, v23, s8
	global_load_b32 v51, v[51:52], off
	s_waitcnt vmcnt(0)
	ds_store_b32 v43, v51 offset:64
.LBB16_17:                              ;   in Loop: Header=BB16_7 Depth=2
	s_and_not1_saveexec_b32 s8, s9
	s_cbranch_execz .LBB16_23
; %bb.18:                               ;   in Loop: Header=BB16_7 Depth=2
	s_xor_b32 s9, s25, -1
	s_delay_alu instid0(SALU_CYCLE_1) | instskip(NEXT) | instid1(SALU_CYCLE_1)
	s_and_saveexec_b32 s25, s9
	s_xor_b32 s9, exec_lo, s25
	s_cbranch_execz .LBB16_20
; %bb.19:                               ;   in Loop: Header=BB16_7 Depth=2
	ds_store_b32 v43, v40 offset:64
.LBB16_20:                              ;   in Loop: Header=BB16_7 Depth=2
	s_and_not1_saveexec_b32 s9, s9
	s_cbranch_execz .LBB16_22
; %bb.21:                               ;   in Loop: Header=BB16_7 Depth=2
	ds_store_b32 v43, v47 offset:64
.LBB16_22:                              ;   in Loop: Header=BB16_7 Depth=2
	s_or_b32 exec_lo, exec_lo, s9
.LBB16_23:                              ;   in Loop: Header=BB16_7 Depth=2
	s_delay_alu instid0(SALU_CYCLE_1) | instskip(SKIP_2) | instid1(VALU_DEP_2)
	s_or_b32 exec_lo, exec_lo, s8
	v_cmp_eq_u64_e64 s8, s[16:17], v[24:25]
	v_cmp_gt_i64_e64 s9, v[34:35], v[18:19]
	s_and_b32 s8, s42, s8
	s_delay_alu instid0(VALU_DEP_1) | instskip(NEXT) | instid1(SALU_CYCLE_1)
	s_or_b32 s9, s4, s9
	s_or_b32 s9, s9, s8
	s_delay_alu instid0(SALU_CYCLE_1) | instskip(NEXT) | instid1(SALU_CYCLE_1)
	s_or_b32 s6, s6, s9
	s_xor_b32 s6, s6, -1
	s_delay_alu instid0(SALU_CYCLE_1) | instskip(NEXT) | instid1(SALU_CYCLE_1)
	s_and_saveexec_b32 s9, s6
	s_xor_b32 s6, exec_lo, s9
	s_cbranch_execz .LBB16_25
; %bb.24:                               ;   in Loop: Header=BB16_7 Depth=2
	global_load_b32 v34, v[36:37], off offset:64
	s_waitcnt vmcnt(0)
	ds_store_b32 v43, v34 offset:2048
.LBB16_25:                              ;   in Loop: Header=BB16_7 Depth=2
	s_and_not1_saveexec_b32 s6, s6
	s_cbranch_execz .LBB16_31
; %bb.26:                               ;   in Loop: Header=BB16_7 Depth=2
	s_xor_b32 s8, s8, -1
	s_delay_alu instid0(SALU_CYCLE_1) | instskip(NEXT) | instid1(SALU_CYCLE_1)
	s_and_saveexec_b32 s9, s8
	s_xor_b32 s8, exec_lo, s9
	s_cbranch_execz .LBB16_28
; %bb.27:                               ;   in Loop: Header=BB16_7 Depth=2
	ds_store_b32 v43, v40 offset:2048
.LBB16_28:                              ;   in Loop: Header=BB16_7 Depth=2
	s_and_not1_saveexec_b32 s8, s8
	s_cbranch_execz .LBB16_30
; %bb.29:                               ;   in Loop: Header=BB16_7 Depth=2
	ds_store_b32 v43, v47 offset:2048
.LBB16_30:                              ;   in Loop: Header=BB16_7 Depth=2
	s_or_b32 exec_lo, exec_lo, s8
.LBB16_31:                              ;   in Loop: Header=BB16_7 Depth=2
	s_delay_alu instid0(SALU_CYCLE_1) | instskip(SKIP_1) | instid1(SALU_CYCLE_1)
	s_or_b32 exec_lo, exec_lo, s6
	s_or_b32 s5, s4, s5
	s_or_b32 s5, s5, s24
	s_delay_alu instid0(SALU_CYCLE_1) | instskip(NEXT) | instid1(SALU_CYCLE_1)
	s_or_b32 s5, s7, s5
	s_xor_b32 s5, s5, -1
	s_delay_alu instid0(SALU_CYCLE_1) | instskip(NEXT) | instid1(SALU_CYCLE_1)
	s_and_saveexec_b32 s6, s5
	s_xor_b32 s6, exec_lo, s6
	s_cbranch_execz .LBB16_33
; %bb.32:                               ;   in Loop: Header=BB16_7 Depth=2
	v_add_co_u32 v34, s5, v30, v22
	s_delay_alu instid0(VALU_DEP_1)
	v_add_co_ci_u32_e64 v35, s5, v31, v23, s5
	global_load_b32 v34, v[34:35], off offset:64
	s_waitcnt vmcnt(0)
	ds_store_b32 v43, v34 offset:2112
.LBB16_33:                              ;   in Loop: Header=BB16_7 Depth=2
	s_and_not1_saveexec_b32 s5, s6
	s_cbranch_execz .LBB16_39
; %bb.34:                               ;   in Loop: Header=BB16_7 Depth=2
	s_and_saveexec_b32 s6, s21
	s_delay_alu instid0(SALU_CYCLE_1)
	s_xor_b32 s6, exec_lo, s6
	s_cbranch_execz .LBB16_36
; %bb.35:                               ;   in Loop: Header=BB16_7 Depth=2
	ds_store_b32 v43, v40 offset:2112
.LBB16_36:                              ;   in Loop: Header=BB16_7 Depth=2
	s_and_not1_saveexec_b32 s6, s6
	s_cbranch_execz .LBB16_38
; %bb.37:                               ;   in Loop: Header=BB16_7 Depth=2
	ds_store_b32 v43, v47 offset:2112
.LBB16_38:                              ;   in Loop: Header=BB16_7 Depth=2
	s_or_b32 exec_lo, exec_lo, s6
.LBB16_39:                              ;   in Loop: Header=BB16_7 Depth=2
	s_delay_alu instid0(SALU_CYCLE_1) | instskip(SKIP_1) | instid1(VALU_DEP_1)
	s_or_b32 exec_lo, exec_lo, s5
	v_add_co_u32 v34, s5, v39, s16
	v_add_co_ci_u32_e64 v35, null, 0, s17, s5
	v_add_co_u32 v36, s6, v32, v12
	s_delay_alu instid0(VALU_DEP_1) | instskip(NEXT) | instid1(VALU_DEP_3)
	v_add_co_ci_u32_e64 v37, s6, v33, v13, s6
	v_cmp_le_i64_e64 s5, s[18:19], v[34:35]
	s_delay_alu instid0(VALU_DEP_1) | instskip(NEXT) | instid1(SALU_CYCLE_1)
	s_or_b32 s6, s5, vcc_lo
	s_xor_b32 s6, s6, -1
	s_delay_alu instid0(SALU_CYCLE_1) | instskip(NEXT) | instid1(SALU_CYCLE_1)
	s_and_saveexec_b32 s7, s6
	s_xor_b32 s6, exec_lo, s7
	s_cbranch_execz .LBB16_41
; %bb.40:                               ;   in Loop: Header=BB16_7 Depth=2
	global_load_b32 v51, v[36:37], off offset:-64
	s_waitcnt vmcnt(0)
	ds_store_b32 v44, v51
.LBB16_41:                              ;   in Loop: Header=BB16_7 Depth=2
	s_and_not1_saveexec_b32 s6, s6
	s_cbranch_execz .LBB16_43
; %bb.42:                               ;   in Loop: Header=BB16_7 Depth=2
	ds_store_b32 v44, v40
.LBB16_43:                              ;   in Loop: Header=BB16_7 Depth=2
	s_or_b32 exec_lo, exec_lo, s6
	s_or_b32 s5, s5, s0
	s_delay_alu instid0(SALU_CYCLE_1) | instskip(NEXT) | instid1(SALU_CYCLE_1)
	s_xor_b32 s5, s5, -1
	s_and_saveexec_b32 s6, s5
	s_delay_alu instid0(SALU_CYCLE_1)
	s_xor_b32 s5, exec_lo, s6
	s_cbranch_execz .LBB16_45
; %bb.44:                               ;   in Loop: Header=BB16_7 Depth=2
	global_load_b32 v36, v[36:37], off
	s_waitcnt vmcnt(0)
	ds_store_b32 v44, v36 offset:64
.LBB16_45:                              ;   in Loop: Header=BB16_7 Depth=2
	s_and_not1_saveexec_b32 s5, s5
	s_cbranch_execz .LBB16_47
; %bb.46:                               ;   in Loop: Header=BB16_7 Depth=2
	ds_store_b32 v44, v40 offset:64
.LBB16_47:                              ;   in Loop: Header=BB16_7 Depth=2
	s_or_b32 exec_lo, exec_lo, s5
	v_cmp_le_i64_e64 s5, s[22:23], v[34:35]
	s_delay_alu instid0(VALU_DEP_1) | instskip(NEXT) | instid1(SALU_CYCLE_1)
	s_or_b32 s6, s5, vcc_lo
	s_xor_b32 s6, s6, -1
	s_delay_alu instid0(SALU_CYCLE_1) | instskip(NEXT) | instid1(SALU_CYCLE_1)
	s_and_saveexec_b32 s7, s6
	s_xor_b32 s7, exec_lo, s7
	s_cbranch_execz .LBB16_49
; %bb.48:                               ;   in Loop: Header=BB16_7 Depth=2
	v_add_co_u32 v34, s6, v32, v6
	s_delay_alu instid0(VALU_DEP_1)
	v_add_co_ci_u32_e64 v35, s6, v33, v7, s6
	global_load_b32 v34, v[34:35], off offset:-64
	s_waitcnt vmcnt(0)
	ds_store_b32 v44, v34 offset:2048
.LBB16_49:                              ;   in Loop: Header=BB16_7 Depth=2
	s_and_not1_saveexec_b32 s6, s7
	s_cbranch_execz .LBB16_51
; %bb.50:                               ;   in Loop: Header=BB16_7 Depth=2
	ds_store_b32 v44, v40 offset:2048
.LBB16_51:                              ;   in Loop: Header=BB16_7 Depth=2
	s_or_b32 exec_lo, exec_lo, s6
	s_or_b32 s5, s5, s0
	s_delay_alu instid0(SALU_CYCLE_1) | instskip(NEXT) | instid1(SALU_CYCLE_1)
	s_xor_b32 s5, s5, -1
	s_and_saveexec_b32 s6, s5
	s_delay_alu instid0(SALU_CYCLE_1)
	s_xor_b32 s6, exec_lo, s6
	s_cbranch_execz .LBB16_53
; %bb.52:                               ;   in Loop: Header=BB16_7 Depth=2
	v_add_co_u32 v34, s5, v32, v6
	s_delay_alu instid0(VALU_DEP_1)
	v_add_co_ci_u32_e64 v35, s5, v33, v7, s5
	global_load_b32 v34, v[34:35], off
	s_waitcnt vmcnt(0)
	ds_store_b32 v44, v34 offset:2112
.LBB16_53:                              ;   in Loop: Header=BB16_7 Depth=2
	s_and_not1_saveexec_b32 s5, s6
	s_cbranch_execz .LBB16_6
; %bb.54:                               ;   in Loop: Header=BB16_7 Depth=2
	ds_store_b32 v44, v40 offset:2112
	s_branch .LBB16_6
.LBB16_55:                              ;   in Loop: Header=BB16_4 Depth=1
	s_delay_alu instid0(VALU_DEP_1) | instskip(SKIP_3) | instid1(VALU_DEP_2)
	v_mul_lo_u32 v19, v17, s36
	v_mul_lo_u32 v20, v16, s37
	v_mad_u64_u32 v[17:18], null, v16, s36, 0
	v_cmp_gt_i32_e64 s3, s18, v16
	v_add3_u32 v18, v18, v20, v19
	s_delay_alu instid0(VALU_DEP_1) | instskip(NEXT) | instid1(VALU_DEP_1)
	v_lshlrev_b64 v[17:18], 2, v[17:18]
	v_add_co_u32 v17, s4, s38, v17
	s_delay_alu instid0(VALU_DEP_1) | instskip(SKIP_1) | instid1(SALU_CYCLE_1)
	v_add_co_ci_u32_e64 v18, s4, s39, v18, s4
	s_and_b32 s4, s1, s3
	s_and_saveexec_b32 s5, s4
	s_cbranch_execz .LBB16_57
; %bb.56:                               ;   in Loop: Header=BB16_4 Depth=1
	v_add_co_u32 v19, s4, v17, v10
	s_delay_alu instid0(VALU_DEP_1)
	v_add_co_ci_u32_e64 v20, s4, v18, v11, s4
	global_load_b32 v21, v[19:20], off
	s_waitcnt vmcnt(0)
	v_fmac_f32_e32 v21, s33, v50
	global_store_b32 v[19:20], v21, off
.LBB16_57:                              ;   in Loop: Header=BB16_4 Depth=1
	s_or_b32 exec_lo, exec_lo, s5
	s_and_b32 s3, s2, s3
	s_delay_alu instid0(SALU_CYCLE_1)
	s_and_saveexec_b32 s4, s3
	s_cbranch_execz .LBB16_59
; %bb.58:                               ;   in Loop: Header=BB16_4 Depth=1
	v_lshlrev_b64 v[19:20], 2, v[2:3]
	s_delay_alu instid0(VALU_DEP_1) | instskip(NEXT) | instid1(VALU_DEP_1)
	v_add_co_u32 v17, s3, v17, v19
	v_add_co_ci_u32_e64 v18, s3, v18, v20, s3
	global_load_b32 v19, v[17:18], off
	s_waitcnt vmcnt(0)
	v_fmac_f32_e32 v19, s33, v49
	global_store_b32 v[17:18], v19, off
.LBB16_59:                              ;   in Loop: Header=BB16_4 Depth=1
	s_or_b32 exec_lo, exec_lo, s4
	v_add_nc_u32_e32 v18, 16, v16
	s_delay_alu instid0(VALU_DEP_1) | instskip(SKIP_3) | instid1(VALU_DEP_4)
	v_ashrrev_i32_e32 v19, 31, v18
	v_mul_lo_u32 v20, v18, s37
	v_mad_u64_u32 v[16:17], null, v18, s36, 0
	v_cmp_gt_i32_e64 s3, s18, v18
	v_mul_lo_u32 v19, v19, s36
	s_delay_alu instid0(VALU_DEP_1) | instskip(NEXT) | instid1(VALU_DEP_1)
	v_add3_u32 v17, v17, v20, v19
	v_lshlrev_b64 v[16:17], 2, v[16:17]
	s_delay_alu instid0(VALU_DEP_1) | instskip(NEXT) | instid1(VALU_DEP_1)
	v_add_co_u32 v16, s4, s38, v16
	v_add_co_ci_u32_e64 v17, s4, s39, v17, s4
	s_and_b32 s4, s1, s3
	s_delay_alu instid0(SALU_CYCLE_1)
	s_and_saveexec_b32 s5, s4
	s_cbranch_execz .LBB16_61
; %bb.60:                               ;   in Loop: Header=BB16_4 Depth=1
	v_add_co_u32 v18, s4, v16, v10
	s_delay_alu instid0(VALU_DEP_1)
	v_add_co_ci_u32_e64 v19, s4, v17, v11, s4
	global_load_b32 v20, v[18:19], off
	s_waitcnt vmcnt(0)
	v_fmac_f32_e32 v20, s33, v48
	global_store_b32 v[18:19], v20, off
.LBB16_61:                              ;   in Loop: Header=BB16_4 Depth=1
	s_or_b32 exec_lo, exec_lo, s5
	s_and_b32 s3, s2, s3
	s_delay_alu instid0(SALU_CYCLE_1)
	s_and_saveexec_b32 s4, s3
	s_cbranch_execz .LBB16_3
; %bb.62:                               ;   in Loop: Header=BB16_4 Depth=1
	v_lshlrev_b64 v[18:19], 2, v[2:3]
	s_delay_alu instid0(VALU_DEP_1) | instskip(NEXT) | instid1(VALU_DEP_1)
	v_add_co_u32 v16, s3, v16, v18
	v_add_co_ci_u32_e64 v17, s3, v17, v19, s3
	global_load_b32 v18, v[16:17], off
	s_waitcnt vmcnt(0)
	v_fmac_f32_e32 v18, s33, v9
	global_store_b32 v[16:17], v18, off
	s_branch .LBB16_3
.LBB16_63:
	s_nop 0
	s_sendmsg sendmsg(MSG_DEALLOC_VGPRS)
	s_endpgm
	.section	.rodata,"a",@progbits
	.p2align	6, 0x0
	.amdhsa_kernel _ZL30rocblas_trmm_outofplace_kernelIfLi32ELi2ELb0ELb0ELb1ELb0EPKfS0_fEv17rocblas_diagonal_iiT6_lPT7_lllS5_lllPT8_llli
		.amdhsa_group_segment_fixed_size 8192
		.amdhsa_private_segment_fixed_size 0
		.amdhsa_kernarg_size 392
		.amdhsa_user_sgpr_count 13
		.amdhsa_user_sgpr_dispatch_ptr 0
		.amdhsa_user_sgpr_queue_ptr 0
		.amdhsa_user_sgpr_kernarg_segment_ptr 1
		.amdhsa_user_sgpr_dispatch_id 0
		.amdhsa_user_sgpr_private_segment_size 0
		.amdhsa_wavefront_size32 1
		.amdhsa_uses_dynamic_stack 0
		.amdhsa_enable_private_segment 0
		.amdhsa_system_sgpr_workgroup_id_x 1
		.amdhsa_system_sgpr_workgroup_id_y 1
		.amdhsa_system_sgpr_workgroup_id_z 1
		.amdhsa_system_sgpr_workgroup_info 0
		.amdhsa_system_vgpr_workitem_id 1
		.amdhsa_next_free_vgpr 100
		.amdhsa_next_free_sgpr 43
		.amdhsa_reserve_vcc 1
		.amdhsa_float_round_mode_32 0
		.amdhsa_float_round_mode_16_64 0
		.amdhsa_float_denorm_mode_32 3
		.amdhsa_float_denorm_mode_16_64 3
		.amdhsa_dx10_clamp 1
		.amdhsa_ieee_mode 1
		.amdhsa_fp16_overflow 0
		.amdhsa_workgroup_processor_mode 1
		.amdhsa_memory_ordered 1
		.amdhsa_forward_progress 0
		.amdhsa_shared_vgpr_count 0
		.amdhsa_exception_fp_ieee_invalid_op 0
		.amdhsa_exception_fp_denorm_src 0
		.amdhsa_exception_fp_ieee_div_zero 0
		.amdhsa_exception_fp_ieee_overflow 0
		.amdhsa_exception_fp_ieee_underflow 0
		.amdhsa_exception_fp_ieee_inexact 0
		.amdhsa_exception_int_div_zero 0
	.end_amdhsa_kernel
	.section	.text._ZL30rocblas_trmm_outofplace_kernelIfLi32ELi2ELb0ELb0ELb1ELb0EPKfS0_fEv17rocblas_diagonal_iiT6_lPT7_lllS5_lllPT8_llli,"axG",@progbits,_ZL30rocblas_trmm_outofplace_kernelIfLi32ELi2ELb0ELb0ELb1ELb0EPKfS0_fEv17rocblas_diagonal_iiT6_lPT7_lllS5_lllPT8_llli,comdat
.Lfunc_end16:
	.size	_ZL30rocblas_trmm_outofplace_kernelIfLi32ELi2ELb0ELb0ELb1ELb0EPKfS0_fEv17rocblas_diagonal_iiT6_lPT7_lllS5_lllPT8_llli, .Lfunc_end16-_ZL30rocblas_trmm_outofplace_kernelIfLi32ELi2ELb0ELb0ELb1ELb0EPKfS0_fEv17rocblas_diagonal_iiT6_lPT7_lllS5_lllPT8_llli
                                        ; -- End function
	.section	.AMDGPU.csdata,"",@progbits
; Kernel info:
; codeLenInByte = 3504
; NumSgprs: 45
; NumVgprs: 100
; ScratchSize: 0
; MemoryBound: 0
; FloatMode: 240
; IeeeMode: 1
; LDSByteSize: 8192 bytes/workgroup (compile time only)
; SGPRBlocks: 5
; VGPRBlocks: 12
; NumSGPRsForWavesPerEU: 45
; NumVGPRsForWavesPerEU: 100
; Occupancy: 12
; WaveLimiterHint : 0
; COMPUTE_PGM_RSRC2:SCRATCH_EN: 0
; COMPUTE_PGM_RSRC2:USER_SGPR: 13
; COMPUTE_PGM_RSRC2:TRAP_HANDLER: 0
; COMPUTE_PGM_RSRC2:TGID_X_EN: 1
; COMPUTE_PGM_RSRC2:TGID_Y_EN: 1
; COMPUTE_PGM_RSRC2:TGID_Z_EN: 1
; COMPUTE_PGM_RSRC2:TIDIG_COMP_CNT: 1
	.section	.text._ZL30rocblas_trmm_outofplace_kernelIfLi32ELi2ELb0ELb0ELb1ELb0EfKffEv17rocblas_diagonal_iiT6_lPT7_lllS4_lllPT8_llli,"axG",@progbits,_ZL30rocblas_trmm_outofplace_kernelIfLi32ELi2ELb0ELb0ELb1ELb0EfKffEv17rocblas_diagonal_iiT6_lPT7_lllS4_lllPT8_llli,comdat
	.globl	_ZL30rocblas_trmm_outofplace_kernelIfLi32ELi2ELb0ELb0ELb1ELb0EfKffEv17rocblas_diagonal_iiT6_lPT7_lllS4_lllPT8_llli ; -- Begin function _ZL30rocblas_trmm_outofplace_kernelIfLi32ELi2ELb0ELb0ELb1ELb0EfKffEv17rocblas_diagonal_iiT6_lPT7_lllS4_lllPT8_llli
	.p2align	8
	.type	_ZL30rocblas_trmm_outofplace_kernelIfLi32ELi2ELb0ELb0ELb1ELb0EfKffEv17rocblas_diagonal_iiT6_lPT7_lllS4_lllPT8_llli,@function
_ZL30rocblas_trmm_outofplace_kernelIfLi32ELi2ELb0ELb0ELb1ELb0EfKffEv17rocblas_diagonal_iiT6_lPT7_lllS4_lllPT8_llli: ; @_ZL30rocblas_trmm_outofplace_kernelIfLi32ELi2ELb0ELb0ELb1ELb0EfKffEv17rocblas_diagonal_iiT6_lPT7_lllS4_lllPT8_llli
; %bb.0:
	s_load_b128 s[8:11], s[0:1], 0x0
	s_waitcnt lgkmcnt(0)
	v_cmp_eq_f32_e64 s2, s11, 0
	s_delay_alu instid0(VALU_DEP_1)
	s_and_b32 vcc_lo, exec_lo, s2
	s_cbranch_vccnz .LBB17_63
; %bb.1:
	s_add_i32 s2, s10, -1
	s_delay_alu instid0(SALU_CYCLE_1) | instskip(NEXT) | instid1(SALU_CYCLE_1)
	s_ashr_i32 s3, s2, 31
	s_lshr_b32 s3, s3, 27
	s_delay_alu instid0(SALU_CYCLE_1) | instskip(NEXT) | instid1(SALU_CYCLE_1)
	s_add_i32 s2, s2, s3
	s_ashr_i32 s33, s2, 5
	s_delay_alu instid0(SALU_CYCLE_1)
	s_cmp_gt_i32 s14, s33
	s_cbranch_scc1 .LBB17_63
; %bb.2:
	s_clause 0x1
	s_load_b512 s[16:31], s[0:1], 0x18
	s_load_b256 s[36:43], s[0:1], 0x58
	v_and_b32_e32 v38, 0x3ff, v0
	v_bfe_u32 v39, v0, 10, 10
	s_load_b32 s44, s[0:1], 0x84
	v_mov_b32_e32 v47, 1.0
	s_delay_alu instid0(VALU_DEP_2)
	v_lshl_add_u32 v15, v39, 2, 64
	v_lshl_add_u32 v8, s14, 5, v39
	s_waitcnt lgkmcnt(0)
	v_mad_u64_u32 v[0:1], null, v38, s20, 0
	s_mul_i32 s1, s15, s23
	s_mul_hi_u32 s2, s15, s22
	s_mul_i32 s0, s15, s22
	s_add_i32 s1, s2, s1
	s_mul_i32 s3, s15, s43
	s_lshl_b64 s[4:5], s[0:1], 2
	s_delay_alu instid0(VALU_DEP_1)
	v_mad_u64_u32 v[2:3], null, v38, s21, v[1:2]
	s_add_u32 s1, s16, s4
	s_addc_u32 s12, s17, s5
	s_lshl_b64 s[6:7], s[18:19], 2
	s_mul_hi_u32 s2, s15, s42
	s_add_u32 s34, s1, s6
	s_mul_i32 s0, s15, s42
	s_delay_alu instid0(VALU_DEP_1)
	v_mov_b32_e32 v1, v2
	s_addc_u32 s12, s12, s7
	s_add_i32 s1, s2, s3
	v_lshl_add_u32 v9, s13, 5, v38
	s_lshl_b64 s[0:1], s[0:1], 2
	v_lshlrev_b64 v[0:1], 2, v[0:1]
	s_add_u32 s2, s36, s0
	s_addc_u32 s3, s37, s1
	s_lshl_b64 s[0:1], s[38:39], 2
	v_ashrrev_i32_e32 v10, 31, v9
	s_add_u32 s36, s2, s0
	s_addc_u32 s37, s3, s1
	s_cmpk_eq_i32 s8, 0x84
	v_sub_co_u32 v2, vcc_lo, s9, v9
	s_cselect_b32 s38, -1, 0
	s_ashr_i32 s0, s9, 31
	v_mad_u64_u32 v[12:13], null, s28, v39, 0
	v_sub_co_ci_u32_e32 v3, vcc_lo, s0, v10, vcc_lo
	v_add_co_u32 v0, vcc_lo, s34, v0
	v_add_co_ci_u32_e32 v1, vcc_lo, s12, v1, vcc_lo
	s_delay_alu instid0(VALU_DEP_3)
	v_cmp_gt_i64_e32 vcc_lo, 1, v[2:3]
	v_cmp_gt_i64_e64 s0, 17, v[2:3]
	v_add_nc_u32_e32 v2, 16, v9
	s_ashr_i32 s13, s10, 31
	s_lshl_b64 s[18:19], s[20:21], 7
	s_lshl_b64 s[22:23], s[28:29], 7
	s_mul_i32 s3, s31, s15
	s_mul_hi_u32 s8, s30, s15
	s_add_u32 s34, s10, -16
	s_addc_u32 s35, s13, -1
	v_cmp_gt_i32_e64 s1, s9, v9
	v_cmp_gt_i32_e64 s2, s9, v2
	s_add_i32 s9, s8, s3
	s_mul_i32 s8, s30, s15
	v_dual_mov_b32 v40, 0 :: v_dual_lshlrev_b32 v5, 2, v38
	v_dual_mov_b32 v4, v13 :: v_dual_lshlrev_b32 v41, 7, v39
	s_lshl_b64 s[8:9], s[8:9], 2
	s_lshl_b64 s[26:27], s[26:27], 2
	s_lshl_b32 s15, s44, 5
	s_add_u32 s3, s8, s26
	s_addc_u32 s8, s9, s27
	s_add_u32 s3, s24, s3
	v_mad_u64_u32 v[13:14], null, s29, v39, v[4:5]
	s_addc_u32 s8, s25, s8
	v_add_nc_u32_e32 v14, 64, v5
	s_add_u32 s6, s16, s6
	s_addc_u32 s7, s17, s7
	s_add_u32 s4, s6, s4
	s_addc_u32 s5, s7, s5
	v_add_nc_u32_e32 v42, v41, v5
	v_or_b32_e32 v43, 0x1000, v5
	v_mad_u64_u32 v[4:5], null, s20, v14, s[4:5]
	v_mad_u64_u32 v[6:7], null, s28, v15, 0
	v_lshlrev_b64 v[10:11], 2, v[9:10]
	v_sub_co_u32 v45, s4, 0, v38
	v_lshlrev_b64 v[12:13], 2, v[12:13]
	v_ashrrev_i32_e32 v3, 31, v2
	v_sub_co_ci_u32_e64 v46, null, 0, 0, s4
	v_mad_u64_u32 v[16:17], null, s21, v14, v[5:6]
	v_mad_u64_u32 v[17:18], null, s29, v15, v[7:8]
	v_add_co_u32 v5, s3, s3, v10
	s_delay_alu instid0(VALU_DEP_1) | instskip(SKIP_1) | instid1(VALU_DEP_3)
	v_add_co_ci_u32_e64 v7, s3, s8, v11, s3
	v_add_nc_u32_e32 v44, v43, v41
	v_add_co_u32 v14, s3, v5, 64
	s_delay_alu instid0(VALU_DEP_1)
	v_add_co_ci_u32_e64 v15, s3, 0, v7, s3
	v_mov_b32_e32 v7, v17
	v_mov_b32_e32 v5, v16
	s_mov_b32 s12, s10
	s_branch .LBB17_4
.LBB17_3:                               ;   in Loop: Header=BB17_4 Depth=1
	s_or_b32 exec_lo, exec_lo, s4
	v_add_nc_u32_e32 v8, s15, v8
	s_add_i32 s14, s44, s14
	s_delay_alu instid0(SALU_CYCLE_1)
	s_cmp_le_i32 s14, s33
	s_cbranch_scc0 .LBB17_63
.LBB17_4:                               ; =>This Loop Header: Depth=1
                                        ;     Child Loop BB17_7 Depth 2
	s_lshl_b32 s20, s14, 5
	v_dual_mov_b32 v50, 0 :: v_dual_mov_b32 v9, 0
	v_dual_mov_b32 v49, 0 :: v_dual_add_nc_u32 v16, s20, v39
	v_mov_b32_e32 v48, 0
	s_cmp_lt_i32 s14, 0
	s_delay_alu instid0(VALU_DEP_2)
	v_ashrrev_i32_e32 v17, 31, v16
	s_cbranch_scc1 .LBB17_55
; %bb.5:                                ;   in Loop: Header=BB17_4 Depth=1
	v_ashrrev_i32_e32 v9, 31, v8
	v_add_co_u32 v18, s3, v16, 16
	s_delay_alu instid0(VALU_DEP_1) | instskip(SKIP_1) | instid1(VALU_DEP_1)
	v_add_co_ci_u32_e64 v19, s3, 0, v17, s3
	v_add_co_u32 v20, s3, v45, v8
	v_add_co_ci_u32_e64 v21, s3, v46, v9, s3
	v_lshlrev_b64 v[22:23], 2, v[8:9]
	s_delay_alu instid0(VALU_DEP_3) | instskip(NEXT) | instid1(VALU_DEP_1)
	v_add_co_u32 v24, s5, v20, 16
	v_add_co_ci_u32_e64 v25, s5, 0, v21, s5
	v_add_co_u32 v26, s5, v20, -16
	v_cmp_le_i64_e64 s4, s[12:13], v[18:19]
	v_mov_b32_e32 v29, v1
	v_mov_b32_e32 v31, v5
	v_dual_mov_b32 v33, v15 :: v_dual_mov_b32 v48, 0
	v_cmp_le_i32_e64 s3, s10, v16
	v_add_co_ci_u32_e64 v27, s5, -1, v21, s5
	v_dual_mov_b32 v9, 0 :: v_dual_mov_b32 v28, v0
	v_mov_b32_e32 v30, v4
	v_dual_mov_b32 v32, v14 :: v_dual_mov_b32 v49, 0
	v_mov_b32_e32 v50, 0
	s_mov_b64 s[16:17], 0
	s_branch .LBB17_7
.LBB17_6:                               ;   in Loop: Header=BB17_7 Depth=2
	s_or_b32 exec_lo, exec_lo, s5
	s_waitcnt lgkmcnt(0)
	s_waitcnt_vscnt null, 0x0
	s_barrier
	buffer_gl0_inv
	ds_load_2addr_b32 v[78:79], v43 offset1:16
	ds_load_b128 v[34:37], v41
	ds_load_b128 v[51:54], v41 offset:2048
	ds_load_2addr_b32 v[80:81], v43 offset0:32 offset1:48
	ds_load_b128 v[55:58], v41 offset:16
	ds_load_2addr_b32 v[86:87], v43 offset0:64 offset1:80
	ds_load_b128 v[59:62], v41 offset:32
	ds_load_b128 v[63:66], v41 offset:48
	ds_load_2addr_b32 v[88:89], v43 offset0:96 offset1:112
	ds_load_2addr_b32 v[90:91], v43 offset0:128 offset1:144
	ds_load_b128 v[67:70], v41 offset:2064
	ds_load_2addr_b32 v[92:93], v43 offset0:160 offset1:176
	ds_load_2addr_b32 v[94:95], v43 offset0:192 offset1:208
	;; [unrolled: 1-line block ×3, first 2 shown]
	v_add_nc_u32_e32 v98, 0x400, v43
	v_add_co_u32 v32, s5, v32, s22
	s_delay_alu instid0(VALU_DEP_1)
	v_add_co_ci_u32_e64 v33, s5, s23, v33, s5
	v_add_co_u32 v30, s5, v30, s18
	s_waitcnt lgkmcnt(12)
	v_fmac_f32_e32 v49, v79, v34
	s_waitcnt lgkmcnt(11)
	v_dual_fmac_f32 v50, v78, v34 :: v_dual_fmac_f32 v9, v79, v51
	v_fmac_f32_e32 v48, v78, v51
	ds_load_b128 v[71:74], v41 offset:2080
	ds_load_b128 v[75:78], v41 offset:2096
	v_add_co_ci_u32_e64 v31, s5, s19, v31, s5
	s_waitcnt lgkmcnt(12)
	v_fmac_f32_e32 v9, v81, v52
	v_dual_fmac_f32 v49, v81, v35 :: v_dual_fmac_f32 v48, v80, v52
	v_fmac_f32_e32 v50, v80, v35
	v_add_co_u32 v28, s5, v28, s18
	s_waitcnt lgkmcnt(10)
	s_delay_alu instid0(VALU_DEP_3) | instskip(NEXT) | instid1(VALU_DEP_3)
	v_fmac_f32_e32 v49, v87, v36
	v_dual_fmac_f32 v50, v86, v36 :: v_dual_add_nc_u32 v99, 0x800, v43
	v_fmac_f32_e32 v9, v87, v53
	v_fmac_f32_e32 v48, v86, v53
	s_waitcnt lgkmcnt(7)
	v_fmac_f32_e32 v49, v89, v37
	ds_load_b128 v[79:82], v41 offset:64
	ds_load_b128 v[83:86], v41 offset:80
	v_fmac_f32_e32 v50, v88, v37
	ds_load_2addr_b32 v[34:35], v98 offset1:16
	v_fmac_f32_e32 v9, v89, v54
	s_waitcnt lgkmcnt(9)
	v_dual_fmac_f32 v49, v91, v55 :: v_dual_fmac_f32 v48, v88, v54
	v_fmac_f32_e32 v50, v90, v55
	ds_load_2addr_b32 v[36:37], v98 offset0:32 offset1:48
	s_waitcnt lgkmcnt(9)
	v_fmac_f32_e32 v9, v91, v67
	s_waitcnt lgkmcnt(8)
	v_dual_fmac_f32 v49, v93, v56 :: v_dual_fmac_f32 v48, v90, v67
	v_fmac_f32_e32 v50, v92, v56
	ds_load_2addr_b32 v[51:52], v98 offset0:64 offset1:80
	v_fmac_f32_e32 v9, v93, v68
	s_waitcnt lgkmcnt(8)
	v_dual_fmac_f32 v49, v95, v57 :: v_dual_fmac_f32 v48, v92, v68
	v_fmac_f32_e32 v50, v94, v57
	ds_load_2addr_b32 v[53:54], v98 offset0:96 offset1:112
	;; [unrolled: 5-line block ×5, first 2 shown]
	v_fmac_f32_e32 v9, v37, v72
	ds_load_2addr_b32 v[67:68], v98 offset0:224 offset1:240
	s_add_u32 s16, s16, 32
	s_waitcnt lgkmcnt(5)
	v_fmac_f32_e32 v50, v51, v61
	v_fmac_f32_e32 v49, v52, v61
	;; [unrolled: 1-line block ×3, first 2 shown]
	v_add_co_ci_u32_e64 v29, s5, s19, v29, s5
	s_waitcnt lgkmcnt(4)
	v_fmac_f32_e32 v50, v53, v62
	v_dual_fmac_f32 v48, v36, v72 :: v_dual_fmac_f32 v49, v54, v62
	ds_load_2addr_b32 v[61:62], v99 offset1:16
	v_fmac_f32_e32 v9, v54, v74
	ds_load_b128 v[34:37], v41 offset:2112
	s_waitcnt lgkmcnt(5)
	v_dual_fmac_f32 v48, v51, v73 :: v_dual_fmac_f32 v49, v56, v63
	v_fmac_f32_e32 v50, v55, v63
	v_fmac_f32_e32 v9, v56, v75
	s_addc_u32 s17, s17, 0
	s_waitcnt lgkmcnt(4)
	v_dual_fmac_f32 v48, v53, v74 :: v_dual_fmac_f32 v49, v58, v64
	v_fmac_f32_e32 v50, v57, v64
	v_fmac_f32_e32 v9, v58, v76
	ds_load_b128 v[51:54], v41 offset:2128
	v_fmac_f32_e32 v48, v55, v75
	ds_load_2addr_b32 v[55:56], v99 offset0:32 offset1:48
	s_waitcnt lgkmcnt(5)
	v_fmac_f32_e32 v49, v60, v65
	v_fmac_f32_e32 v50, v59, v65
	v_dual_fmac_f32 v9, v60, v77 :: v_dual_fmac_f32 v48, v57, v76
	ds_load_2addr_b32 v[57:58], v99 offset0:64 offset1:80
	s_waitcnt lgkmcnt(5)
	v_fmac_f32_e32 v49, v68, v66
	v_fmac_f32_e32 v50, v67, v66
	v_dual_fmac_f32 v9, v68, v78 :: v_dual_fmac_f32 v48, v59, v77
	ds_load_2addr_b32 v[59:60], v99 offset0:96 offset1:112
	ds_load_2addr_b32 v[63:64], v99 offset0:128 offset1:144
	s_waitcnt lgkmcnt(5)
	v_dual_fmac_f32 v50, v61, v79 :: v_dual_fmac_f32 v9, v62, v34
	v_dual_fmac_f32 v48, v67, v78 :: v_dual_fmac_f32 v49, v62, v79
	ds_load_2addr_b32 v[65:66], v99 offset0:192 offset1:208
	ds_load_2addr_b32 v[67:68], v99 offset0:224 offset1:240
	s_sub_i32 s6, s16, 32
	v_fmac_f32_e32 v48, v61, v34
	s_waitcnt lgkmcnt(5)
	v_dual_fmac_f32 v50, v55, v80 :: v_dual_fmac_f32 v9, v56, v35
	v_fmac_f32_e32 v49, v56, v80
	ds_load_2addr_b32 v[61:62], v99 offset0:160 offset1:176
	v_fmac_f32_e32 v48, v55, v35
	s_waitcnt lgkmcnt(5)
	v_dual_fmac_f32 v50, v57, v81 :: v_dual_fmac_f32 v9, v58, v36
	v_fmac_f32_e32 v49, v58, v81
	s_delay_alu instid0(VALU_DEP_3) | instskip(SKIP_1) | instid1(VALU_DEP_3)
	v_dual_fmac_f32 v48, v57, v36 :: v_dual_add_nc_u32 v73, 0xc00, v43
	s_waitcnt lgkmcnt(4)
	v_dual_fmac_f32 v50, v59, v82 :: v_dual_fmac_f32 v9, v60, v37
	s_delay_alu instid0(VALU_DEP_3)
	v_fmac_f32_e32 v49, v60, v82
	s_cmp_ge_i32 s6, s20
	v_fmac_f32_e32 v48, v59, v37
	s_waitcnt lgkmcnt(3)
	v_fmac_f32_e32 v50, v63, v83
	ds_load_2addr_b32 v[69:70], v73 offset1:16
	ds_load_b128 v[34:37], v41 offset:96
	v_fmac_f32_e32 v49, v64, v83
	ds_load_b128 v[55:58], v41 offset:2144
	ds_load_2addr_b32 v[71:72], v73 offset0:64 offset1:80
	s_waitcnt lgkmcnt(4)
	v_fmac_f32_e32 v50, v61, v84
	v_dual_fmac_f32 v48, v63, v51 :: v_dual_fmac_f32 v49, v62, v84
	v_fmac_f32_e32 v9, v64, v51
	ds_load_2addr_b32 v[63:64], v73 offset0:32 offset1:48
	v_fmac_f32_e32 v50, v65, v85
	v_dual_fmac_f32 v48, v61, v52 :: v_dual_fmac_f32 v49, v66, v85
	s_delay_alu instid0(VALU_DEP_2) | instskip(NEXT) | instid1(VALU_DEP_2)
	v_dual_fmac_f32 v9, v62, v52 :: v_dual_fmac_f32 v50, v67, v86
	v_dual_fmac_f32 v48, v65, v53 :: v_dual_fmac_f32 v49, v68, v86
	s_delay_alu instid0(VALU_DEP_2)
	v_fmac_f32_e32 v9, v66, v53
	ds_load_2addr_b32 v[65:66], v73 offset0:96 offset1:112
	v_fmac_f32_e32 v48, v67, v54
	v_fmac_f32_e32 v9, v68, v54
	ds_load_b128 v[51:54], v41 offset:112
	ds_load_2addr_b32 v[67:68], v73 offset0:128 offset1:144
	ds_load_b128 v[59:62], v41 offset:2160
	s_waitcnt lgkmcnt(6)
	v_fmac_f32_e32 v48, v69, v55
	v_dual_fmac_f32 v50, v69, v34 :: v_dual_fmac_f32 v9, v70, v55
	v_fmac_f32_e32 v49, v70, v34
	ds_load_2addr_b32 v[69:70], v73 offset0:160 offset1:176
	s_waitcnt lgkmcnt(5)
	v_fmac_f32_e32 v48, v63, v56
	v_dual_fmac_f32 v50, v63, v35 :: v_dual_fmac_f32 v9, v64, v56
	v_fmac_f32_e32 v49, v64, v35
	ds_load_2addr_b32 v[34:35], v73 offset0:192 offset1:208
	v_fmac_f32_e32 v48, v71, v57
	v_dual_fmac_f32 v50, v71, v36 :: v_dual_fmac_f32 v9, v72, v57
	v_fmac_f32_e32 v49, v72, v36
	ds_load_2addr_b32 v[55:56], v73 offset0:224 offset1:240
	s_waitcnt lgkmcnt(6)
	v_fmac_f32_e32 v48, v65, v58
	v_dual_fmac_f32 v50, v65, v37 :: v_dual_fmac_f32 v9, v66, v58
	v_fmac_f32_e32 v49, v66, v37
	s_waitcnt lgkmcnt(0)
	s_barrier
	s_delay_alu instid0(VALU_DEP_2) | instskip(SKIP_2) | instid1(VALU_DEP_1)
	v_fmac_f32_e32 v50, v67, v51
	buffer_gl0_inv
	v_dual_fmac_f32 v49, v68, v51 :: v_dual_fmac_f32 v50, v69, v52
	v_dual_fmac_f32 v48, v67, v59 :: v_dual_fmac_f32 v49, v70, v52
	s_delay_alu instid0(VALU_DEP_1) | instskip(NEXT) | instid1(VALU_DEP_2)
	v_dual_fmac_f32 v9, v68, v59 :: v_dual_fmac_f32 v48, v69, v60
	v_fmac_f32_e32 v49, v35, v53
	s_delay_alu instid0(VALU_DEP_1) | instskip(NEXT) | instid1(VALU_DEP_1)
	v_dual_fmac_f32 v50, v34, v53 :: v_dual_fmac_f32 v49, v56, v54
	v_dual_fmac_f32 v9, v70, v60 :: v_dual_fmac_f32 v50, v55, v54
	s_delay_alu instid0(VALU_DEP_1) | instskip(NEXT) | instid1(VALU_DEP_1)
	v_fmac_f32_e32 v9, v35, v61
	v_dual_fmac_f32 v48, v34, v61 :: v_dual_fmac_f32 v9, v56, v62
	s_delay_alu instid0(VALU_DEP_1)
	v_fmac_f32_e32 v48, v55, v62
	s_cbranch_scc1 .LBB17_55
.LBB17_7:                               ;   Parent Loop BB17_4 Depth=1
                                        ; =>  This Inner Loop Header: Depth=2
	v_add_co_u32 v34, s5, v38, s16
	s_delay_alu instid0(VALU_DEP_1) | instskip(SKIP_1) | instid1(VALU_DEP_2)
	v_add_co_ci_u32_e64 v35, null, 0, s17, s5
	v_cmp_eq_u64_e64 s6, s[16:17], v[20:21]
	v_cmp_gt_i64_e64 s5, v[34:35], v[16:17]
	s_delay_alu instid0(VALU_DEP_2) | instskip(SKIP_1) | instid1(VALU_DEP_2)
	s_and_b32 s24, s38, s6
	v_cmp_le_i64_e64 s6, s[12:13], v[34:35]
	s_or_b32 s7, s3, s5
	s_delay_alu instid0(SALU_CYCLE_1) | instskip(SKIP_1) | instid1(VALU_DEP_1)
	s_or_b32 s8, s7, s24
	v_add_co_u32 v36, s7, v28, v22
	v_add_co_ci_u32_e64 v37, s7, v29, v23, s7
	s_delay_alu instid0(VALU_DEP_3) | instskip(NEXT) | instid1(SALU_CYCLE_1)
	s_or_b32 s7, s6, s8
	s_xor_b32 s7, s7, -1
	s_delay_alu instid0(SALU_CYCLE_1) | instskip(NEXT) | instid1(SALU_CYCLE_1)
	s_and_saveexec_b32 s8, s7
	s_xor_b32 s7, exec_lo, s8
	s_cbranch_execz .LBB17_9
; %bb.8:                                ;   in Loop: Header=BB17_7 Depth=2
	global_load_b32 v51, v[36:37], off
	s_waitcnt vmcnt(0)
	ds_store_b32 v42, v51
.LBB17_9:                               ;   in Loop: Header=BB17_7 Depth=2
	s_or_saveexec_b32 s7, s7
	s_xor_b32 s21, s24, -1
	s_xor_b32 exec_lo, exec_lo, s7
	s_cbranch_execz .LBB17_15
; %bb.10:                               ;   in Loop: Header=BB17_7 Depth=2
	s_and_saveexec_b32 s8, s21
	s_delay_alu instid0(SALU_CYCLE_1)
	s_xor_b32 s8, exec_lo, s8
	s_cbranch_execz .LBB17_12
; %bb.11:                               ;   in Loop: Header=BB17_7 Depth=2
	ds_store_b32 v42, v40
.LBB17_12:                              ;   in Loop: Header=BB17_7 Depth=2
	s_and_not1_saveexec_b32 s8, s8
	s_cbranch_execz .LBB17_14
; %bb.13:                               ;   in Loop: Header=BB17_7 Depth=2
	ds_store_b32 v42, v47
.LBB17_14:                              ;   in Loop: Header=BB17_7 Depth=2
	s_or_b32 exec_lo, exec_lo, s8
.LBB17_15:                              ;   in Loop: Header=BB17_7 Depth=2
	s_delay_alu instid0(SALU_CYCLE_1) | instskip(SKIP_1) | instid1(VALU_DEP_1)
	s_or_b32 exec_lo, exec_lo, s7
	v_add_co_u32 v51, s7, v34, 16
	v_add_co_ci_u32_e64 v52, s7, 0, v35, s7
	v_cmp_eq_u64_e64 s8, s[16:17], v[26:27]
	s_delay_alu instid0(VALU_DEP_2) | instskip(SKIP_1) | instid1(VALU_DEP_3)
	v_cmp_gt_i64_e64 s9, v[51:52], v[16:17]
	v_cmp_le_i64_e64 s7, s[12:13], v[51:52]
	s_and_b32 s25, s38, s8
	s_delay_alu instid0(VALU_DEP_2) | instskip(NEXT) | instid1(SALU_CYCLE_1)
	s_or_b32 s8, s3, s9
	s_or_b32 s8, s8, s25
	s_delay_alu instid0(VALU_DEP_1) | instid1(SALU_CYCLE_1)
	s_or_b32 s8, s7, s8
	s_delay_alu instid0(SALU_CYCLE_1) | instskip(NEXT) | instid1(SALU_CYCLE_1)
	s_xor_b32 s8, s8, -1
	s_and_saveexec_b32 s9, s8
	s_delay_alu instid0(SALU_CYCLE_1)
	s_xor_b32 s9, exec_lo, s9
	s_cbranch_execz .LBB17_17
; %bb.16:                               ;   in Loop: Header=BB17_7 Depth=2
	v_add_co_u32 v51, s8, v30, v22
	s_delay_alu instid0(VALU_DEP_1)
	v_add_co_ci_u32_e64 v52, s8, v31, v23, s8
	global_load_b32 v51, v[51:52], off
	s_waitcnt vmcnt(0)
	ds_store_b32 v42, v51 offset:64
.LBB17_17:                              ;   in Loop: Header=BB17_7 Depth=2
	s_and_not1_saveexec_b32 s8, s9
	s_cbranch_execz .LBB17_23
; %bb.18:                               ;   in Loop: Header=BB17_7 Depth=2
	s_xor_b32 s9, s25, -1
	s_delay_alu instid0(SALU_CYCLE_1) | instskip(NEXT) | instid1(SALU_CYCLE_1)
	s_and_saveexec_b32 s25, s9
	s_xor_b32 s9, exec_lo, s25
	s_cbranch_execz .LBB17_20
; %bb.19:                               ;   in Loop: Header=BB17_7 Depth=2
	ds_store_b32 v42, v40 offset:64
.LBB17_20:                              ;   in Loop: Header=BB17_7 Depth=2
	s_and_not1_saveexec_b32 s9, s9
	s_cbranch_execz .LBB17_22
; %bb.21:                               ;   in Loop: Header=BB17_7 Depth=2
	ds_store_b32 v42, v47 offset:64
.LBB17_22:                              ;   in Loop: Header=BB17_7 Depth=2
	s_or_b32 exec_lo, exec_lo, s9
.LBB17_23:                              ;   in Loop: Header=BB17_7 Depth=2
	s_delay_alu instid0(SALU_CYCLE_1) | instskip(SKIP_2) | instid1(VALU_DEP_2)
	s_or_b32 exec_lo, exec_lo, s8
	v_cmp_eq_u64_e64 s8, s[16:17], v[24:25]
	v_cmp_gt_i64_e64 s9, v[34:35], v[18:19]
	s_and_b32 s8, s38, s8
	s_delay_alu instid0(VALU_DEP_1) | instskip(NEXT) | instid1(SALU_CYCLE_1)
	s_or_b32 s9, s4, s9
	s_or_b32 s9, s9, s8
	s_delay_alu instid0(SALU_CYCLE_1) | instskip(NEXT) | instid1(SALU_CYCLE_1)
	s_or_b32 s6, s6, s9
	s_xor_b32 s6, s6, -1
	s_delay_alu instid0(SALU_CYCLE_1) | instskip(NEXT) | instid1(SALU_CYCLE_1)
	s_and_saveexec_b32 s9, s6
	s_xor_b32 s6, exec_lo, s9
	s_cbranch_execz .LBB17_25
; %bb.24:                               ;   in Loop: Header=BB17_7 Depth=2
	global_load_b32 v34, v[36:37], off offset:64
	s_waitcnt vmcnt(0)
	ds_store_b32 v42, v34 offset:2048
.LBB17_25:                              ;   in Loop: Header=BB17_7 Depth=2
	s_and_not1_saveexec_b32 s6, s6
	s_cbranch_execz .LBB17_31
; %bb.26:                               ;   in Loop: Header=BB17_7 Depth=2
	s_xor_b32 s8, s8, -1
	s_delay_alu instid0(SALU_CYCLE_1) | instskip(NEXT) | instid1(SALU_CYCLE_1)
	s_and_saveexec_b32 s9, s8
	s_xor_b32 s8, exec_lo, s9
	s_cbranch_execz .LBB17_28
; %bb.27:                               ;   in Loop: Header=BB17_7 Depth=2
	ds_store_b32 v42, v40 offset:2048
.LBB17_28:                              ;   in Loop: Header=BB17_7 Depth=2
	s_and_not1_saveexec_b32 s8, s8
	s_cbranch_execz .LBB17_30
; %bb.29:                               ;   in Loop: Header=BB17_7 Depth=2
	ds_store_b32 v42, v47 offset:2048
.LBB17_30:                              ;   in Loop: Header=BB17_7 Depth=2
	s_or_b32 exec_lo, exec_lo, s8
.LBB17_31:                              ;   in Loop: Header=BB17_7 Depth=2
	s_delay_alu instid0(SALU_CYCLE_1) | instskip(SKIP_1) | instid1(SALU_CYCLE_1)
	s_or_b32 exec_lo, exec_lo, s6
	s_or_b32 s5, s4, s5
	s_or_b32 s5, s5, s24
	s_delay_alu instid0(SALU_CYCLE_1) | instskip(NEXT) | instid1(SALU_CYCLE_1)
	s_or_b32 s5, s7, s5
	s_xor_b32 s5, s5, -1
	s_delay_alu instid0(SALU_CYCLE_1) | instskip(NEXT) | instid1(SALU_CYCLE_1)
	s_and_saveexec_b32 s6, s5
	s_xor_b32 s6, exec_lo, s6
	s_cbranch_execz .LBB17_33
; %bb.32:                               ;   in Loop: Header=BB17_7 Depth=2
	v_add_co_u32 v34, s5, v30, v22
	s_delay_alu instid0(VALU_DEP_1)
	v_add_co_ci_u32_e64 v35, s5, v31, v23, s5
	global_load_b32 v34, v[34:35], off offset:64
	s_waitcnt vmcnt(0)
	ds_store_b32 v42, v34 offset:2112
.LBB17_33:                              ;   in Loop: Header=BB17_7 Depth=2
	s_and_not1_saveexec_b32 s5, s6
	s_cbranch_execz .LBB17_39
; %bb.34:                               ;   in Loop: Header=BB17_7 Depth=2
	s_and_saveexec_b32 s6, s21
	s_delay_alu instid0(SALU_CYCLE_1)
	s_xor_b32 s6, exec_lo, s6
	s_cbranch_execz .LBB17_36
; %bb.35:                               ;   in Loop: Header=BB17_7 Depth=2
	ds_store_b32 v42, v40 offset:2112
.LBB17_36:                              ;   in Loop: Header=BB17_7 Depth=2
	s_and_not1_saveexec_b32 s6, s6
	s_cbranch_execz .LBB17_38
; %bb.37:                               ;   in Loop: Header=BB17_7 Depth=2
	ds_store_b32 v42, v47 offset:2112
.LBB17_38:                              ;   in Loop: Header=BB17_7 Depth=2
	s_or_b32 exec_lo, exec_lo, s6
.LBB17_39:                              ;   in Loop: Header=BB17_7 Depth=2
	s_delay_alu instid0(SALU_CYCLE_1) | instskip(SKIP_1) | instid1(VALU_DEP_1)
	s_or_b32 exec_lo, exec_lo, s5
	v_add_co_u32 v34, s5, v39, s16
	v_add_co_ci_u32_e64 v35, null, 0, s17, s5
	v_add_co_u32 v36, s6, v32, v12
	s_delay_alu instid0(VALU_DEP_1) | instskip(NEXT) | instid1(VALU_DEP_3)
	v_add_co_ci_u32_e64 v37, s6, v33, v13, s6
	v_cmp_le_i64_e64 s5, s[12:13], v[34:35]
	s_delay_alu instid0(VALU_DEP_1) | instskip(NEXT) | instid1(SALU_CYCLE_1)
	s_or_b32 s6, s5, vcc_lo
	s_xor_b32 s6, s6, -1
	s_delay_alu instid0(SALU_CYCLE_1) | instskip(NEXT) | instid1(SALU_CYCLE_1)
	s_and_saveexec_b32 s7, s6
	s_xor_b32 s6, exec_lo, s7
	s_cbranch_execz .LBB17_41
; %bb.40:                               ;   in Loop: Header=BB17_7 Depth=2
	global_load_b32 v51, v[36:37], off offset:-64
	s_waitcnt vmcnt(0)
	ds_store_b32 v44, v51
.LBB17_41:                              ;   in Loop: Header=BB17_7 Depth=2
	s_and_not1_saveexec_b32 s6, s6
	s_cbranch_execz .LBB17_43
; %bb.42:                               ;   in Loop: Header=BB17_7 Depth=2
	ds_store_b32 v44, v40
.LBB17_43:                              ;   in Loop: Header=BB17_7 Depth=2
	s_or_b32 exec_lo, exec_lo, s6
	s_or_b32 s5, s5, s0
	s_delay_alu instid0(SALU_CYCLE_1) | instskip(NEXT) | instid1(SALU_CYCLE_1)
	s_xor_b32 s5, s5, -1
	s_and_saveexec_b32 s6, s5
	s_delay_alu instid0(SALU_CYCLE_1)
	s_xor_b32 s5, exec_lo, s6
	s_cbranch_execz .LBB17_45
; %bb.44:                               ;   in Loop: Header=BB17_7 Depth=2
	global_load_b32 v36, v[36:37], off
	s_waitcnt vmcnt(0)
	ds_store_b32 v44, v36 offset:64
.LBB17_45:                              ;   in Loop: Header=BB17_7 Depth=2
	s_and_not1_saveexec_b32 s5, s5
	s_cbranch_execz .LBB17_47
; %bb.46:                               ;   in Loop: Header=BB17_7 Depth=2
	ds_store_b32 v44, v40 offset:64
.LBB17_47:                              ;   in Loop: Header=BB17_7 Depth=2
	s_or_b32 exec_lo, exec_lo, s5
	v_cmp_le_i64_e64 s5, s[34:35], v[34:35]
	s_delay_alu instid0(VALU_DEP_1) | instskip(NEXT) | instid1(SALU_CYCLE_1)
	s_or_b32 s6, s5, vcc_lo
	s_xor_b32 s6, s6, -1
	s_delay_alu instid0(SALU_CYCLE_1) | instskip(NEXT) | instid1(SALU_CYCLE_1)
	s_and_saveexec_b32 s7, s6
	s_xor_b32 s7, exec_lo, s7
	s_cbranch_execz .LBB17_49
; %bb.48:                               ;   in Loop: Header=BB17_7 Depth=2
	v_add_co_u32 v34, s6, v32, v6
	s_delay_alu instid0(VALU_DEP_1)
	v_add_co_ci_u32_e64 v35, s6, v33, v7, s6
	global_load_b32 v34, v[34:35], off offset:-64
	s_waitcnt vmcnt(0)
	ds_store_b32 v44, v34 offset:2048
.LBB17_49:                              ;   in Loop: Header=BB17_7 Depth=2
	s_and_not1_saveexec_b32 s6, s7
	s_cbranch_execz .LBB17_51
; %bb.50:                               ;   in Loop: Header=BB17_7 Depth=2
	ds_store_b32 v44, v40 offset:2048
.LBB17_51:                              ;   in Loop: Header=BB17_7 Depth=2
	s_or_b32 exec_lo, exec_lo, s6
	s_or_b32 s5, s5, s0
	s_delay_alu instid0(SALU_CYCLE_1) | instskip(NEXT) | instid1(SALU_CYCLE_1)
	s_xor_b32 s5, s5, -1
	s_and_saveexec_b32 s6, s5
	s_delay_alu instid0(SALU_CYCLE_1)
	s_xor_b32 s6, exec_lo, s6
	s_cbranch_execz .LBB17_53
; %bb.52:                               ;   in Loop: Header=BB17_7 Depth=2
	v_add_co_u32 v34, s5, v32, v6
	s_delay_alu instid0(VALU_DEP_1)
	v_add_co_ci_u32_e64 v35, s5, v33, v7, s5
	global_load_b32 v34, v[34:35], off
	s_waitcnt vmcnt(0)
	ds_store_b32 v44, v34 offset:2112
.LBB17_53:                              ;   in Loop: Header=BB17_7 Depth=2
	s_and_not1_saveexec_b32 s5, s6
	s_cbranch_execz .LBB17_6
; %bb.54:                               ;   in Loop: Header=BB17_7 Depth=2
	ds_store_b32 v44, v40 offset:2112
	s_branch .LBB17_6
.LBB17_55:                              ;   in Loop: Header=BB17_4 Depth=1
	s_delay_alu instid0(VALU_DEP_1) | instskip(SKIP_3) | instid1(VALU_DEP_2)
	v_mul_lo_u32 v19, v17, s40
	v_mul_lo_u32 v20, v16, s41
	v_mad_u64_u32 v[17:18], null, v16, s40, 0
	v_cmp_gt_i32_e64 s3, s10, v16
	v_add3_u32 v18, v18, v20, v19
	s_delay_alu instid0(VALU_DEP_1) | instskip(NEXT) | instid1(VALU_DEP_1)
	v_lshlrev_b64 v[17:18], 2, v[17:18]
	v_add_co_u32 v17, s4, s36, v17
	s_delay_alu instid0(VALU_DEP_1) | instskip(SKIP_1) | instid1(SALU_CYCLE_1)
	v_add_co_ci_u32_e64 v18, s4, s37, v18, s4
	s_and_b32 s4, s1, s3
	s_and_saveexec_b32 s5, s4
	s_cbranch_execz .LBB17_57
; %bb.56:                               ;   in Loop: Header=BB17_4 Depth=1
	v_add_co_u32 v19, s4, v17, v10
	s_delay_alu instid0(VALU_DEP_1)
	v_add_co_ci_u32_e64 v20, s4, v18, v11, s4
	global_load_b32 v21, v[19:20], off
	s_waitcnt vmcnt(0)
	v_fmac_f32_e32 v21, s11, v50
	global_store_b32 v[19:20], v21, off
.LBB17_57:                              ;   in Loop: Header=BB17_4 Depth=1
	s_or_b32 exec_lo, exec_lo, s5
	s_and_b32 s3, s2, s3
	s_delay_alu instid0(SALU_CYCLE_1)
	s_and_saveexec_b32 s4, s3
	s_cbranch_execz .LBB17_59
; %bb.58:                               ;   in Loop: Header=BB17_4 Depth=1
	v_lshlrev_b64 v[19:20], 2, v[2:3]
	s_delay_alu instid0(VALU_DEP_1) | instskip(NEXT) | instid1(VALU_DEP_1)
	v_add_co_u32 v17, s3, v17, v19
	v_add_co_ci_u32_e64 v18, s3, v18, v20, s3
	global_load_b32 v19, v[17:18], off
	s_waitcnt vmcnt(0)
	v_fmac_f32_e32 v19, s11, v49
	global_store_b32 v[17:18], v19, off
.LBB17_59:                              ;   in Loop: Header=BB17_4 Depth=1
	s_or_b32 exec_lo, exec_lo, s4
	v_add_nc_u32_e32 v18, 16, v16
	s_delay_alu instid0(VALU_DEP_1) | instskip(SKIP_3) | instid1(VALU_DEP_4)
	v_ashrrev_i32_e32 v19, 31, v18
	v_mul_lo_u32 v20, v18, s41
	v_mad_u64_u32 v[16:17], null, v18, s40, 0
	v_cmp_gt_i32_e64 s3, s10, v18
	v_mul_lo_u32 v19, v19, s40
	s_delay_alu instid0(VALU_DEP_1) | instskip(NEXT) | instid1(VALU_DEP_1)
	v_add3_u32 v17, v17, v20, v19
	v_lshlrev_b64 v[16:17], 2, v[16:17]
	s_delay_alu instid0(VALU_DEP_1) | instskip(NEXT) | instid1(VALU_DEP_1)
	v_add_co_u32 v16, s4, s36, v16
	v_add_co_ci_u32_e64 v17, s4, s37, v17, s4
	s_and_b32 s4, s1, s3
	s_delay_alu instid0(SALU_CYCLE_1)
	s_and_saveexec_b32 s5, s4
	s_cbranch_execz .LBB17_61
; %bb.60:                               ;   in Loop: Header=BB17_4 Depth=1
	v_add_co_u32 v18, s4, v16, v10
	s_delay_alu instid0(VALU_DEP_1)
	v_add_co_ci_u32_e64 v19, s4, v17, v11, s4
	global_load_b32 v20, v[18:19], off
	s_waitcnt vmcnt(0)
	v_fmac_f32_e32 v20, s11, v48
	global_store_b32 v[18:19], v20, off
.LBB17_61:                              ;   in Loop: Header=BB17_4 Depth=1
	s_or_b32 exec_lo, exec_lo, s5
	s_and_b32 s3, s2, s3
	s_delay_alu instid0(SALU_CYCLE_1)
	s_and_saveexec_b32 s4, s3
	s_cbranch_execz .LBB17_3
; %bb.62:                               ;   in Loop: Header=BB17_4 Depth=1
	v_lshlrev_b64 v[18:19], 2, v[2:3]
	s_delay_alu instid0(VALU_DEP_1) | instskip(NEXT) | instid1(VALU_DEP_1)
	v_add_co_u32 v16, s3, v16, v18
	v_add_co_ci_u32_e64 v17, s3, v17, v19, s3
	global_load_b32 v18, v[16:17], off
	s_waitcnt vmcnt(0)
	v_fmac_f32_e32 v18, s11, v9
	global_store_b32 v[16:17], v18, off
	s_branch .LBB17_3
.LBB17_63:
	s_nop 0
	s_sendmsg sendmsg(MSG_DEALLOC_VGPRS)
	s_endpgm
	.section	.rodata,"a",@progbits
	.p2align	6, 0x0
	.amdhsa_kernel _ZL30rocblas_trmm_outofplace_kernelIfLi32ELi2ELb0ELb0ELb1ELb0EfKffEv17rocblas_diagonal_iiT6_lPT7_lllS4_lllPT8_llli
		.amdhsa_group_segment_fixed_size 8192
		.amdhsa_private_segment_fixed_size 0
		.amdhsa_kernarg_size 384
		.amdhsa_user_sgpr_count 13
		.amdhsa_user_sgpr_dispatch_ptr 0
		.amdhsa_user_sgpr_queue_ptr 0
		.amdhsa_user_sgpr_kernarg_segment_ptr 1
		.amdhsa_user_sgpr_dispatch_id 0
		.amdhsa_user_sgpr_private_segment_size 0
		.amdhsa_wavefront_size32 1
		.amdhsa_uses_dynamic_stack 0
		.amdhsa_enable_private_segment 0
		.amdhsa_system_sgpr_workgroup_id_x 1
		.amdhsa_system_sgpr_workgroup_id_y 1
		.amdhsa_system_sgpr_workgroup_id_z 1
		.amdhsa_system_sgpr_workgroup_info 0
		.amdhsa_system_vgpr_workitem_id 1
		.amdhsa_next_free_vgpr 100
		.amdhsa_next_free_sgpr 45
		.amdhsa_reserve_vcc 1
		.amdhsa_float_round_mode_32 0
		.amdhsa_float_round_mode_16_64 0
		.amdhsa_float_denorm_mode_32 3
		.amdhsa_float_denorm_mode_16_64 3
		.amdhsa_dx10_clamp 1
		.amdhsa_ieee_mode 1
		.amdhsa_fp16_overflow 0
		.amdhsa_workgroup_processor_mode 1
		.amdhsa_memory_ordered 1
		.amdhsa_forward_progress 0
		.amdhsa_shared_vgpr_count 0
		.amdhsa_exception_fp_ieee_invalid_op 0
		.amdhsa_exception_fp_denorm_src 0
		.amdhsa_exception_fp_ieee_div_zero 0
		.amdhsa_exception_fp_ieee_overflow 0
		.amdhsa_exception_fp_ieee_underflow 0
		.amdhsa_exception_fp_ieee_inexact 0
		.amdhsa_exception_int_div_zero 0
	.end_amdhsa_kernel
	.section	.text._ZL30rocblas_trmm_outofplace_kernelIfLi32ELi2ELb0ELb0ELb1ELb0EfKffEv17rocblas_diagonal_iiT6_lPT7_lllS4_lllPT8_llli,"axG",@progbits,_ZL30rocblas_trmm_outofplace_kernelIfLi32ELi2ELb0ELb0ELb1ELb0EfKffEv17rocblas_diagonal_iiT6_lPT7_lllS4_lllPT8_llli,comdat
.Lfunc_end17:
	.size	_ZL30rocblas_trmm_outofplace_kernelIfLi32ELi2ELb0ELb0ELb1ELb0EfKffEv17rocblas_diagonal_iiT6_lPT7_lllS4_lllPT8_llli, .Lfunc_end17-_ZL30rocblas_trmm_outofplace_kernelIfLi32ELi2ELb0ELb0ELb1ELb0EfKffEv17rocblas_diagonal_iiT6_lPT7_lllS4_lllPT8_llli
                                        ; -- End function
	.section	.AMDGPU.csdata,"",@progbits
; Kernel info:
; codeLenInByte = 3468
; NumSgprs: 47
; NumVgprs: 100
; ScratchSize: 0
; MemoryBound: 0
; FloatMode: 240
; IeeeMode: 1
; LDSByteSize: 8192 bytes/workgroup (compile time only)
; SGPRBlocks: 5
; VGPRBlocks: 12
; NumSGPRsForWavesPerEU: 47
; NumVGPRsForWavesPerEU: 100
; Occupancy: 12
; WaveLimiterHint : 0
; COMPUTE_PGM_RSRC2:SCRATCH_EN: 0
; COMPUTE_PGM_RSRC2:USER_SGPR: 13
; COMPUTE_PGM_RSRC2:TRAP_HANDLER: 0
; COMPUTE_PGM_RSRC2:TGID_X_EN: 1
; COMPUTE_PGM_RSRC2:TGID_Y_EN: 1
; COMPUTE_PGM_RSRC2:TGID_Z_EN: 1
; COMPUTE_PGM_RSRC2:TIDIG_COMP_CNT: 1
	.section	.text._ZL30rocblas_trmm_outofplace_kernelIfLi32ELi2ELb0ELb1ELb1ELb0EPKfS0_fEv17rocblas_diagonal_iiT6_lPT7_lllS5_lllPT8_llli,"axG",@progbits,_ZL30rocblas_trmm_outofplace_kernelIfLi32ELi2ELb0ELb1ELb1ELb0EPKfS0_fEv17rocblas_diagonal_iiT6_lPT7_lllS5_lllPT8_llli,comdat
	.globl	_ZL30rocblas_trmm_outofplace_kernelIfLi32ELi2ELb0ELb1ELb1ELb0EPKfS0_fEv17rocblas_diagonal_iiT6_lPT7_lllS5_lllPT8_llli ; -- Begin function _ZL30rocblas_trmm_outofplace_kernelIfLi32ELi2ELb0ELb1ELb1ELb0EPKfS0_fEv17rocblas_diagonal_iiT6_lPT7_lllS5_lllPT8_llli
	.p2align	8
	.type	_ZL30rocblas_trmm_outofplace_kernelIfLi32ELi2ELb0ELb1ELb1ELb0EPKfS0_fEv17rocblas_diagonal_iiT6_lPT7_lllS5_lllPT8_llli,@function
_ZL30rocblas_trmm_outofplace_kernelIfLi32ELi2ELb0ELb1ELb1ELb0EPKfS0_fEv17rocblas_diagonal_iiT6_lPT7_lllS5_lllPT8_llli: ; @_ZL30rocblas_trmm_outofplace_kernelIfLi32ELi2ELb0ELb1ELb1ELb0EPKfS0_fEv17rocblas_diagonal_iiT6_lPT7_lllS5_lllPT8_llli
; %bb.0:
	s_load_b512 s[16:31], s[0:1], 0x10
	s_waitcnt lgkmcnt(0)
	s_mul_i32 s2, s15, s19
	s_mul_hi_u32 s3, s15, s18
	s_delay_alu instid0(SALU_CYCLE_1) | instskip(SKIP_1) | instid1(SALU_CYCLE_1)
	s_add_i32 s3, s3, s2
	s_mul_i32 s2, s15, s18
	s_lshl_b64 s[2:3], s[2:3], 2
	s_delay_alu instid0(SALU_CYCLE_1) | instskip(SKIP_4) | instid1(VALU_DEP_1)
	s_add_u32 s2, s16, s2
	s_addc_u32 s3, s17, s3
	s_load_b32 s33, s[2:3], 0x0
	s_waitcnt lgkmcnt(0)
	v_cmp_eq_f32_e64 s2, s33, 0
	s_and_b32 vcc_lo, exec_lo, s2
	s_cbranch_vccnz .LBB18_63
; %bb.1:
	s_load_b128 s[8:11], s[0:1], 0x0
	s_waitcnt lgkmcnt(0)
	s_add_i32 s2, s10, -1
	s_delay_alu instid0(SALU_CYCLE_1) | instskip(NEXT) | instid1(SALU_CYCLE_1)
	s_ashr_i32 s3, s2, 31
	s_lshr_b32 s3, s3, 27
	s_delay_alu instid0(SALU_CYCLE_1) | instskip(NEXT) | instid1(SALU_CYCLE_1)
	s_add_i32 s2, s2, s3
	s_ashr_i32 s34, s2, 5
	s_delay_alu instid0(SALU_CYCLE_1)
	s_cmp_gt_i32 s14, s34
	s_cbranch_scc1 .LBB18_63
; %bb.2:
	s_clause 0x2
	s_load_b256 s[36:43], s[0:1], 0x50
	s_load_b128 s[16:19], s[0:1], 0x70
	s_load_b32 s35, s[0:1], 0x8c
	v_dual_mov_b32 v41, 0 :: v_dual_and_b32 v10, 0x3ff, v0
	v_bfe_u32 v36, v0, 10, 10
	v_mov_b32_e32 v42, 1.0
	s_delay_alu instid0(VALU_DEP_3) | instskip(SKIP_1) | instid1(VALU_DEP_4)
	v_lshl_add_u32 v6, s13, 5, v10
	v_lshlrev_b32_e32 v0, 2, v10
	v_lshlrev_b32_e32 v37, 7, v36
	s_delay_alu instid0(VALU_DEP_3) | instskip(SKIP_1) | instid1(VALU_DEP_3)
	v_ashrrev_i32_e32 v7, 31, v6
	v_sub_co_u32 v8, vcc_lo, s9, v6
	v_add_nc_u32_e32 v38, v37, v0
	v_or_b32_e32 v39, 0x1000, v0
	s_delay_alu instid0(VALU_DEP_4)
	v_lshlrev_b64 v[2:3], 2, v[6:7]
	v_add_nc_u32_e32 v0, 16, v6
	s_waitcnt lgkmcnt(0)
	s_mul_i32 s1, s15, s39
	s_mul_hi_u32 s2, s15, s38
	s_mul_i32 s0, s15, s38
	s_add_i32 s1, s2, s1
	s_mul_i32 s3, s15, s19
	s_lshl_b64 s[0:1], s[0:1], 2
	s_mul_hi_u32 s4, s15, s18
	s_add_u32 s5, s28, s0
	s_addc_u32 s6, s29, s1
	s_lshl_b64 s[0:1], s[30:31], 2
	s_mul_i32 s2, s15, s18
	s_add_u32 s5, s5, s0
	s_addc_u32 s6, s6, s1
	s_add_i32 s3, s4, s3
	s_mul_i32 s4, s27, s15
	s_lshl_b64 s[0:1], s[2:3], 2
	v_add_nc_u32_e32 v40, v39, v37
	s_add_u32 s2, s40, s0
	s_addc_u32 s3, s41, s1
	s_lshl_b64 s[0:1], s[42:43], 2
	v_ashrrev_i32_e32 v1, 31, v0
	s_add_u32 s38, s2, s0
	s_addc_u32 s39, s3, s1
	s_cmpk_eq_i32 s8, 0x84
	v_cmp_gt_i32_e64 s1, s9, v6
	s_cselect_b32 s40, -1, 0
	s_ashr_i32 s0, s9, 31
	s_ashr_i32 s11, s10, 31
	v_sub_co_ci_u32_e32 v9, vcc_lo, s0, v7, vcc_lo
	v_add_co_u32 v4, vcc_lo, s5, v2
	s_lshl_b64 s[12:13], s[24:25], 7
	s_lshl_b64 s[18:19], s[36:37], 7
	s_mul_hi_u32 s5, s26, s15
	s_add_u32 s28, s10, -16
	s_addc_u32 s29, s11, -1
	s_add_i32 s5, s5, s4
	s_mul_i32 s4, s26, s15
	v_add_co_ci_u32_e32 v5, vcc_lo, s6, v3, vcc_lo
	s_lshl_b32 s3, s14, 5
	s_lshl_b64 s[4:5], s[4:5], 2
	s_lshl_b64 s[6:7], s[22:23], 2
	v_cmp_gt_i64_e32 vcc_lo, 1, v[8:9]
	v_cmp_gt_i64_e64 s0, 17, v[8:9]
	s_lshl_b32 s41, s35, 5
	s_lshl_b64 s[22:23], s[36:37], 2
	v_cmp_gt_i32_e64 s2, s9, v0
	v_add_nc_u32_e32 v6, s3, v10
	v_add_nc_u32_e32 v8, s3, v36
	s_add_u32 s3, s4, s6
	s_addc_u32 s4, s5, s7
	s_add_u32 s20, s20, s3
	s_addc_u32 s21, s21, s4
	s_lshl_b64 s[26:27], s[24:25], 2
	s_branch .LBB18_4
.LBB18_3:                               ;   in Loop: Header=BB18_4 Depth=1
	s_or_b32 exec_lo, exec_lo, s4
	v_add_nc_u32_e32 v6, s41, v6
	v_add_nc_u32_e32 v8, s41, v8
	s_add_i32 s14, s35, s14
	s_delay_alu instid0(SALU_CYCLE_1)
	s_cmp_le_i32 s14, s34
	s_cbranch_scc0 .LBB18_63
.LBB18_4:                               ; =>This Loop Header: Depth=1
                                        ;     Child Loop BB18_7 Depth 2
	s_lshl_b32 s3, s14, 5
	v_ashrrev_i32_e32 v7, 31, v6
	v_dual_mov_b32 v45, 0 :: v_dual_add_nc_u32 v10, s3, v36
	v_ashrrev_i32_e32 v9, 31, v8
	v_dual_mov_b32 v46, 0 :: v_dual_mov_b32 v43, 0
	s_delay_alu instid0(VALU_DEP_3) | instskip(SKIP_2) | instid1(SALU_CYCLE_1)
	v_ashrrev_i32_e32 v11, 31, v10
	v_mov_b32_e32 v44, 0
	s_sub_i32 s15, s10, s3
	s_cmp_lt_i32 s15, 1
	s_cbranch_scc1 .LBB18_55
; %bb.5:                                ;   in Loop: Header=BB18_4 Depth=1
	v_lshlrev_b64 v[14:15], 2, v[6:7]
	v_sub_co_u32 v12, s3, v8, v6
	v_lshlrev_b64 v[16:17], 2, v[8:9]
	v_sub_co_ci_u32_e64 v13, s3, v9, v7, s3
	s_delay_alu instid0(VALU_DEP_4) | instskip(NEXT) | instid1(VALU_DEP_1)
	v_add_co_u32 v20, s3, v14, 64
	v_add_co_ci_u32_e64 v18, s3, 0, v15, s3
	v_mad_u64_u32 v[14:15], null, s22, v8, 64
	v_mul_lo_u32 v24, s22, v9
	v_mul_lo_u32 v25, s23, v8
	v_add_co_u32 v28, s3, v16, 64
	s_delay_alu instid0(VALU_DEP_1)
	v_add_co_ci_u32_e64 v22, s3, 0, v17, s3
	v_mul_lo_u32 v26, s24, v18
	v_mul_lo_u32 v27, s25, v20
	v_mad_u64_u32 v[18:19], null, s24, v20, s[20:21]
	v_mad_u64_u32 v[20:21], null, s26, v6, s[20:21]
	v_mul_lo_u32 v29, s26, v7
	v_mul_lo_u32 v30, s27, v6
	v_mul_lo_u32 v31, s36, v22
	v_mul_lo_u32 v32, s37, v28
	v_mad_u64_u32 v[22:23], null, s36, v28, 64
	v_add3_u32 v15, v25, v15, v24
	v_add_co_u32 v24, s3, v10, 16
	s_delay_alu instid0(VALU_DEP_1) | instskip(SKIP_2) | instid1(VALU_DEP_1)
	v_add_co_ci_u32_e64 v25, s3, 0, v11, s3
	v_add3_u32 v19, v27, v19, v26
	v_add_co_u32 v26, s5, v12, 16
	v_add_co_ci_u32_e64 v27, s5, 0, v13, s5
	v_add_co_u32 v28, s5, v12, -16
	v_add3_u32 v21, v30, v21, v29
	v_add3_u32 v23, v32, v23, v31
	v_cmp_le_i64_e64 s4, s[10:11], v[24:25]
	v_dual_mov_b32 v31, v5 :: v_dual_mov_b32 v44, 0
	v_cmp_le_i32_e64 s3, s10, v10
	v_add_co_ci_u32_e64 v29, s5, -1, v13, s5
	v_dual_mov_b32 v43, 0 :: v_dual_mov_b32 v30, v4
	v_dual_mov_b32 v45, 0 :: v_dual_mov_b32 v46, 0
	s_mov_b64 s[30:31], 0
	s_branch .LBB18_7
.LBB18_6:                               ;   in Loop: Header=BB18_7 Depth=2
	s_or_b32 exec_lo, exec_lo, s5
	s_waitcnt lgkmcnt(0)
	s_waitcnt_vscnt null, 0x0
	s_barrier
	buffer_gl0_inv
	ds_load_2addr_b32 v[74:75], v39 offset1:16
	ds_load_b128 v[32:35], v37
	ds_load_b128 v[47:50], v37 offset:2048
	ds_load_2addr_b32 v[76:77], v39 offset0:32 offset1:48
	ds_load_b128 v[51:54], v37 offset:16
	ds_load_2addr_b32 v[82:83], v39 offset0:64 offset1:80
	ds_load_b128 v[55:58], v37 offset:32
	ds_load_b128 v[59:62], v37 offset:48
	ds_load_2addr_b32 v[84:85], v39 offset0:96 offset1:112
	ds_load_2addr_b32 v[86:87], v39 offset0:128 offset1:144
	ds_load_b128 v[63:66], v37 offset:2064
	ds_load_2addr_b32 v[88:89], v39 offset0:160 offset1:176
	ds_load_2addr_b32 v[90:91], v39 offset0:192 offset1:208
	;; [unrolled: 1-line block ×3, first 2 shown]
	v_add_nc_u32_e32 v94, 0x400, v39
	v_add_co_u32 v30, s5, v30, s18
	s_delay_alu instid0(VALU_DEP_1)
	v_add_co_ci_u32_e64 v31, s5, s19, v31, s5
	v_add_co_u32 v18, s5, v18, s12
	s_waitcnt lgkmcnt(12)
	v_fmac_f32_e32 v45, v75, v32
	s_waitcnt lgkmcnt(11)
	v_dual_fmac_f32 v46, v74, v32 :: v_dual_fmac_f32 v43, v75, v47
	v_fmac_f32_e32 v44, v74, v47
	v_add_nc_u32_e32 v95, 0x800, v39
	s_waitcnt lgkmcnt(10)
	v_fmac_f32_e32 v45, v77, v33
	v_dual_fmac_f32 v46, v76, v33 :: v_dual_fmac_f32 v43, v77, v48
	v_fmac_f32_e32 v44, v76, v48
	ds_load_b128 v[67:70], v37 offset:2080
	ds_load_b128 v[71:74], v37 offset:2096
	s_waitcnt lgkmcnt(10)
	v_fmac_f32_e32 v45, v83, v34
	v_dual_fmac_f32 v46, v82, v34 :: v_dual_fmac_f32 v43, v83, v49
	v_fmac_f32_e32 v44, v82, v49
	ds_load_b128 v[75:78], v37 offset:64
	ds_load_b128 v[79:82], v37 offset:80
	s_waitcnt lgkmcnt(9)
	v_fmac_f32_e32 v45, v85, v35
	v_fmac_f32_e32 v46, v84, v35
	ds_load_2addr_b32 v[32:33], v94 offset1:16
	v_fmac_f32_e32 v44, v84, v50
	v_fmac_f32_e32 v43, v85, v50
	s_waitcnt lgkmcnt(9)
	v_fmac_f32_e32 v45, v87, v51
	v_fmac_f32_e32 v46, v86, v51
	ds_load_2addr_b32 v[34:35], v94 offset0:32 offset1:48
	s_waitcnt lgkmcnt(9)
	v_fmac_f32_e32 v44, v86, v63
	v_fmac_f32_e32 v43, v87, v63
	s_waitcnt lgkmcnt(8)
	v_fmac_f32_e32 v45, v89, v52
	v_fmac_f32_e32 v46, v88, v52
	ds_load_2addr_b32 v[47:48], v94 offset0:64 offset1:80
	v_fmac_f32_e32 v44, v88, v64
	v_fmac_f32_e32 v43, v89, v64
	s_waitcnt lgkmcnt(8)
	v_fmac_f32_e32 v45, v91, v53
	v_fmac_f32_e32 v46, v90, v53
	ds_load_2addr_b32 v[49:50], v94 offset0:96 offset1:112
	;; [unrolled: 6-line block ×5, first 2 shown]
	v_fmac_f32_e32 v44, v34, v68
	ds_load_2addr_b32 v[63:64], v94 offset0:224 offset1:240
	s_waitcnt lgkmcnt(5)
	v_fmac_f32_e32 v45, v48, v57
	v_fmac_f32_e32 v46, v47, v57
	v_add_co_ci_u32_e64 v19, s5, s13, v19, s5
	v_add_co_u32 v20, s5, v20, s12
	s_waitcnt lgkmcnt(4)
	v_fmac_f32_e32 v45, v50, v58
	v_dual_fmac_f32 v43, v35, v68 :: v_dual_fmac_f32 v46, v49, v58
	ds_load_2addr_b32 v[57:58], v95 offset1:16
	ds_load_b128 v[32:35], v37 offset:2112
	s_waitcnt lgkmcnt(5)
	v_fmac_f32_e32 v45, v52, v59
	v_fmac_f32_e32 v43, v48, v69
	;; [unrolled: 1-line block ×4, first 2 shown]
	v_add_co_ci_u32_e64 v21, s5, s13, v21, s5
	s_waitcnt lgkmcnt(4)
	v_fmac_f32_e32 v45, v54, v60
	v_fmac_f32_e32 v43, v50, v70
	;; [unrolled: 1-line block ×4, first 2 shown]
	ds_load_b128 v[47:50], v37 offset:2128
	s_waitcnt lgkmcnt(4)
	v_fmac_f32_e32 v45, v56, v61
	v_fmac_f32_e32 v43, v52, v71
	;; [unrolled: 1-line block ×3, first 2 shown]
	ds_load_2addr_b32 v[51:52], v95 offset0:32 offset1:48
	s_waitcnt lgkmcnt(4)
	v_dual_fmac_f32 v46, v55, v61 :: v_dual_fmac_f32 v45, v64, v62
	v_fmac_f32_e32 v43, v54, v72
	v_fmac_f32_e32 v44, v53, v72
	ds_load_2addr_b32 v[53:54], v95 offset0:64 offset1:80
	v_fmac_f32_e32 v46, v63, v62
	ds_load_2addr_b32 v[59:60], v95 offset0:128 offset1:144
	v_fmac_f32_e32 v43, v56, v73
	v_fmac_f32_e32 v44, v55, v73
	ds_load_2addr_b32 v[55:56], v95 offset0:96 offset1:112
	ds_load_2addr_b32 v[61:62], v95 offset0:192 offset1:208
	s_add_u32 s30, s30, 32
	v_fmac_f32_e32 v43, v64, v74
	s_waitcnt lgkmcnt(7)
	v_dual_fmac_f32 v44, v63, v74 :: v_dual_fmac_f32 v45, v58, v75
	v_fmac_f32_e32 v46, v57, v75
	ds_load_2addr_b32 v[63:64], v95 offset0:224 offset1:240
	s_waitcnt lgkmcnt(7)
	v_fmac_f32_e32 v43, v58, v32
	v_fmac_f32_e32 v44, v57, v32
	s_waitcnt lgkmcnt(5)
	v_fmac_f32_e32 v45, v52, v76
	ds_load_2addr_b32 v[57:58], v95 offset0:160 offset1:176
	v_dual_fmac_f32 v46, v51, v76 :: v_dual_fmac_f32 v43, v52, v33
	v_fmac_f32_e32 v44, v51, v33
	s_waitcnt lgkmcnt(5)
	v_fmac_f32_e32 v45, v54, v77
	s_delay_alu instid0(VALU_DEP_3)
	v_dual_fmac_f32 v46, v53, v77 :: v_dual_add_nc_u32 v69, 0xc00, v39
	v_fmac_f32_e32 v43, v54, v34
	v_fmac_f32_e32 v44, v53, v34
	s_waitcnt lgkmcnt(3)
	v_fmac_f32_e32 v45, v56, v78
	s_addc_u32 s31, s31, 0
	v_fmac_f32_e32 v46, v55, v78
	s_cmp_ge_i32 s30, s15
	v_fmac_f32_e32 v44, v55, v35
	s_delay_alu instid0(VALU_DEP_1) | instskip(SKIP_1) | instid1(VALU_DEP_1)
	v_fmac_f32_e32 v44, v59, v47
	s_waitcnt lgkmcnt(0)
	v_dual_fmac_f32 v45, v60, v79 :: v_dual_fmac_f32 v44, v57, v48
	s_delay_alu instid0(VALU_DEP_1)
	v_dual_fmac_f32 v46, v59, v79 :: v_dual_fmac_f32 v45, v58, v80
	v_fmac_f32_e32 v43, v56, v35
	ds_load_2addr_b32 v[65:66], v69 offset1:16
	ds_load_b128 v[32:35], v37 offset:96
	ds_load_b128 v[51:54], v37 offset:2144
	v_fmac_f32_e32 v46, v57, v80
	ds_load_2addr_b32 v[67:68], v69 offset0:64 offset1:80
	v_fmac_f32_e32 v43, v60, v47
	ds_load_2addr_b32 v[59:60], v69 offset0:32 offset1:48
	v_fmac_f32_e32 v46, v61, v81
	v_fmac_f32_e32 v45, v62, v81
	s_delay_alu instid0(VALU_DEP_2) | instskip(NEXT) | instid1(VALU_DEP_2)
	v_dual_fmac_f32 v43, v58, v48 :: v_dual_fmac_f32 v46, v63, v82
	v_dual_fmac_f32 v44, v61, v49 :: v_dual_fmac_f32 v45, v64, v82
	s_delay_alu instid0(VALU_DEP_2)
	v_fmac_f32_e32 v43, v62, v49
	ds_load_2addr_b32 v[61:62], v69 offset0:96 offset1:112
	v_fmac_f32_e32 v44, v63, v50
	s_waitcnt lgkmcnt(4)
	v_dual_fmac_f32 v43, v64, v50 :: v_dual_fmac_f32 v46, v65, v32
	ds_load_b128 v[47:50], v37 offset:112
	s_waitcnt lgkmcnt(4)
	v_dual_fmac_f32 v45, v66, v32 :: v_dual_fmac_f32 v44, v65, v51
	ds_load_2addr_b32 v[63:64], v69 offset0:128 offset1:144
	ds_load_b128 v[55:58], v37 offset:2160
	s_waitcnt lgkmcnt(4)
	v_dual_fmac_f32 v43, v66, v51 :: v_dual_fmac_f32 v46, v59, v33
	ds_load_2addr_b32 v[65:66], v69 offset0:160 offset1:176
	v_dual_fmac_f32 v45, v60, v33 :: v_dual_fmac_f32 v44, v59, v52
	v_dual_fmac_f32 v43, v60, v52 :: v_dual_fmac_f32 v46, v67, v34
	ds_load_2addr_b32 v[32:33], v69 offset0:192 offset1:208
	v_dual_fmac_f32 v45, v68, v34 :: v_dual_fmac_f32 v44, v67, v53
	s_waitcnt lgkmcnt(5)
	v_dual_fmac_f32 v43, v68, v53 :: v_dual_fmac_f32 v46, v61, v35
	ds_load_2addr_b32 v[51:52], v69 offset0:224 offset1:240
	v_dual_fmac_f32 v45, v62, v35 :: v_dual_fmac_f32 v44, v61, v54
	v_fmac_f32_e32 v43, v62, v54
	s_waitcnt lgkmcnt(0)
	s_barrier
	v_fmac_f32_e32 v46, v63, v47
	v_fmac_f32_e32 v45, v64, v47
	buffer_gl0_inv
	v_fmac_f32_e32 v46, v65, v48
	v_dual_fmac_f32 v44, v63, v55 :: v_dual_fmac_f32 v45, v66, v48
	v_fmac_f32_e32 v43, v64, v55
	s_delay_alu instid0(VALU_DEP_3) | instskip(NEXT) | instid1(VALU_DEP_3)
	v_fmac_f32_e32 v46, v32, v49
	v_fmac_f32_e32 v44, v65, v56
	s_delay_alu instid0(VALU_DEP_4) | instskip(NEXT) | instid1(VALU_DEP_3)
	v_fmac_f32_e32 v45, v33, v49
	v_dual_fmac_f32 v43, v66, v56 :: v_dual_fmac_f32 v46, v51, v50
	s_delay_alu instid0(VALU_DEP_3) | instskip(NEXT) | instid1(VALU_DEP_3)
	v_fmac_f32_e32 v44, v32, v57
	v_fmac_f32_e32 v45, v52, v50
	s_delay_alu instid0(VALU_DEP_2) | instskip(NEXT) | instid1(VALU_DEP_1)
	v_dual_fmac_f32 v43, v33, v57 :: v_dual_fmac_f32 v44, v51, v58
	v_fmac_f32_e32 v43, v52, v58
	s_cbranch_scc1 .LBB18_55
.LBB18_7:                               ;   Parent Loop BB18_4 Depth=1
                                        ; =>  This Inner Loop Header: Depth=2
	v_add_co_u32 v32, s5, v6, s30
	s_delay_alu instid0(VALU_DEP_1) | instskip(SKIP_1) | instid1(VALU_DEP_2)
	v_add_co_ci_u32_e64 v33, s5, s31, v7, s5
	v_cmp_eq_u64_e64 s7, s[30:31], v[12:13]
	v_cmp_lt_i64_e64 s5, v[32:33], v[10:11]
	v_cmp_le_i64_e64 s6, s[10:11], v[32:33]
	s_delay_alu instid0(VALU_DEP_3) | instskip(SKIP_1) | instid1(VALU_DEP_3)
	s_and_b32 s43, s40, s7
	v_add_co_u32 v34, s7, v20, v16
	s_or_b32 s8, s3, s5
	v_add_co_ci_u32_e64 v35, s7, v21, v17, s7
	s_delay_alu instid0(VALU_DEP_3) | instskip(NEXT) | instid1(SALU_CYCLE_1)
	s_or_b32 s8, s6, s8
	s_or_b32 s7, s8, s43
	s_delay_alu instid0(SALU_CYCLE_1) | instskip(NEXT) | instid1(SALU_CYCLE_1)
	s_xor_b32 s7, s7, -1
	s_and_saveexec_b32 s8, s7
	s_delay_alu instid0(SALU_CYCLE_1)
	s_xor_b32 s7, exec_lo, s8
	s_cbranch_execz .LBB18_9
; %bb.8:                                ;   in Loop: Header=BB18_7 Depth=2
	global_load_b32 v47, v[34:35], off
	s_waitcnt vmcnt(0)
	ds_store_b32 v38, v47
.LBB18_9:                               ;   in Loop: Header=BB18_7 Depth=2
	s_or_saveexec_b32 s7, s7
	s_xor_b32 s42, s43, -1
	s_xor_b32 exec_lo, exec_lo, s7
	s_cbranch_execz .LBB18_15
; %bb.10:                               ;   in Loop: Header=BB18_7 Depth=2
	s_and_saveexec_b32 s8, s42
	s_delay_alu instid0(SALU_CYCLE_1)
	s_xor_b32 s8, exec_lo, s8
	s_cbranch_execz .LBB18_12
; %bb.11:                               ;   in Loop: Header=BB18_7 Depth=2
	ds_store_b32 v38, v41
.LBB18_12:                              ;   in Loop: Header=BB18_7 Depth=2
	s_and_not1_saveexec_b32 s8, s8
	s_cbranch_execz .LBB18_14
; %bb.13:                               ;   in Loop: Header=BB18_7 Depth=2
	ds_store_b32 v38, v42
.LBB18_14:                              ;   in Loop: Header=BB18_7 Depth=2
	s_or_b32 exec_lo, exec_lo, s8
.LBB18_15:                              ;   in Loop: Header=BB18_7 Depth=2
	s_delay_alu instid0(SALU_CYCLE_1) | instskip(SKIP_1) | instid1(VALU_DEP_1)
	s_or_b32 exec_lo, exec_lo, s7
	v_add_co_u32 v47, s7, v32, 16
	v_add_co_ci_u32_e64 v48, s7, 0, v33, s7
	v_cmp_eq_u64_e64 s9, s[30:31], v[28:29]
	s_delay_alu instid0(VALU_DEP_2) | instskip(SKIP_1) | instid1(VALU_DEP_3)
	v_cmp_lt_i64_e64 s8, v[47:48], v[10:11]
	v_cmp_le_i64_e64 s7, s[10:11], v[47:48]
	s_and_b32 s9, s40, s9
	s_delay_alu instid0(VALU_DEP_2)
	s_or_b32 s8, s3, s8
	s_delay_alu instid0(VALU_DEP_1) | instid1(SALU_CYCLE_1)
	s_or_b32 s8, s7, s8
	s_delay_alu instid0(SALU_CYCLE_1) | instskip(NEXT) | instid1(SALU_CYCLE_1)
	s_or_b32 s8, s8, s9
	s_xor_b32 s8, s8, -1
	s_delay_alu instid0(SALU_CYCLE_1) | instskip(NEXT) | instid1(SALU_CYCLE_1)
	s_and_saveexec_b32 s44, s8
	s_xor_b32 s44, exec_lo, s44
	s_cbranch_execz .LBB18_17
; %bb.16:                               ;   in Loop: Header=BB18_7 Depth=2
	v_add_co_u32 v47, s8, v18, v16
	s_delay_alu instid0(VALU_DEP_1)
	v_add_co_ci_u32_e64 v48, s8, v19, v17, s8
	global_load_b32 v47, v[47:48], off
	s_waitcnt vmcnt(0)
	ds_store_b32 v38, v47 offset:64
.LBB18_17:                              ;   in Loop: Header=BB18_7 Depth=2
	s_and_not1_saveexec_b32 s8, s44
	s_cbranch_execz .LBB18_23
; %bb.18:                               ;   in Loop: Header=BB18_7 Depth=2
	s_xor_b32 s9, s9, -1
	s_delay_alu instid0(SALU_CYCLE_1) | instskip(NEXT) | instid1(SALU_CYCLE_1)
	s_and_saveexec_b32 s44, s9
	s_xor_b32 s9, exec_lo, s44
	s_cbranch_execz .LBB18_20
; %bb.19:                               ;   in Loop: Header=BB18_7 Depth=2
	ds_store_b32 v38, v41 offset:64
.LBB18_20:                              ;   in Loop: Header=BB18_7 Depth=2
	s_and_not1_saveexec_b32 s9, s9
	s_cbranch_execz .LBB18_22
; %bb.21:                               ;   in Loop: Header=BB18_7 Depth=2
	ds_store_b32 v38, v42 offset:64
.LBB18_22:                              ;   in Loop: Header=BB18_7 Depth=2
	s_or_b32 exec_lo, exec_lo, s9
.LBB18_23:                              ;   in Loop: Header=BB18_7 Depth=2
	s_delay_alu instid0(SALU_CYCLE_1) | instskip(SKIP_2) | instid1(VALU_DEP_2)
	s_or_b32 exec_lo, exec_lo, s8
	v_cmp_eq_u64_e64 s8, s[30:31], v[26:27]
	v_cmp_lt_i64_e64 s9, v[32:33], v[24:25]
	s_and_b32 s8, s40, s8
	s_delay_alu instid0(VALU_DEP_1) | instskip(NEXT) | instid1(SALU_CYCLE_1)
	s_or_b32 s9, s4, s9
	s_or_b32 s9, s9, s8
	s_delay_alu instid0(SALU_CYCLE_1) | instskip(NEXT) | instid1(SALU_CYCLE_1)
	s_or_b32 s6, s6, s9
	s_xor_b32 s6, s6, -1
	s_delay_alu instid0(SALU_CYCLE_1) | instskip(NEXT) | instid1(SALU_CYCLE_1)
	s_and_saveexec_b32 s9, s6
	s_xor_b32 s6, exec_lo, s9
	s_cbranch_execz .LBB18_25
; %bb.24:                               ;   in Loop: Header=BB18_7 Depth=2
	global_load_b32 v32, v[34:35], off offset:64
	s_waitcnt vmcnt(0)
	ds_store_b32 v38, v32 offset:2048
.LBB18_25:                              ;   in Loop: Header=BB18_7 Depth=2
	s_and_not1_saveexec_b32 s6, s6
	s_cbranch_execz .LBB18_31
; %bb.26:                               ;   in Loop: Header=BB18_7 Depth=2
	s_xor_b32 s8, s8, -1
	s_delay_alu instid0(SALU_CYCLE_1) | instskip(NEXT) | instid1(SALU_CYCLE_1)
	s_and_saveexec_b32 s9, s8
	s_xor_b32 s8, exec_lo, s9
	s_cbranch_execz .LBB18_28
; %bb.27:                               ;   in Loop: Header=BB18_7 Depth=2
	ds_store_b32 v38, v41 offset:2048
.LBB18_28:                              ;   in Loop: Header=BB18_7 Depth=2
	s_and_not1_saveexec_b32 s8, s8
	s_cbranch_execz .LBB18_30
; %bb.29:                               ;   in Loop: Header=BB18_7 Depth=2
	ds_store_b32 v38, v42 offset:2048
.LBB18_30:                              ;   in Loop: Header=BB18_7 Depth=2
	s_or_b32 exec_lo, exec_lo, s8
.LBB18_31:                              ;   in Loop: Header=BB18_7 Depth=2
	s_delay_alu instid0(SALU_CYCLE_1) | instskip(SKIP_1) | instid1(SALU_CYCLE_1)
	s_or_b32 exec_lo, exec_lo, s6
	s_or_b32 s5, s4, s5
	s_or_b32 s5, s7, s5
	s_delay_alu instid0(SALU_CYCLE_1) | instskip(NEXT) | instid1(SALU_CYCLE_1)
	s_or_b32 s5, s5, s43
	s_xor_b32 s5, s5, -1
	s_delay_alu instid0(SALU_CYCLE_1) | instskip(NEXT) | instid1(SALU_CYCLE_1)
	s_and_saveexec_b32 s6, s5
	s_xor_b32 s6, exec_lo, s6
	s_cbranch_execz .LBB18_33
; %bb.32:                               ;   in Loop: Header=BB18_7 Depth=2
	v_add_co_u32 v32, s5, v18, v16
	s_delay_alu instid0(VALU_DEP_1)
	v_add_co_ci_u32_e64 v33, s5, v19, v17, s5
	global_load_b32 v32, v[32:33], off offset:64
	s_waitcnt vmcnt(0)
	ds_store_b32 v38, v32 offset:2112
.LBB18_33:                              ;   in Loop: Header=BB18_7 Depth=2
	s_and_not1_saveexec_b32 s5, s6
	s_cbranch_execz .LBB18_39
; %bb.34:                               ;   in Loop: Header=BB18_7 Depth=2
	s_and_saveexec_b32 s6, s42
	s_delay_alu instid0(SALU_CYCLE_1)
	s_xor_b32 s6, exec_lo, s6
	s_cbranch_execz .LBB18_36
; %bb.35:                               ;   in Loop: Header=BB18_7 Depth=2
	ds_store_b32 v38, v41 offset:2112
.LBB18_36:                              ;   in Loop: Header=BB18_7 Depth=2
	s_and_not1_saveexec_b32 s6, s6
	s_cbranch_execz .LBB18_38
; %bb.37:                               ;   in Loop: Header=BB18_7 Depth=2
	ds_store_b32 v38, v42 offset:2112
.LBB18_38:                              ;   in Loop: Header=BB18_7 Depth=2
	s_or_b32 exec_lo, exec_lo, s6
.LBB18_39:                              ;   in Loop: Header=BB18_7 Depth=2
	s_delay_alu instid0(SALU_CYCLE_1) | instskip(SKIP_1) | instid1(VALU_DEP_1)
	s_or_b32 exec_lo, exec_lo, s5
	v_add_co_u32 v32, s5, v8, s30
	v_add_co_ci_u32_e64 v33, s5, s31, v9, s5
	v_add_co_u32 v34, s6, v30, v14
	s_delay_alu instid0(VALU_DEP_1) | instskip(NEXT) | instid1(VALU_DEP_3)
	v_add_co_ci_u32_e64 v35, s6, v31, v15, s6
	v_cmp_le_i64_e64 s5, s[10:11], v[32:33]
	s_delay_alu instid0(VALU_DEP_1) | instskip(NEXT) | instid1(SALU_CYCLE_1)
	s_or_b32 s6, s5, vcc_lo
	s_xor_b32 s6, s6, -1
	s_delay_alu instid0(SALU_CYCLE_1) | instskip(NEXT) | instid1(SALU_CYCLE_1)
	s_and_saveexec_b32 s7, s6
	s_xor_b32 s6, exec_lo, s7
	s_cbranch_execz .LBB18_41
; %bb.40:                               ;   in Loop: Header=BB18_7 Depth=2
	global_load_b32 v47, v[34:35], off offset:-64
	s_waitcnt vmcnt(0)
	ds_store_b32 v40, v47
.LBB18_41:                              ;   in Loop: Header=BB18_7 Depth=2
	s_and_not1_saveexec_b32 s6, s6
	s_cbranch_execz .LBB18_43
; %bb.42:                               ;   in Loop: Header=BB18_7 Depth=2
	ds_store_b32 v40, v41
.LBB18_43:                              ;   in Loop: Header=BB18_7 Depth=2
	s_or_b32 exec_lo, exec_lo, s6
	s_or_b32 s5, s5, s0
	s_delay_alu instid0(SALU_CYCLE_1) | instskip(NEXT) | instid1(SALU_CYCLE_1)
	s_xor_b32 s5, s5, -1
	s_and_saveexec_b32 s6, s5
	s_delay_alu instid0(SALU_CYCLE_1)
	s_xor_b32 s5, exec_lo, s6
	s_cbranch_execz .LBB18_45
; %bb.44:                               ;   in Loop: Header=BB18_7 Depth=2
	global_load_b32 v34, v[34:35], off
	s_waitcnt vmcnt(0)
	ds_store_b32 v40, v34 offset:64
.LBB18_45:                              ;   in Loop: Header=BB18_7 Depth=2
	s_and_not1_saveexec_b32 s5, s5
	s_cbranch_execz .LBB18_47
; %bb.46:                               ;   in Loop: Header=BB18_7 Depth=2
	ds_store_b32 v40, v41 offset:64
.LBB18_47:                              ;   in Loop: Header=BB18_7 Depth=2
	s_or_b32 exec_lo, exec_lo, s5
	v_cmp_le_i64_e64 s5, s[28:29], v[32:33]
	s_delay_alu instid0(VALU_DEP_1) | instskip(NEXT) | instid1(SALU_CYCLE_1)
	s_or_b32 s6, s5, vcc_lo
	s_xor_b32 s6, s6, -1
	s_delay_alu instid0(SALU_CYCLE_1) | instskip(NEXT) | instid1(SALU_CYCLE_1)
	s_and_saveexec_b32 s7, s6
	s_xor_b32 s7, exec_lo, s7
	s_cbranch_execz .LBB18_49
; %bb.48:                               ;   in Loop: Header=BB18_7 Depth=2
	v_add_co_u32 v32, s6, v30, v22
	s_delay_alu instid0(VALU_DEP_1)
	v_add_co_ci_u32_e64 v33, s6, v31, v23, s6
	global_load_b32 v32, v[32:33], off offset:-64
	s_waitcnt vmcnt(0)
	ds_store_b32 v40, v32 offset:2048
.LBB18_49:                              ;   in Loop: Header=BB18_7 Depth=2
	s_and_not1_saveexec_b32 s6, s7
	s_cbranch_execz .LBB18_51
; %bb.50:                               ;   in Loop: Header=BB18_7 Depth=2
	ds_store_b32 v40, v41 offset:2048
.LBB18_51:                              ;   in Loop: Header=BB18_7 Depth=2
	s_or_b32 exec_lo, exec_lo, s6
	s_or_b32 s5, s5, s0
	s_delay_alu instid0(SALU_CYCLE_1) | instskip(NEXT) | instid1(SALU_CYCLE_1)
	s_xor_b32 s5, s5, -1
	s_and_saveexec_b32 s6, s5
	s_delay_alu instid0(SALU_CYCLE_1)
	s_xor_b32 s6, exec_lo, s6
	s_cbranch_execz .LBB18_53
; %bb.52:                               ;   in Loop: Header=BB18_7 Depth=2
	v_add_co_u32 v32, s5, v30, v22
	s_delay_alu instid0(VALU_DEP_1)
	v_add_co_ci_u32_e64 v33, s5, v31, v23, s5
	global_load_b32 v32, v[32:33], off
	s_waitcnt vmcnt(0)
	ds_store_b32 v40, v32 offset:2112
.LBB18_53:                              ;   in Loop: Header=BB18_7 Depth=2
	s_and_not1_saveexec_b32 s5, s6
	s_cbranch_execz .LBB18_6
; %bb.54:                               ;   in Loop: Header=BB18_7 Depth=2
	ds_store_b32 v40, v41 offset:2112
	s_branch .LBB18_6
.LBB18_55:                              ;   in Loop: Header=BB18_4 Depth=1
	v_mul_lo_u32 v7, v11, s16
	v_mul_lo_u32 v9, v10, s17
	v_mad_u64_u32 v[11:12], null, v10, s16, 0
	v_cmp_gt_i32_e64 s3, s10, v10
	s_delay_alu instid0(VALU_DEP_2) | instskip(NEXT) | instid1(VALU_DEP_1)
	v_add3_u32 v12, v12, v9, v7
	v_lshlrev_b64 v[11:12], 2, v[11:12]
	s_delay_alu instid0(VALU_DEP_1) | instskip(NEXT) | instid1(VALU_DEP_1)
	v_add_co_u32 v7, s4, s38, v11
	v_add_co_ci_u32_e64 v9, s4, s39, v12, s4
	s_and_b32 s4, s1, s3
	s_delay_alu instid0(SALU_CYCLE_1)
	s_and_saveexec_b32 s5, s4
	s_cbranch_execz .LBB18_57
; %bb.56:                               ;   in Loop: Header=BB18_4 Depth=1
	v_add_co_u32 v11, s4, v7, v2
	s_delay_alu instid0(VALU_DEP_1)
	v_add_co_ci_u32_e64 v12, s4, v9, v3, s4
	global_load_b32 v13, v[11:12], off
	s_waitcnt vmcnt(0)
	v_fmac_f32_e32 v13, s33, v46
	global_store_b32 v[11:12], v13, off
.LBB18_57:                              ;   in Loop: Header=BB18_4 Depth=1
	s_or_b32 exec_lo, exec_lo, s5
	s_and_b32 s3, s2, s3
	s_delay_alu instid0(SALU_CYCLE_1)
	s_and_saveexec_b32 s4, s3
	s_cbranch_execz .LBB18_59
; %bb.58:                               ;   in Loop: Header=BB18_4 Depth=1
	v_lshlrev_b64 v[11:12], 2, v[0:1]
	s_delay_alu instid0(VALU_DEP_1) | instskip(NEXT) | instid1(VALU_DEP_1)
	v_add_co_u32 v11, s3, v7, v11
	v_add_co_ci_u32_e64 v12, s3, v9, v12, s3
	global_load_b32 v7, v[11:12], off
	s_waitcnt vmcnt(0)
	v_fmac_f32_e32 v7, s33, v45
	global_store_b32 v[11:12], v7, off
.LBB18_59:                              ;   in Loop: Header=BB18_4 Depth=1
	s_or_b32 exec_lo, exec_lo, s4
	v_add_nc_u32_e32 v7, 16, v10
	s_delay_alu instid0(VALU_DEP_1) | instskip(SKIP_3) | instid1(VALU_DEP_4)
	v_ashrrev_i32_e32 v11, 31, v7
	v_mul_lo_u32 v12, v7, s17
	v_mad_u64_u32 v[9:10], null, v7, s16, 0
	v_cmp_gt_i32_e64 s3, s10, v7
	v_mul_lo_u32 v11, v11, s16
	s_delay_alu instid0(VALU_DEP_1) | instskip(NEXT) | instid1(VALU_DEP_1)
	v_add3_u32 v10, v10, v12, v11
	v_lshlrev_b64 v[9:10], 2, v[9:10]
	s_delay_alu instid0(VALU_DEP_1) | instskip(NEXT) | instid1(VALU_DEP_1)
	v_add_co_u32 v7, s4, s38, v9
	v_add_co_ci_u32_e64 v9, s4, s39, v10, s4
	s_and_b32 s4, s1, s3
	s_delay_alu instid0(SALU_CYCLE_1)
	s_and_saveexec_b32 s5, s4
	s_cbranch_execz .LBB18_61
; %bb.60:                               ;   in Loop: Header=BB18_4 Depth=1
	v_add_co_u32 v10, s4, v7, v2
	s_delay_alu instid0(VALU_DEP_1)
	v_add_co_ci_u32_e64 v11, s4, v9, v3, s4
	global_load_b32 v12, v[10:11], off
	s_waitcnt vmcnt(0)
	v_fmac_f32_e32 v12, s33, v44
	global_store_b32 v[10:11], v12, off
.LBB18_61:                              ;   in Loop: Header=BB18_4 Depth=1
	s_or_b32 exec_lo, exec_lo, s5
	s_and_b32 s3, s2, s3
	s_delay_alu instid0(SALU_CYCLE_1)
	s_and_saveexec_b32 s4, s3
	s_cbranch_execz .LBB18_3
; %bb.62:                               ;   in Loop: Header=BB18_4 Depth=1
	v_lshlrev_b64 v[10:11], 2, v[0:1]
	s_delay_alu instid0(VALU_DEP_1) | instskip(NEXT) | instid1(VALU_DEP_1)
	v_add_co_u32 v10, s3, v7, v10
	v_add_co_ci_u32_e64 v11, s3, v9, v11, s3
	global_load_b32 v7, v[10:11], off
	s_waitcnt vmcnt(0)
	v_fmac_f32_e32 v7, s33, v43
	global_store_b32 v[10:11], v7, off
	s_branch .LBB18_3
.LBB18_63:
	s_nop 0
	s_sendmsg sendmsg(MSG_DEALLOC_VGPRS)
	s_endpgm
	.section	.rodata,"a",@progbits
	.p2align	6, 0x0
	.amdhsa_kernel _ZL30rocblas_trmm_outofplace_kernelIfLi32ELi2ELb0ELb1ELb1ELb0EPKfS0_fEv17rocblas_diagonal_iiT6_lPT7_lllS5_lllPT8_llli
		.amdhsa_group_segment_fixed_size 8192
		.amdhsa_private_segment_fixed_size 0
		.amdhsa_kernarg_size 392
		.amdhsa_user_sgpr_count 13
		.amdhsa_user_sgpr_dispatch_ptr 0
		.amdhsa_user_sgpr_queue_ptr 0
		.amdhsa_user_sgpr_kernarg_segment_ptr 1
		.amdhsa_user_sgpr_dispatch_id 0
		.amdhsa_user_sgpr_private_segment_size 0
		.amdhsa_wavefront_size32 1
		.amdhsa_uses_dynamic_stack 0
		.amdhsa_enable_private_segment 0
		.amdhsa_system_sgpr_workgroup_id_x 1
		.amdhsa_system_sgpr_workgroup_id_y 1
		.amdhsa_system_sgpr_workgroup_id_z 1
		.amdhsa_system_sgpr_workgroup_info 0
		.amdhsa_system_vgpr_workitem_id 1
		.amdhsa_next_free_vgpr 96
		.amdhsa_next_free_sgpr 45
		.amdhsa_reserve_vcc 1
		.amdhsa_float_round_mode_32 0
		.amdhsa_float_round_mode_16_64 0
		.amdhsa_float_denorm_mode_32 3
		.amdhsa_float_denorm_mode_16_64 3
		.amdhsa_dx10_clamp 1
		.amdhsa_ieee_mode 1
		.amdhsa_fp16_overflow 0
		.amdhsa_workgroup_processor_mode 1
		.amdhsa_memory_ordered 1
		.amdhsa_forward_progress 0
		.amdhsa_shared_vgpr_count 0
		.amdhsa_exception_fp_ieee_invalid_op 0
		.amdhsa_exception_fp_denorm_src 0
		.amdhsa_exception_fp_ieee_div_zero 0
		.amdhsa_exception_fp_ieee_overflow 0
		.amdhsa_exception_fp_ieee_underflow 0
		.amdhsa_exception_fp_ieee_inexact 0
		.amdhsa_exception_int_div_zero 0
	.end_amdhsa_kernel
	.section	.text._ZL30rocblas_trmm_outofplace_kernelIfLi32ELi2ELb0ELb1ELb1ELb0EPKfS0_fEv17rocblas_diagonal_iiT6_lPT7_lllS5_lllPT8_llli,"axG",@progbits,_ZL30rocblas_trmm_outofplace_kernelIfLi32ELi2ELb0ELb1ELb1ELb0EPKfS0_fEv17rocblas_diagonal_iiT6_lPT7_lllS5_lllPT8_llli,comdat
.Lfunc_end18:
	.size	_ZL30rocblas_trmm_outofplace_kernelIfLi32ELi2ELb0ELb1ELb1ELb0EPKfS0_fEv17rocblas_diagonal_iiT6_lPT7_lllS5_lllPT8_llli, .Lfunc_end18-_ZL30rocblas_trmm_outofplace_kernelIfLi32ELi2ELb0ELb1ELb1ELb0EPKfS0_fEv17rocblas_diagonal_iiT6_lPT7_lllS5_lllPT8_llli
                                        ; -- End function
	.section	.AMDGPU.csdata,"",@progbits
; Kernel info:
; codeLenInByte = 3512
; NumSgprs: 47
; NumVgprs: 96
; ScratchSize: 0
; MemoryBound: 0
; FloatMode: 240
; IeeeMode: 1
; LDSByteSize: 8192 bytes/workgroup (compile time only)
; SGPRBlocks: 5
; VGPRBlocks: 11
; NumSGPRsForWavesPerEU: 47
; NumVGPRsForWavesPerEU: 96
; Occupancy: 16
; WaveLimiterHint : 0
; COMPUTE_PGM_RSRC2:SCRATCH_EN: 0
; COMPUTE_PGM_RSRC2:USER_SGPR: 13
; COMPUTE_PGM_RSRC2:TRAP_HANDLER: 0
; COMPUTE_PGM_RSRC2:TGID_X_EN: 1
; COMPUTE_PGM_RSRC2:TGID_Y_EN: 1
; COMPUTE_PGM_RSRC2:TGID_Z_EN: 1
; COMPUTE_PGM_RSRC2:TIDIG_COMP_CNT: 1
	.section	.text._ZL30rocblas_trmm_outofplace_kernelIfLi32ELi2ELb0ELb1ELb1ELb0EfKffEv17rocblas_diagonal_iiT6_lPT7_lllS4_lllPT8_llli,"axG",@progbits,_ZL30rocblas_trmm_outofplace_kernelIfLi32ELi2ELb0ELb1ELb1ELb0EfKffEv17rocblas_diagonal_iiT6_lPT7_lllS4_lllPT8_llli,comdat
	.globl	_ZL30rocblas_trmm_outofplace_kernelIfLi32ELi2ELb0ELb1ELb1ELb0EfKffEv17rocblas_diagonal_iiT6_lPT7_lllS4_lllPT8_llli ; -- Begin function _ZL30rocblas_trmm_outofplace_kernelIfLi32ELi2ELb0ELb1ELb1ELb0EfKffEv17rocblas_diagonal_iiT6_lPT7_lllS4_lllPT8_llli
	.p2align	8
	.type	_ZL30rocblas_trmm_outofplace_kernelIfLi32ELi2ELb0ELb1ELb1ELb0EfKffEv17rocblas_diagonal_iiT6_lPT7_lllS4_lllPT8_llli,@function
_ZL30rocblas_trmm_outofplace_kernelIfLi32ELi2ELb0ELb1ELb1ELb0EfKffEv17rocblas_diagonal_iiT6_lPT7_lllS4_lllPT8_llli: ; @_ZL30rocblas_trmm_outofplace_kernelIfLi32ELi2ELb0ELb1ELb1ELb0EfKffEv17rocblas_diagonal_iiT6_lPT7_lllS4_lllPT8_llli
; %bb.0:
	s_load_b128 s[8:11], s[0:1], 0x0
	s_waitcnt lgkmcnt(0)
	v_cmp_eq_f32_e64 s2, s11, 0
	s_delay_alu instid0(VALU_DEP_1)
	s_and_b32 vcc_lo, exec_lo, s2
	s_cbranch_vccnz .LBB19_63
; %bb.1:
	s_add_i32 s2, s10, -1
	s_delay_alu instid0(SALU_CYCLE_1) | instskip(NEXT) | instid1(SALU_CYCLE_1)
	s_ashr_i32 s3, s2, 31
	s_lshr_b32 s3, s3, 27
	s_delay_alu instid0(SALU_CYCLE_1) | instskip(NEXT) | instid1(SALU_CYCLE_1)
	s_add_i32 s2, s2, s3
	s_ashr_i32 s33, s2, 5
	s_delay_alu instid0(SALU_CYCLE_1)
	s_cmp_gt_i32 s14, s33
	s_cbranch_scc1 .LBB19_63
; %bb.2:
	s_clause 0x2
	s_load_b512 s[16:31], s[0:1], 0x18
	s_load_b256 s[36:43], s[0:1], 0x58
	s_load_b32 s44, s[0:1], 0x84
	v_dual_mov_b32 v42, 1.0 :: v_dual_and_b32 v9, 0x3ff, v0
	v_bfe_u32 v36, v0, 10, 10
	v_mov_b32_e32 v41, 0
	s_mov_b32 s12, s10
	s_delay_alu instid0(VALU_DEP_3) | instskip(SKIP_2) | instid1(VALU_DEP_3)
	v_lshl_add_u32 v5, s13, 5, v9
	v_lshlrev_b32_e32 v0, 2, v9
	v_lshlrev_b32_e32 v37, 7, v36
	v_ashrrev_i32_e32 v6, 31, v5
	s_delay_alu instid0(VALU_DEP_3) | instskip(NEXT) | instid1(VALU_DEP_3)
	v_or_b32_e32 v39, 0x1000, v0
	v_add_nc_u32_e32 v38, v37, v0
	v_sub_co_u32 v7, vcc_lo, s9, v5
	s_delay_alu instid0(VALU_DEP_4)
	v_lshlrev_b64 v[0:1], 2, v[5:6]
	v_add_nc_u32_e32 v4, 16, v5
	s_waitcnt lgkmcnt(0)
	s_mul_i32 s1, s15, s31
	s_mul_hi_u32 s2, s15, s30
	s_mul_i32 s0, s15, s30
	s_add_i32 s1, s2, s1
	s_mul_i32 s3, s15, s43
	s_lshl_b64 s[0:1], s[0:1], 2
	s_mul_hi_u32 s4, s15, s42
	s_add_u32 s5, s24, s0
	s_addc_u32 s6, s25, s1
	s_lshl_b64 s[0:1], s[26:27], 2
	s_mul_i32 s2, s15, s42
	s_add_u32 s5, s5, s0
	s_addc_u32 s6, s6, s1
	s_add_i32 s3, s4, s3
	s_mul_i32 s4, s23, s15
	s_lshl_b64 s[0:1], s[2:3], 2
	v_add_nc_u32_e32 v40, v39, v37
	s_add_u32 s2, s36, s0
	s_addc_u32 s3, s37, s1
	s_lshl_b64 s[0:1], s[38:39], 2
	s_delay_alu instid0(SALU_CYCLE_1)
	s_add_u32 s36, s2, s0
	s_addc_u32 s37, s3, s1
	s_cmpk_eq_i32 s8, 0x84
	v_cmp_gt_i32_e64 s1, s9, v5
	s_cselect_b32 s38, -1, 0
	s_ashr_i32 s0, s9, 31
	s_ashr_i32 s13, s10, 31
	v_sub_co_ci_u32_e32 v8, vcc_lo, s0, v6, vcc_lo
	v_add_co_u32 v2, vcc_lo, s5, v0
	s_lshl_b64 s[24:25], s[20:21], 7
	s_lshl_b64 s[26:27], s[28:29], 7
	s_mul_hi_u32 s5, s22, s15
	s_add_u32 s30, s10, -16
	s_addc_u32 s31, s13, -1
	s_add_i32 s5, s5, s4
	s_mul_i32 s4, s22, s15
	v_add_co_ci_u32_e32 v3, vcc_lo, s6, v1, vcc_lo
	s_lshl_b32 s3, s14, 5
	s_lshl_b64 s[4:5], s[4:5], 2
	s_lshl_b64 s[6:7], s[18:19], 2
	v_cmp_gt_i64_e32 vcc_lo, 1, v[7:8]
	v_cmp_gt_i64_e64 s0, 17, v[7:8]
	s_lshl_b32 s39, s44, 5
	s_lshl_b64 s[18:19], s[28:29], 2
	v_cmp_gt_i32_e64 s2, s9, v4
	v_ashrrev_i32_e32 v5, 31, v4
	v_add_nc_u32_e32 v6, s3, v9
	v_add_nc_u32_e32 v8, s3, v36
	s_add_u32 s3, s4, s6
	s_addc_u32 s4, s5, s7
	s_add_u32 s16, s16, s3
	s_addc_u32 s17, s17, s4
	s_lshl_b64 s[22:23], s[20:21], 2
	s_branch .LBB19_4
.LBB19_3:                               ;   in Loop: Header=BB19_4 Depth=1
	s_or_b32 exec_lo, exec_lo, s4
	v_add_nc_u32_e32 v6, s39, v6
	v_add_nc_u32_e32 v8, s39, v8
	s_add_i32 s14, s44, s14
	s_delay_alu instid0(SALU_CYCLE_1)
	s_cmp_le_i32 s14, s33
	s_cbranch_scc0 .LBB19_63
.LBB19_4:                               ; =>This Loop Header: Depth=1
                                        ;     Child Loop BB19_7 Depth 2
	s_lshl_b32 s3, s14, 5
	v_ashrrev_i32_e32 v7, 31, v6
	v_dual_mov_b32 v45, 0 :: v_dual_add_nc_u32 v10, s3, v36
	v_ashrrev_i32_e32 v9, 31, v8
	v_dual_mov_b32 v46, 0 :: v_dual_mov_b32 v43, 0
	s_delay_alu instid0(VALU_DEP_3) | instskip(SKIP_2) | instid1(SALU_CYCLE_1)
	v_ashrrev_i32_e32 v11, 31, v10
	v_mov_b32_e32 v44, 0
	s_sub_i32 s15, s10, s3
	s_cmp_lt_i32 s15, 1
	s_cbranch_scc1 .LBB19_55
; %bb.5:                                ;   in Loop: Header=BB19_4 Depth=1
	v_lshlrev_b64 v[14:15], 2, v[6:7]
	v_sub_co_u32 v12, s3, v8, v6
	v_lshlrev_b64 v[16:17], 2, v[8:9]
	v_sub_co_ci_u32_e64 v13, s3, v9, v7, s3
	s_delay_alu instid0(VALU_DEP_4) | instskip(NEXT) | instid1(VALU_DEP_1)
	v_add_co_u32 v20, s3, v14, 64
	v_add_co_ci_u32_e64 v18, s3, 0, v15, s3
	v_mad_u64_u32 v[14:15], null, s18, v8, 64
	v_mul_lo_u32 v24, s18, v9
	v_mul_lo_u32 v25, s19, v8
	v_add_co_u32 v28, s3, v16, 64
	s_delay_alu instid0(VALU_DEP_1)
	v_add_co_ci_u32_e64 v22, s3, 0, v17, s3
	v_mul_lo_u32 v26, s20, v18
	v_mul_lo_u32 v27, s21, v20
	v_mad_u64_u32 v[18:19], null, s20, v20, s[16:17]
	v_mad_u64_u32 v[20:21], null, s22, v6, s[16:17]
	v_mul_lo_u32 v29, s22, v7
	v_mul_lo_u32 v30, s23, v6
	;; [unrolled: 1-line block ×4, first 2 shown]
	v_mad_u64_u32 v[22:23], null, s28, v28, 64
	v_add3_u32 v15, v25, v15, v24
	v_add_co_u32 v24, s3, v10, 16
	s_delay_alu instid0(VALU_DEP_1) | instskip(SKIP_2) | instid1(VALU_DEP_1)
	v_add_co_ci_u32_e64 v25, s3, 0, v11, s3
	v_add3_u32 v19, v27, v19, v26
	v_add_co_u32 v26, s5, v12, 16
	v_add_co_ci_u32_e64 v27, s5, 0, v13, s5
	v_add_co_u32 v28, s5, v12, -16
	v_add3_u32 v21, v30, v21, v29
	v_add3_u32 v23, v32, v23, v31
	v_cmp_le_i64_e64 s4, s[12:13], v[24:25]
	v_dual_mov_b32 v31, v3 :: v_dual_mov_b32 v44, 0
	v_cmp_le_i32_e64 s3, s10, v10
	v_add_co_ci_u32_e64 v29, s5, -1, v13, s5
	v_dual_mov_b32 v43, 0 :: v_dual_mov_b32 v30, v2
	v_dual_mov_b32 v45, 0 :: v_dual_mov_b32 v46, 0
	s_mov_b64 s[34:35], 0
	s_branch .LBB19_7
.LBB19_6:                               ;   in Loop: Header=BB19_7 Depth=2
	s_or_b32 exec_lo, exec_lo, s5
	s_waitcnt lgkmcnt(0)
	s_waitcnt_vscnt null, 0x0
	s_barrier
	buffer_gl0_inv
	ds_load_2addr_b32 v[74:75], v39 offset1:16
	ds_load_b128 v[32:35], v37
	ds_load_b128 v[47:50], v37 offset:2048
	ds_load_2addr_b32 v[76:77], v39 offset0:32 offset1:48
	ds_load_b128 v[51:54], v37 offset:16
	ds_load_2addr_b32 v[82:83], v39 offset0:64 offset1:80
	ds_load_b128 v[55:58], v37 offset:32
	ds_load_b128 v[59:62], v37 offset:48
	ds_load_2addr_b32 v[84:85], v39 offset0:96 offset1:112
	ds_load_2addr_b32 v[86:87], v39 offset0:128 offset1:144
	ds_load_b128 v[63:66], v37 offset:2064
	ds_load_2addr_b32 v[88:89], v39 offset0:160 offset1:176
	ds_load_2addr_b32 v[90:91], v39 offset0:192 offset1:208
	;; [unrolled: 1-line block ×3, first 2 shown]
	v_add_nc_u32_e32 v94, 0x400, v39
	v_add_co_u32 v30, s5, v30, s26
	s_delay_alu instid0(VALU_DEP_1)
	v_add_co_ci_u32_e64 v31, s5, s27, v31, s5
	v_add_co_u32 v18, s5, v18, s24
	s_waitcnt lgkmcnt(12)
	v_fmac_f32_e32 v45, v75, v32
	s_waitcnt lgkmcnt(11)
	v_dual_fmac_f32 v46, v74, v32 :: v_dual_fmac_f32 v43, v75, v47
	v_fmac_f32_e32 v44, v74, v47
	v_add_nc_u32_e32 v95, 0x800, v39
	s_waitcnt lgkmcnt(10)
	v_fmac_f32_e32 v45, v77, v33
	v_dual_fmac_f32 v46, v76, v33 :: v_dual_fmac_f32 v43, v77, v48
	v_fmac_f32_e32 v44, v76, v48
	ds_load_b128 v[67:70], v37 offset:2080
	ds_load_b128 v[71:74], v37 offset:2096
	s_waitcnt lgkmcnt(10)
	v_fmac_f32_e32 v45, v83, v34
	v_dual_fmac_f32 v46, v82, v34 :: v_dual_fmac_f32 v43, v83, v49
	v_fmac_f32_e32 v44, v82, v49
	ds_load_b128 v[75:78], v37 offset:64
	ds_load_b128 v[79:82], v37 offset:80
	s_waitcnt lgkmcnt(9)
	v_fmac_f32_e32 v45, v85, v35
	v_fmac_f32_e32 v46, v84, v35
	ds_load_2addr_b32 v[32:33], v94 offset1:16
	v_fmac_f32_e32 v44, v84, v50
	v_fmac_f32_e32 v43, v85, v50
	s_waitcnt lgkmcnt(9)
	v_fmac_f32_e32 v45, v87, v51
	v_fmac_f32_e32 v46, v86, v51
	ds_load_2addr_b32 v[34:35], v94 offset0:32 offset1:48
	s_waitcnt lgkmcnt(9)
	v_fmac_f32_e32 v44, v86, v63
	v_fmac_f32_e32 v43, v87, v63
	s_waitcnt lgkmcnt(8)
	v_fmac_f32_e32 v45, v89, v52
	v_fmac_f32_e32 v46, v88, v52
	ds_load_2addr_b32 v[47:48], v94 offset0:64 offset1:80
	v_fmac_f32_e32 v44, v88, v64
	v_fmac_f32_e32 v43, v89, v64
	s_waitcnt lgkmcnt(8)
	v_fmac_f32_e32 v45, v91, v53
	v_fmac_f32_e32 v46, v90, v53
	ds_load_2addr_b32 v[49:50], v94 offset0:96 offset1:112
	;; [unrolled: 6-line block ×5, first 2 shown]
	v_fmac_f32_e32 v44, v34, v68
	ds_load_2addr_b32 v[63:64], v94 offset0:224 offset1:240
	s_waitcnt lgkmcnt(5)
	v_fmac_f32_e32 v45, v48, v57
	v_fmac_f32_e32 v46, v47, v57
	v_add_co_ci_u32_e64 v19, s5, s25, v19, s5
	v_add_co_u32 v20, s5, v20, s24
	s_waitcnt lgkmcnt(4)
	v_fmac_f32_e32 v45, v50, v58
	v_dual_fmac_f32 v43, v35, v68 :: v_dual_fmac_f32 v46, v49, v58
	ds_load_2addr_b32 v[57:58], v95 offset1:16
	ds_load_b128 v[32:35], v37 offset:2112
	s_waitcnt lgkmcnt(5)
	v_fmac_f32_e32 v45, v52, v59
	v_fmac_f32_e32 v43, v48, v69
	;; [unrolled: 1-line block ×4, first 2 shown]
	v_add_co_ci_u32_e64 v21, s5, s25, v21, s5
	s_waitcnt lgkmcnt(4)
	v_fmac_f32_e32 v45, v54, v60
	v_fmac_f32_e32 v43, v50, v70
	;; [unrolled: 1-line block ×4, first 2 shown]
	ds_load_b128 v[47:50], v37 offset:2128
	s_waitcnt lgkmcnt(4)
	v_fmac_f32_e32 v45, v56, v61
	v_fmac_f32_e32 v43, v52, v71
	;; [unrolled: 1-line block ×3, first 2 shown]
	ds_load_2addr_b32 v[51:52], v95 offset0:32 offset1:48
	s_waitcnt lgkmcnt(4)
	v_dual_fmac_f32 v46, v55, v61 :: v_dual_fmac_f32 v45, v64, v62
	v_fmac_f32_e32 v43, v54, v72
	v_fmac_f32_e32 v44, v53, v72
	ds_load_2addr_b32 v[53:54], v95 offset0:64 offset1:80
	v_fmac_f32_e32 v46, v63, v62
	ds_load_2addr_b32 v[59:60], v95 offset0:128 offset1:144
	v_fmac_f32_e32 v43, v56, v73
	v_fmac_f32_e32 v44, v55, v73
	ds_load_2addr_b32 v[55:56], v95 offset0:96 offset1:112
	ds_load_2addr_b32 v[61:62], v95 offset0:192 offset1:208
	s_add_u32 s34, s34, 32
	v_fmac_f32_e32 v43, v64, v74
	s_waitcnt lgkmcnt(7)
	v_dual_fmac_f32 v44, v63, v74 :: v_dual_fmac_f32 v45, v58, v75
	v_fmac_f32_e32 v46, v57, v75
	ds_load_2addr_b32 v[63:64], v95 offset0:224 offset1:240
	s_waitcnt lgkmcnt(7)
	v_fmac_f32_e32 v43, v58, v32
	v_fmac_f32_e32 v44, v57, v32
	s_waitcnt lgkmcnt(5)
	v_fmac_f32_e32 v45, v52, v76
	ds_load_2addr_b32 v[57:58], v95 offset0:160 offset1:176
	v_dual_fmac_f32 v46, v51, v76 :: v_dual_fmac_f32 v43, v52, v33
	v_fmac_f32_e32 v44, v51, v33
	s_waitcnt lgkmcnt(5)
	v_fmac_f32_e32 v45, v54, v77
	s_delay_alu instid0(VALU_DEP_3)
	v_dual_fmac_f32 v46, v53, v77 :: v_dual_add_nc_u32 v69, 0xc00, v39
	v_fmac_f32_e32 v43, v54, v34
	v_fmac_f32_e32 v44, v53, v34
	s_waitcnt lgkmcnt(3)
	v_fmac_f32_e32 v45, v56, v78
	s_addc_u32 s35, s35, 0
	v_fmac_f32_e32 v46, v55, v78
	s_cmp_ge_i32 s34, s15
	v_fmac_f32_e32 v44, v55, v35
	s_delay_alu instid0(VALU_DEP_1) | instskip(SKIP_1) | instid1(VALU_DEP_1)
	v_fmac_f32_e32 v44, v59, v47
	s_waitcnt lgkmcnt(0)
	v_dual_fmac_f32 v45, v60, v79 :: v_dual_fmac_f32 v44, v57, v48
	s_delay_alu instid0(VALU_DEP_1)
	v_dual_fmac_f32 v46, v59, v79 :: v_dual_fmac_f32 v45, v58, v80
	v_fmac_f32_e32 v43, v56, v35
	ds_load_2addr_b32 v[65:66], v69 offset1:16
	ds_load_b128 v[32:35], v37 offset:96
	ds_load_b128 v[51:54], v37 offset:2144
	v_fmac_f32_e32 v46, v57, v80
	ds_load_2addr_b32 v[67:68], v69 offset0:64 offset1:80
	v_fmac_f32_e32 v43, v60, v47
	ds_load_2addr_b32 v[59:60], v69 offset0:32 offset1:48
	v_fmac_f32_e32 v46, v61, v81
	v_fmac_f32_e32 v45, v62, v81
	s_delay_alu instid0(VALU_DEP_2) | instskip(NEXT) | instid1(VALU_DEP_2)
	v_dual_fmac_f32 v43, v58, v48 :: v_dual_fmac_f32 v46, v63, v82
	v_dual_fmac_f32 v44, v61, v49 :: v_dual_fmac_f32 v45, v64, v82
	s_delay_alu instid0(VALU_DEP_2)
	v_fmac_f32_e32 v43, v62, v49
	ds_load_2addr_b32 v[61:62], v69 offset0:96 offset1:112
	v_fmac_f32_e32 v44, v63, v50
	s_waitcnt lgkmcnt(4)
	v_dual_fmac_f32 v43, v64, v50 :: v_dual_fmac_f32 v46, v65, v32
	ds_load_b128 v[47:50], v37 offset:112
	s_waitcnt lgkmcnt(4)
	v_dual_fmac_f32 v45, v66, v32 :: v_dual_fmac_f32 v44, v65, v51
	ds_load_2addr_b32 v[63:64], v69 offset0:128 offset1:144
	ds_load_b128 v[55:58], v37 offset:2160
	s_waitcnt lgkmcnt(4)
	v_dual_fmac_f32 v43, v66, v51 :: v_dual_fmac_f32 v46, v59, v33
	ds_load_2addr_b32 v[65:66], v69 offset0:160 offset1:176
	v_dual_fmac_f32 v45, v60, v33 :: v_dual_fmac_f32 v44, v59, v52
	v_dual_fmac_f32 v43, v60, v52 :: v_dual_fmac_f32 v46, v67, v34
	ds_load_2addr_b32 v[32:33], v69 offset0:192 offset1:208
	v_dual_fmac_f32 v45, v68, v34 :: v_dual_fmac_f32 v44, v67, v53
	s_waitcnt lgkmcnt(5)
	v_dual_fmac_f32 v43, v68, v53 :: v_dual_fmac_f32 v46, v61, v35
	ds_load_2addr_b32 v[51:52], v69 offset0:224 offset1:240
	v_dual_fmac_f32 v45, v62, v35 :: v_dual_fmac_f32 v44, v61, v54
	v_fmac_f32_e32 v43, v62, v54
	s_waitcnt lgkmcnt(0)
	s_barrier
	v_fmac_f32_e32 v46, v63, v47
	v_fmac_f32_e32 v45, v64, v47
	buffer_gl0_inv
	v_fmac_f32_e32 v46, v65, v48
	v_dual_fmac_f32 v44, v63, v55 :: v_dual_fmac_f32 v45, v66, v48
	v_fmac_f32_e32 v43, v64, v55
	s_delay_alu instid0(VALU_DEP_3) | instskip(NEXT) | instid1(VALU_DEP_3)
	v_fmac_f32_e32 v46, v32, v49
	v_fmac_f32_e32 v44, v65, v56
	s_delay_alu instid0(VALU_DEP_4) | instskip(NEXT) | instid1(VALU_DEP_3)
	v_fmac_f32_e32 v45, v33, v49
	v_dual_fmac_f32 v43, v66, v56 :: v_dual_fmac_f32 v46, v51, v50
	s_delay_alu instid0(VALU_DEP_3) | instskip(NEXT) | instid1(VALU_DEP_3)
	v_fmac_f32_e32 v44, v32, v57
	v_fmac_f32_e32 v45, v52, v50
	s_delay_alu instid0(VALU_DEP_2) | instskip(NEXT) | instid1(VALU_DEP_1)
	v_dual_fmac_f32 v43, v33, v57 :: v_dual_fmac_f32 v44, v51, v58
	v_fmac_f32_e32 v43, v52, v58
	s_cbranch_scc1 .LBB19_55
.LBB19_7:                               ;   Parent Loop BB19_4 Depth=1
                                        ; =>  This Inner Loop Header: Depth=2
	v_add_co_u32 v32, s5, v6, s34
	s_delay_alu instid0(VALU_DEP_1) | instskip(SKIP_1) | instid1(VALU_DEP_2)
	v_add_co_ci_u32_e64 v33, s5, s35, v7, s5
	v_cmp_eq_u64_e64 s7, s[34:35], v[12:13]
	v_cmp_lt_i64_e64 s5, v[32:33], v[10:11]
	v_cmp_le_i64_e64 s6, s[12:13], v[32:33]
	s_delay_alu instid0(VALU_DEP_3) | instskip(SKIP_1) | instid1(VALU_DEP_3)
	s_and_b32 s43, s38, s7
	v_add_co_u32 v34, s7, v20, v16
	s_or_b32 s8, s3, s5
	v_add_co_ci_u32_e64 v35, s7, v21, v17, s7
	s_delay_alu instid0(VALU_DEP_3) | instskip(NEXT) | instid1(SALU_CYCLE_1)
	s_or_b32 s8, s6, s8
	s_or_b32 s7, s8, s43
	s_delay_alu instid0(SALU_CYCLE_1) | instskip(NEXT) | instid1(SALU_CYCLE_1)
	s_xor_b32 s7, s7, -1
	s_and_saveexec_b32 s8, s7
	s_delay_alu instid0(SALU_CYCLE_1)
	s_xor_b32 s7, exec_lo, s8
	s_cbranch_execz .LBB19_9
; %bb.8:                                ;   in Loop: Header=BB19_7 Depth=2
	global_load_b32 v47, v[34:35], off
	s_waitcnt vmcnt(0)
	ds_store_b32 v38, v47
.LBB19_9:                               ;   in Loop: Header=BB19_7 Depth=2
	s_or_saveexec_b32 s7, s7
	s_xor_b32 s42, s43, -1
	s_xor_b32 exec_lo, exec_lo, s7
	s_cbranch_execz .LBB19_15
; %bb.10:                               ;   in Loop: Header=BB19_7 Depth=2
	s_and_saveexec_b32 s8, s42
	s_delay_alu instid0(SALU_CYCLE_1)
	s_xor_b32 s8, exec_lo, s8
	s_cbranch_execz .LBB19_12
; %bb.11:                               ;   in Loop: Header=BB19_7 Depth=2
	ds_store_b32 v38, v41
.LBB19_12:                              ;   in Loop: Header=BB19_7 Depth=2
	s_and_not1_saveexec_b32 s8, s8
	s_cbranch_execz .LBB19_14
; %bb.13:                               ;   in Loop: Header=BB19_7 Depth=2
	ds_store_b32 v38, v42
.LBB19_14:                              ;   in Loop: Header=BB19_7 Depth=2
	s_or_b32 exec_lo, exec_lo, s8
.LBB19_15:                              ;   in Loop: Header=BB19_7 Depth=2
	s_delay_alu instid0(SALU_CYCLE_1) | instskip(SKIP_1) | instid1(VALU_DEP_1)
	s_or_b32 exec_lo, exec_lo, s7
	v_add_co_u32 v47, s7, v32, 16
	v_add_co_ci_u32_e64 v48, s7, 0, v33, s7
	v_cmp_eq_u64_e64 s9, s[34:35], v[28:29]
	s_delay_alu instid0(VALU_DEP_2) | instskip(SKIP_1) | instid1(VALU_DEP_3)
	v_cmp_lt_i64_e64 s8, v[47:48], v[10:11]
	v_cmp_le_i64_e64 s7, s[12:13], v[47:48]
	s_and_b32 s9, s38, s9
	s_delay_alu instid0(VALU_DEP_2)
	s_or_b32 s8, s3, s8
	s_delay_alu instid0(VALU_DEP_1) | instid1(SALU_CYCLE_1)
	s_or_b32 s8, s7, s8
	s_delay_alu instid0(SALU_CYCLE_1) | instskip(NEXT) | instid1(SALU_CYCLE_1)
	s_or_b32 s8, s8, s9
	s_xor_b32 s8, s8, -1
	s_delay_alu instid0(SALU_CYCLE_1) | instskip(NEXT) | instid1(SALU_CYCLE_1)
	s_and_saveexec_b32 s45, s8
	s_xor_b32 s45, exec_lo, s45
	s_cbranch_execz .LBB19_17
; %bb.16:                               ;   in Loop: Header=BB19_7 Depth=2
	v_add_co_u32 v47, s8, v18, v16
	s_delay_alu instid0(VALU_DEP_1)
	v_add_co_ci_u32_e64 v48, s8, v19, v17, s8
	global_load_b32 v47, v[47:48], off
	s_waitcnt vmcnt(0)
	ds_store_b32 v38, v47 offset:64
.LBB19_17:                              ;   in Loop: Header=BB19_7 Depth=2
	s_and_not1_saveexec_b32 s8, s45
	s_cbranch_execz .LBB19_23
; %bb.18:                               ;   in Loop: Header=BB19_7 Depth=2
	s_xor_b32 s9, s9, -1
	s_delay_alu instid0(SALU_CYCLE_1) | instskip(NEXT) | instid1(SALU_CYCLE_1)
	s_and_saveexec_b32 s45, s9
	s_xor_b32 s9, exec_lo, s45
	s_cbranch_execz .LBB19_20
; %bb.19:                               ;   in Loop: Header=BB19_7 Depth=2
	ds_store_b32 v38, v41 offset:64
.LBB19_20:                              ;   in Loop: Header=BB19_7 Depth=2
	s_and_not1_saveexec_b32 s9, s9
	s_cbranch_execz .LBB19_22
; %bb.21:                               ;   in Loop: Header=BB19_7 Depth=2
	ds_store_b32 v38, v42 offset:64
.LBB19_22:                              ;   in Loop: Header=BB19_7 Depth=2
	s_or_b32 exec_lo, exec_lo, s9
.LBB19_23:                              ;   in Loop: Header=BB19_7 Depth=2
	s_delay_alu instid0(SALU_CYCLE_1) | instskip(SKIP_2) | instid1(VALU_DEP_2)
	s_or_b32 exec_lo, exec_lo, s8
	v_cmp_eq_u64_e64 s8, s[34:35], v[26:27]
	v_cmp_lt_i64_e64 s9, v[32:33], v[24:25]
	s_and_b32 s8, s38, s8
	s_delay_alu instid0(VALU_DEP_1) | instskip(NEXT) | instid1(SALU_CYCLE_1)
	s_or_b32 s9, s4, s9
	s_or_b32 s9, s9, s8
	s_delay_alu instid0(SALU_CYCLE_1) | instskip(NEXT) | instid1(SALU_CYCLE_1)
	s_or_b32 s6, s6, s9
	s_xor_b32 s6, s6, -1
	s_delay_alu instid0(SALU_CYCLE_1) | instskip(NEXT) | instid1(SALU_CYCLE_1)
	s_and_saveexec_b32 s9, s6
	s_xor_b32 s6, exec_lo, s9
	s_cbranch_execz .LBB19_25
; %bb.24:                               ;   in Loop: Header=BB19_7 Depth=2
	global_load_b32 v32, v[34:35], off offset:64
	s_waitcnt vmcnt(0)
	ds_store_b32 v38, v32 offset:2048
.LBB19_25:                              ;   in Loop: Header=BB19_7 Depth=2
	s_and_not1_saveexec_b32 s6, s6
	s_cbranch_execz .LBB19_31
; %bb.26:                               ;   in Loop: Header=BB19_7 Depth=2
	s_xor_b32 s8, s8, -1
	s_delay_alu instid0(SALU_CYCLE_1) | instskip(NEXT) | instid1(SALU_CYCLE_1)
	s_and_saveexec_b32 s9, s8
	s_xor_b32 s8, exec_lo, s9
	s_cbranch_execz .LBB19_28
; %bb.27:                               ;   in Loop: Header=BB19_7 Depth=2
	ds_store_b32 v38, v41 offset:2048
.LBB19_28:                              ;   in Loop: Header=BB19_7 Depth=2
	s_and_not1_saveexec_b32 s8, s8
	s_cbranch_execz .LBB19_30
; %bb.29:                               ;   in Loop: Header=BB19_7 Depth=2
	ds_store_b32 v38, v42 offset:2048
.LBB19_30:                              ;   in Loop: Header=BB19_7 Depth=2
	s_or_b32 exec_lo, exec_lo, s8
.LBB19_31:                              ;   in Loop: Header=BB19_7 Depth=2
	s_delay_alu instid0(SALU_CYCLE_1) | instskip(SKIP_1) | instid1(SALU_CYCLE_1)
	s_or_b32 exec_lo, exec_lo, s6
	s_or_b32 s5, s4, s5
	s_or_b32 s5, s7, s5
	s_delay_alu instid0(SALU_CYCLE_1) | instskip(NEXT) | instid1(SALU_CYCLE_1)
	s_or_b32 s5, s5, s43
	s_xor_b32 s5, s5, -1
	s_delay_alu instid0(SALU_CYCLE_1) | instskip(NEXT) | instid1(SALU_CYCLE_1)
	s_and_saveexec_b32 s6, s5
	s_xor_b32 s6, exec_lo, s6
	s_cbranch_execz .LBB19_33
; %bb.32:                               ;   in Loop: Header=BB19_7 Depth=2
	v_add_co_u32 v32, s5, v18, v16
	s_delay_alu instid0(VALU_DEP_1)
	v_add_co_ci_u32_e64 v33, s5, v19, v17, s5
	global_load_b32 v32, v[32:33], off offset:64
	s_waitcnt vmcnt(0)
	ds_store_b32 v38, v32 offset:2112
.LBB19_33:                              ;   in Loop: Header=BB19_7 Depth=2
	s_and_not1_saveexec_b32 s5, s6
	s_cbranch_execz .LBB19_39
; %bb.34:                               ;   in Loop: Header=BB19_7 Depth=2
	s_and_saveexec_b32 s6, s42
	s_delay_alu instid0(SALU_CYCLE_1)
	s_xor_b32 s6, exec_lo, s6
	s_cbranch_execz .LBB19_36
; %bb.35:                               ;   in Loop: Header=BB19_7 Depth=2
	ds_store_b32 v38, v41 offset:2112
.LBB19_36:                              ;   in Loop: Header=BB19_7 Depth=2
	s_and_not1_saveexec_b32 s6, s6
	s_cbranch_execz .LBB19_38
; %bb.37:                               ;   in Loop: Header=BB19_7 Depth=2
	ds_store_b32 v38, v42 offset:2112
.LBB19_38:                              ;   in Loop: Header=BB19_7 Depth=2
	s_or_b32 exec_lo, exec_lo, s6
.LBB19_39:                              ;   in Loop: Header=BB19_7 Depth=2
	s_delay_alu instid0(SALU_CYCLE_1) | instskip(SKIP_1) | instid1(VALU_DEP_1)
	s_or_b32 exec_lo, exec_lo, s5
	v_add_co_u32 v32, s5, v8, s34
	v_add_co_ci_u32_e64 v33, s5, s35, v9, s5
	v_add_co_u32 v34, s6, v30, v14
	s_delay_alu instid0(VALU_DEP_1) | instskip(NEXT) | instid1(VALU_DEP_3)
	v_add_co_ci_u32_e64 v35, s6, v31, v15, s6
	v_cmp_le_i64_e64 s5, s[12:13], v[32:33]
	s_delay_alu instid0(VALU_DEP_1) | instskip(NEXT) | instid1(SALU_CYCLE_1)
	s_or_b32 s6, s5, vcc_lo
	s_xor_b32 s6, s6, -1
	s_delay_alu instid0(SALU_CYCLE_1) | instskip(NEXT) | instid1(SALU_CYCLE_1)
	s_and_saveexec_b32 s7, s6
	s_xor_b32 s6, exec_lo, s7
	s_cbranch_execz .LBB19_41
; %bb.40:                               ;   in Loop: Header=BB19_7 Depth=2
	global_load_b32 v47, v[34:35], off offset:-64
	s_waitcnt vmcnt(0)
	ds_store_b32 v40, v47
.LBB19_41:                              ;   in Loop: Header=BB19_7 Depth=2
	s_and_not1_saveexec_b32 s6, s6
	s_cbranch_execz .LBB19_43
; %bb.42:                               ;   in Loop: Header=BB19_7 Depth=2
	ds_store_b32 v40, v41
.LBB19_43:                              ;   in Loop: Header=BB19_7 Depth=2
	s_or_b32 exec_lo, exec_lo, s6
	s_or_b32 s5, s5, s0
	s_delay_alu instid0(SALU_CYCLE_1) | instskip(NEXT) | instid1(SALU_CYCLE_1)
	s_xor_b32 s5, s5, -1
	s_and_saveexec_b32 s6, s5
	s_delay_alu instid0(SALU_CYCLE_1)
	s_xor_b32 s5, exec_lo, s6
	s_cbranch_execz .LBB19_45
; %bb.44:                               ;   in Loop: Header=BB19_7 Depth=2
	global_load_b32 v34, v[34:35], off
	s_waitcnt vmcnt(0)
	ds_store_b32 v40, v34 offset:64
.LBB19_45:                              ;   in Loop: Header=BB19_7 Depth=2
	s_and_not1_saveexec_b32 s5, s5
	s_cbranch_execz .LBB19_47
; %bb.46:                               ;   in Loop: Header=BB19_7 Depth=2
	ds_store_b32 v40, v41 offset:64
.LBB19_47:                              ;   in Loop: Header=BB19_7 Depth=2
	s_or_b32 exec_lo, exec_lo, s5
	v_cmp_le_i64_e64 s5, s[30:31], v[32:33]
	s_delay_alu instid0(VALU_DEP_1) | instskip(NEXT) | instid1(SALU_CYCLE_1)
	s_or_b32 s6, s5, vcc_lo
	s_xor_b32 s6, s6, -1
	s_delay_alu instid0(SALU_CYCLE_1) | instskip(NEXT) | instid1(SALU_CYCLE_1)
	s_and_saveexec_b32 s7, s6
	s_xor_b32 s7, exec_lo, s7
	s_cbranch_execz .LBB19_49
; %bb.48:                               ;   in Loop: Header=BB19_7 Depth=2
	v_add_co_u32 v32, s6, v30, v22
	s_delay_alu instid0(VALU_DEP_1)
	v_add_co_ci_u32_e64 v33, s6, v31, v23, s6
	global_load_b32 v32, v[32:33], off offset:-64
	s_waitcnt vmcnt(0)
	ds_store_b32 v40, v32 offset:2048
.LBB19_49:                              ;   in Loop: Header=BB19_7 Depth=2
	s_and_not1_saveexec_b32 s6, s7
	s_cbranch_execz .LBB19_51
; %bb.50:                               ;   in Loop: Header=BB19_7 Depth=2
	ds_store_b32 v40, v41 offset:2048
.LBB19_51:                              ;   in Loop: Header=BB19_7 Depth=2
	s_or_b32 exec_lo, exec_lo, s6
	s_or_b32 s5, s5, s0
	s_delay_alu instid0(SALU_CYCLE_1) | instskip(NEXT) | instid1(SALU_CYCLE_1)
	s_xor_b32 s5, s5, -1
	s_and_saveexec_b32 s6, s5
	s_delay_alu instid0(SALU_CYCLE_1)
	s_xor_b32 s6, exec_lo, s6
	s_cbranch_execz .LBB19_53
; %bb.52:                               ;   in Loop: Header=BB19_7 Depth=2
	v_add_co_u32 v32, s5, v30, v22
	s_delay_alu instid0(VALU_DEP_1)
	v_add_co_ci_u32_e64 v33, s5, v31, v23, s5
	global_load_b32 v32, v[32:33], off
	s_waitcnt vmcnt(0)
	ds_store_b32 v40, v32 offset:2112
.LBB19_53:                              ;   in Loop: Header=BB19_7 Depth=2
	s_and_not1_saveexec_b32 s5, s6
	s_cbranch_execz .LBB19_6
; %bb.54:                               ;   in Loop: Header=BB19_7 Depth=2
	ds_store_b32 v40, v41 offset:2112
	s_branch .LBB19_6
.LBB19_55:                              ;   in Loop: Header=BB19_4 Depth=1
	v_mul_lo_u32 v7, v11, s40
	v_mul_lo_u32 v9, v10, s41
	v_mad_u64_u32 v[11:12], null, v10, s40, 0
	v_cmp_gt_i32_e64 s3, s10, v10
	s_delay_alu instid0(VALU_DEP_2) | instskip(NEXT) | instid1(VALU_DEP_1)
	v_add3_u32 v12, v12, v9, v7
	v_lshlrev_b64 v[11:12], 2, v[11:12]
	s_delay_alu instid0(VALU_DEP_1) | instskip(NEXT) | instid1(VALU_DEP_1)
	v_add_co_u32 v7, s4, s36, v11
	v_add_co_ci_u32_e64 v9, s4, s37, v12, s4
	s_and_b32 s4, s1, s3
	s_delay_alu instid0(SALU_CYCLE_1)
	s_and_saveexec_b32 s5, s4
	s_cbranch_execz .LBB19_57
; %bb.56:                               ;   in Loop: Header=BB19_4 Depth=1
	v_add_co_u32 v11, s4, v7, v0
	s_delay_alu instid0(VALU_DEP_1)
	v_add_co_ci_u32_e64 v12, s4, v9, v1, s4
	global_load_b32 v13, v[11:12], off
	s_waitcnt vmcnt(0)
	v_fmac_f32_e32 v13, s11, v46
	global_store_b32 v[11:12], v13, off
.LBB19_57:                              ;   in Loop: Header=BB19_4 Depth=1
	s_or_b32 exec_lo, exec_lo, s5
	s_and_b32 s3, s2, s3
	s_delay_alu instid0(SALU_CYCLE_1)
	s_and_saveexec_b32 s4, s3
	s_cbranch_execz .LBB19_59
; %bb.58:                               ;   in Loop: Header=BB19_4 Depth=1
	v_lshlrev_b64 v[11:12], 2, v[4:5]
	s_delay_alu instid0(VALU_DEP_1) | instskip(NEXT) | instid1(VALU_DEP_1)
	v_add_co_u32 v11, s3, v7, v11
	v_add_co_ci_u32_e64 v12, s3, v9, v12, s3
	global_load_b32 v7, v[11:12], off
	s_waitcnt vmcnt(0)
	v_fmac_f32_e32 v7, s11, v45
	global_store_b32 v[11:12], v7, off
.LBB19_59:                              ;   in Loop: Header=BB19_4 Depth=1
	s_or_b32 exec_lo, exec_lo, s4
	v_add_nc_u32_e32 v7, 16, v10
	s_delay_alu instid0(VALU_DEP_1) | instskip(SKIP_3) | instid1(VALU_DEP_4)
	v_ashrrev_i32_e32 v11, 31, v7
	v_mul_lo_u32 v12, v7, s41
	v_mad_u64_u32 v[9:10], null, v7, s40, 0
	v_cmp_gt_i32_e64 s3, s10, v7
	v_mul_lo_u32 v11, v11, s40
	s_delay_alu instid0(VALU_DEP_1) | instskip(NEXT) | instid1(VALU_DEP_1)
	v_add3_u32 v10, v10, v12, v11
	v_lshlrev_b64 v[9:10], 2, v[9:10]
	s_delay_alu instid0(VALU_DEP_1) | instskip(NEXT) | instid1(VALU_DEP_1)
	v_add_co_u32 v7, s4, s36, v9
	v_add_co_ci_u32_e64 v9, s4, s37, v10, s4
	s_and_b32 s4, s1, s3
	s_delay_alu instid0(SALU_CYCLE_1)
	s_and_saveexec_b32 s5, s4
	s_cbranch_execz .LBB19_61
; %bb.60:                               ;   in Loop: Header=BB19_4 Depth=1
	v_add_co_u32 v10, s4, v7, v0
	s_delay_alu instid0(VALU_DEP_1)
	v_add_co_ci_u32_e64 v11, s4, v9, v1, s4
	global_load_b32 v12, v[10:11], off
	s_waitcnt vmcnt(0)
	v_fmac_f32_e32 v12, s11, v44
	global_store_b32 v[10:11], v12, off
.LBB19_61:                              ;   in Loop: Header=BB19_4 Depth=1
	s_or_b32 exec_lo, exec_lo, s5
	s_and_b32 s3, s2, s3
	s_delay_alu instid0(SALU_CYCLE_1)
	s_and_saveexec_b32 s4, s3
	s_cbranch_execz .LBB19_3
; %bb.62:                               ;   in Loop: Header=BB19_4 Depth=1
	v_lshlrev_b64 v[10:11], 2, v[4:5]
	s_delay_alu instid0(VALU_DEP_1) | instskip(NEXT) | instid1(VALU_DEP_1)
	v_add_co_u32 v10, s3, v7, v10
	v_add_co_ci_u32_e64 v11, s3, v9, v11, s3
	global_load_b32 v7, v[10:11], off
	s_waitcnt vmcnt(0)
	v_fmac_f32_e32 v7, s11, v43
	global_store_b32 v[10:11], v7, off
	s_branch .LBB19_3
.LBB19_63:
	s_nop 0
	s_sendmsg sendmsg(MSG_DEALLOC_VGPRS)
	s_endpgm
	.section	.rodata,"a",@progbits
	.p2align	6, 0x0
	.amdhsa_kernel _ZL30rocblas_trmm_outofplace_kernelIfLi32ELi2ELb0ELb1ELb1ELb0EfKffEv17rocblas_diagonal_iiT6_lPT7_lllS4_lllPT8_llli
		.amdhsa_group_segment_fixed_size 8192
		.amdhsa_private_segment_fixed_size 0
		.amdhsa_kernarg_size 384
		.amdhsa_user_sgpr_count 13
		.amdhsa_user_sgpr_dispatch_ptr 0
		.amdhsa_user_sgpr_queue_ptr 0
		.amdhsa_user_sgpr_kernarg_segment_ptr 1
		.amdhsa_user_sgpr_dispatch_id 0
		.amdhsa_user_sgpr_private_segment_size 0
		.amdhsa_wavefront_size32 1
		.amdhsa_uses_dynamic_stack 0
		.amdhsa_enable_private_segment 0
		.amdhsa_system_sgpr_workgroup_id_x 1
		.amdhsa_system_sgpr_workgroup_id_y 1
		.amdhsa_system_sgpr_workgroup_id_z 1
		.amdhsa_system_sgpr_workgroup_info 0
		.amdhsa_system_vgpr_workitem_id 1
		.amdhsa_next_free_vgpr 96
		.amdhsa_next_free_sgpr 46
		.amdhsa_reserve_vcc 1
		.amdhsa_float_round_mode_32 0
		.amdhsa_float_round_mode_16_64 0
		.amdhsa_float_denorm_mode_32 3
		.amdhsa_float_denorm_mode_16_64 3
		.amdhsa_dx10_clamp 1
		.amdhsa_ieee_mode 1
		.amdhsa_fp16_overflow 0
		.amdhsa_workgroup_processor_mode 1
		.amdhsa_memory_ordered 1
		.amdhsa_forward_progress 0
		.amdhsa_shared_vgpr_count 0
		.amdhsa_exception_fp_ieee_invalid_op 0
		.amdhsa_exception_fp_denorm_src 0
		.amdhsa_exception_fp_ieee_div_zero 0
		.amdhsa_exception_fp_ieee_overflow 0
		.amdhsa_exception_fp_ieee_underflow 0
		.amdhsa_exception_fp_ieee_inexact 0
		.amdhsa_exception_int_div_zero 0
	.end_amdhsa_kernel
	.section	.text._ZL30rocblas_trmm_outofplace_kernelIfLi32ELi2ELb0ELb1ELb1ELb0EfKffEv17rocblas_diagonal_iiT6_lPT7_lllS4_lllPT8_llli,"axG",@progbits,_ZL30rocblas_trmm_outofplace_kernelIfLi32ELi2ELb0ELb1ELb1ELb0EfKffEv17rocblas_diagonal_iiT6_lPT7_lllS4_lllPT8_llli,comdat
.Lfunc_end19:
	.size	_ZL30rocblas_trmm_outofplace_kernelIfLi32ELi2ELb0ELb1ELb1ELb0EfKffEv17rocblas_diagonal_iiT6_lPT7_lllS4_lllPT8_llli, .Lfunc_end19-_ZL30rocblas_trmm_outofplace_kernelIfLi32ELi2ELb0ELb1ELb1ELb0EfKffEv17rocblas_diagonal_iiT6_lPT7_lllS4_lllPT8_llli
                                        ; -- End function
	.section	.AMDGPU.csdata,"",@progbits
; Kernel info:
; codeLenInByte = 3464
; NumSgprs: 48
; NumVgprs: 96
; ScratchSize: 0
; MemoryBound: 0
; FloatMode: 240
; IeeeMode: 1
; LDSByteSize: 8192 bytes/workgroup (compile time only)
; SGPRBlocks: 5
; VGPRBlocks: 11
; NumSGPRsForWavesPerEU: 48
; NumVGPRsForWavesPerEU: 96
; Occupancy: 16
; WaveLimiterHint : 0
; COMPUTE_PGM_RSRC2:SCRATCH_EN: 0
; COMPUTE_PGM_RSRC2:USER_SGPR: 13
; COMPUTE_PGM_RSRC2:TRAP_HANDLER: 0
; COMPUTE_PGM_RSRC2:TGID_X_EN: 1
; COMPUTE_PGM_RSRC2:TGID_Y_EN: 1
; COMPUTE_PGM_RSRC2:TGID_Z_EN: 1
; COMPUTE_PGM_RSRC2:TIDIG_COMP_CNT: 1
	.section	.text._ZL30rocblas_trmm_outofplace_kernelIfLi32ELi2ELb0ELb0ELb1ELb1EPKfS0_fEv17rocblas_diagonal_iiT6_lPT7_lllS5_lllPT8_llli,"axG",@progbits,_ZL30rocblas_trmm_outofplace_kernelIfLi32ELi2ELb0ELb0ELb1ELb1EPKfS0_fEv17rocblas_diagonal_iiT6_lPT7_lllS5_lllPT8_llli,comdat
	.globl	_ZL30rocblas_trmm_outofplace_kernelIfLi32ELi2ELb0ELb0ELb1ELb1EPKfS0_fEv17rocblas_diagonal_iiT6_lPT7_lllS5_lllPT8_llli ; -- Begin function _ZL30rocblas_trmm_outofplace_kernelIfLi32ELi2ELb0ELb0ELb1ELb1EPKfS0_fEv17rocblas_diagonal_iiT6_lPT7_lllS5_lllPT8_llli
	.p2align	8
	.type	_ZL30rocblas_trmm_outofplace_kernelIfLi32ELi2ELb0ELb0ELb1ELb1EPKfS0_fEv17rocblas_diagonal_iiT6_lPT7_lllS5_lllPT8_llli,@function
_ZL30rocblas_trmm_outofplace_kernelIfLi32ELi2ELb0ELb0ELb1ELb1EPKfS0_fEv17rocblas_diagonal_iiT6_lPT7_lllS5_lllPT8_llli: ; @_ZL30rocblas_trmm_outofplace_kernelIfLi32ELi2ELb0ELb0ELb1ELb1EPKfS0_fEv17rocblas_diagonal_iiT6_lPT7_lllS5_lllPT8_llli
; %bb.0:
	s_load_b512 s[16:31], s[0:1], 0x10
	s_waitcnt lgkmcnt(0)
	s_mul_i32 s2, s15, s19
	s_mul_hi_u32 s3, s15, s18
	s_delay_alu instid0(SALU_CYCLE_1) | instskip(SKIP_1) | instid1(SALU_CYCLE_1)
	s_add_i32 s3, s3, s2
	s_mul_i32 s2, s15, s18
	s_lshl_b64 s[2:3], s[2:3], 2
	s_delay_alu instid0(SALU_CYCLE_1) | instskip(SKIP_4) | instid1(VALU_DEP_1)
	s_add_u32 s2, s16, s2
	s_addc_u32 s3, s17, s3
	s_load_b32 s33, s[2:3], 0x0
	s_waitcnt lgkmcnt(0)
	v_cmp_eq_f32_e64 s2, s33, 0
	s_and_b32 vcc_lo, exec_lo, s2
	s_cbranch_vccnz .LBB20_63
; %bb.1:
	s_load_b128 s[16:19], s[0:1], 0x0
	s_waitcnt lgkmcnt(0)
	s_add_i32 s2, s18, -1
	s_delay_alu instid0(SALU_CYCLE_1) | instskip(NEXT) | instid1(SALU_CYCLE_1)
	s_ashr_i32 s3, s2, 31
	s_lshr_b32 s3, s3, 27
	s_delay_alu instid0(SALU_CYCLE_1) | instskip(NEXT) | instid1(SALU_CYCLE_1)
	s_add_i32 s2, s2, s3
	s_ashr_i32 s40, s2, 5
	s_delay_alu instid0(SALU_CYCLE_1)
	s_cmp_gt_i32 s14, s40
	s_cbranch_scc1 .LBB20_63
; %bb.2:
	v_and_b32_e32 v38, 0x3ff, v0
	s_clause 0x1
	s_load_b128 s[36:39], s[0:1], 0x70
	s_load_b32 s41, s[0:1], 0x8c
	s_mul_i32 s3, s15, s27
	s_mul_hi_u32 s4, s15, s26
	v_mad_u64_u32 v[1:2], null, v38, s24, 0
	s_add_i32 s3, s4, s3
	s_load_b256 s[4:11], s[0:1], 0x50
	v_bfe_u32 v39, v0, 10, 10
	s_mul_i32 s2, s15, s26
	v_lshl_add_u32 v9, s13, 5, v38
	s_lshl_b64 s[26:27], s[2:3], 2
	s_delay_alu instid0(VALU_DEP_3) | instskip(SKIP_3) | instid1(VALU_DEP_1)
	v_dual_mov_b32 v0, v2 :: v_dual_lshlrev_b32 v5, 2, v38
	s_add_u32 s2, s20, s26
	s_addc_u32 s3, s21, s27
	s_lshl_b64 s[34:35], s[22:23], 2
	v_mad_u64_u32 v[2:3], null, v38, s25, v[0:1]
	s_add_u32 s2, s2, s34
	s_waitcnt lgkmcnt(0)
	s_mul_i32 s1, s15, s39
	s_mul_hi_u32 s12, s15, s38
	s_addc_u32 s3, s3, s35
	s_mul_i32 s0, s15, s38
	s_add_i32 s1, s12, s1
	v_lshlrev_b64 v[0:1], 2, v[1:2]
	s_lshl_b64 s[0:1], s[0:1], 2
	v_mad_u64_u32 v[12:13], null, s4, v39, 0
	s_add_u32 s8, s8, s0
	s_addc_u32 s9, s9, s1
	s_lshl_b64 s[0:1], s[10:11], 2
	v_add_co_u32 v0, vcc_lo, s2, v0
	s_add_u32 s38, s8, s0
	s_addc_u32 s39, s9, s1
	s_cmpk_eq_i32 s16, 0x84
	v_add_co_ci_u32_e32 v1, vcc_lo, s3, v1, vcc_lo
	s_cselect_b32 s42, -1, 0
	s_ashr_i32 s19, s18, 31
	s_ashr_i32 s0, s17, 31
	s_lshl_b64 s[10:11], s[24:25], 7
	s_lshl_b64 s[12:13], s[4:5], 7
	s_mul_i32 s3, s7, s15
	s_mul_hi_u32 s7, s6, s15
	s_add_u32 s22, s18, -16
	s_addc_u32 s23, s19, -1
	s_add_i32 s7, s7, s3
	s_mul_i32 s6, s6, s15
	v_mov_b32_e32 v4, v13
	s_lshl_b64 s[6:7], s[6:7], 2
	s_lshl_b64 s[8:9], s[30:31], 2
	s_lshl_b32 s15, s41, 5
	s_add_u32 s3, s6, s8
	s_addc_u32 s6, s7, s9
	s_add_u32 s3, s28, s3
	v_mad_u64_u32 v[13:14], null, s5, v39, v[4:5]
	s_addc_u32 s8, s29, s6
	v_dual_mov_b32 v40, 0 :: v_dual_lshlrev_b32 v41, 7, v39
	v_add_nc_u32_e32 v14, 64, v5
	s_add_u32 s6, s20, s34
	v_lshl_add_u32 v15, v39, 2, 64
	s_addc_u32 s7, s21, s35
	s_add_u32 s6, s6, s26
	s_addc_u32 s7, s7, s27
	v_ashrrev_i32_e32 v10, 31, v9
	v_or_b32_e32 v42, 0x1000, v5
	v_add_nc_u32_e32 v43, v41, v5
	v_mad_u64_u32 v[4:5], null, s24, v14, s[6:7]
	v_mad_u64_u32 v[6:7], null, s4, v15, 0
	v_sub_co_u32 v2, vcc_lo, s17, v9
	v_sub_co_ci_u32_e32 v3, vcc_lo, s0, v10, vcc_lo
	v_lshl_add_u32 v8, s14, 5, v39
	v_lshlrev_b64 v[10:11], 2, v[9:10]
	v_mad_u64_u32 v[16:17], null, s25, v14, v[5:6]
	s_delay_alu instid0(VALU_DEP_4) | instskip(NEXT) | instid1(VALU_DEP_4)
	v_cmp_gt_i64_e32 vcc_lo, 1, v[2:3]
	v_mad_u64_u32 v[17:18], null, s5, v15, v[7:8]
	s_delay_alu instid0(VALU_DEP_4) | instskip(SKIP_3) | instid1(VALU_DEP_4)
	v_add_co_u32 v5, s3, s3, v10
	v_cmp_gt_i64_e64 s0, 17, v[2:3]
	v_dual_mov_b32 v47, 1.0 :: v_dual_add_nc_u32 v2, 16, v9
	v_add_co_ci_u32_e64 v7, s3, s8, v11, s3
	v_add_co_u32 v14, s3, v5, 64
	v_mov_b32_e32 v5, v16
	v_sub_co_u32 v45, s4, 0, v38
	v_lshlrev_b64 v[12:13], 2, v[12:13]
	v_add_nc_u32_e32 v44, v42, v41
	v_cmp_gt_i32_e64 s1, s17, v9
	v_cmp_gt_i32_e64 s2, s17, v2
	v_ashrrev_i32_e32 v3, 31, v2
	v_sub_co_ci_u32_e64 v46, null, 0, 0, s4
	v_add_co_ci_u32_e64 v15, s3, 0, v7, s3
	v_mov_b32_e32 v7, v17
	s_branch .LBB20_4
.LBB20_3:                               ;   in Loop: Header=BB20_4 Depth=1
	s_or_b32 exec_lo, exec_lo, s4
	v_add_nc_u32_e32 v8, s15, v8
	s_add_i32 s14, s41, s14
	s_delay_alu instid0(SALU_CYCLE_1)
	s_cmp_le_i32 s14, s40
	s_cbranch_scc0 .LBB20_63
.LBB20_4:                               ; =>This Loop Header: Depth=1
                                        ;     Child Loop BB20_7 Depth 2
	s_lshl_b32 s20, s14, 5
	v_dual_mov_b32 v50, 0 :: v_dual_mov_b32 v9, 0
	v_dual_mov_b32 v49, 0 :: v_dual_add_nc_u32 v16, s20, v39
	v_mov_b32_e32 v48, 0
	s_cmp_lt_i32 s14, 0
	s_delay_alu instid0(VALU_DEP_2)
	v_ashrrev_i32_e32 v17, 31, v16
	s_cbranch_scc1 .LBB20_55
; %bb.5:                                ;   in Loop: Header=BB20_4 Depth=1
	v_ashrrev_i32_e32 v9, 31, v8
	v_add_co_u32 v18, s3, v16, 16
	s_delay_alu instid0(VALU_DEP_1) | instskip(SKIP_1) | instid1(VALU_DEP_1)
	v_add_co_ci_u32_e64 v19, s3, 0, v17, s3
	v_add_co_u32 v20, s3, v45, v8
	v_add_co_ci_u32_e64 v21, s3, v46, v9, s3
	v_lshlrev_b64 v[22:23], 2, v[8:9]
	s_delay_alu instid0(VALU_DEP_3) | instskip(NEXT) | instid1(VALU_DEP_1)
	v_add_co_u32 v24, s5, v20, 16
	v_add_co_ci_u32_e64 v25, s5, 0, v21, s5
	v_add_co_u32 v26, s5, v20, -16
	v_cmp_le_i64_e64 s4, s[18:19], v[18:19]
	v_mov_b32_e32 v29, v1
	v_mov_b32_e32 v31, v5
	v_dual_mov_b32 v33, v15 :: v_dual_mov_b32 v48, 0
	v_cmp_le_i32_e64 s3, s18, v16
	v_add_co_ci_u32_e64 v27, s5, -1, v21, s5
	v_dual_mov_b32 v9, 0 :: v_dual_mov_b32 v28, v0
	v_mov_b32_e32 v30, v4
	v_dual_mov_b32 v32, v14 :: v_dual_mov_b32 v49, 0
	v_mov_b32_e32 v50, 0
	s_mov_b64 s[16:17], 0
	s_branch .LBB20_7
.LBB20_6:                               ;   in Loop: Header=BB20_7 Depth=2
	s_or_b32 exec_lo, exec_lo, s5
	s_waitcnt lgkmcnt(0)
	s_waitcnt_vscnt null, 0x0
	s_barrier
	buffer_gl0_inv
	ds_load_2addr_b32 v[78:79], v42 offset1:16
	ds_load_b128 v[34:37], v41
	ds_load_b128 v[51:54], v41 offset:2048
	ds_load_2addr_b32 v[80:81], v42 offset0:32 offset1:48
	ds_load_b128 v[55:58], v41 offset:16
	ds_load_2addr_b32 v[86:87], v42 offset0:64 offset1:80
	ds_load_b128 v[59:62], v41 offset:32
	ds_load_b128 v[63:66], v41 offset:48
	ds_load_2addr_b32 v[88:89], v42 offset0:96 offset1:112
	ds_load_2addr_b32 v[90:91], v42 offset0:128 offset1:144
	ds_load_b128 v[67:70], v41 offset:2064
	ds_load_2addr_b32 v[92:93], v42 offset0:160 offset1:176
	ds_load_2addr_b32 v[94:95], v42 offset0:192 offset1:208
	;; [unrolled: 1-line block ×3, first 2 shown]
	v_add_nc_u32_e32 v98, 0x400, v42
	v_add_co_u32 v32, s5, v32, s12
	s_delay_alu instid0(VALU_DEP_1)
	v_add_co_ci_u32_e64 v33, s5, s13, v33, s5
	v_add_co_u32 v30, s5, v30, s10
	s_waitcnt lgkmcnt(11)
	v_dual_fmac_f32 v49, v79, v34 :: v_dual_fmac_f32 v48, v78, v51
	v_dual_fmac_f32 v50, v78, v34 :: v_dual_fmac_f32 v9, v79, v51
	v_add_nc_u32_e32 v99, 0x800, v42
	s_waitcnt lgkmcnt(10)
	s_delay_alu instid0(VALU_DEP_3)
	v_fmac_f32_e32 v49, v81, v35
	ds_load_b128 v[71:74], v41 offset:2080
	ds_load_b128 v[75:78], v41 offset:2096
	v_dual_fmac_f32 v50, v80, v35 :: v_dual_fmac_f32 v9, v81, v52
	v_fmac_f32_e32 v48, v80, v52
	s_waitcnt lgkmcnt(10)
	v_fmac_f32_e32 v49, v87, v36
	v_add_co_ci_u32_e64 v31, s5, s11, v31, s5
	v_dual_fmac_f32 v50, v86, v36 :: v_dual_fmac_f32 v9, v87, v53
	s_waitcnt lgkmcnt(7)
	s_delay_alu instid0(VALU_DEP_3)
	v_fmac_f32_e32 v49, v89, v37
	v_fmac_f32_e32 v48, v86, v53
	ds_load_b128 v[79:82], v41 offset:64
	ds_load_b128 v[83:86], v41 offset:80
	v_fmac_f32_e32 v50, v88, v37
	ds_load_2addr_b32 v[34:35], v98 offset1:16
	v_fmac_f32_e32 v9, v89, v54
	s_waitcnt lgkmcnt(9)
	v_dual_fmac_f32 v48, v88, v54 :: v_dual_fmac_f32 v49, v91, v55
	v_fmac_f32_e32 v50, v90, v55
	ds_load_2addr_b32 v[36:37], v98 offset0:32 offset1:48
	s_waitcnt lgkmcnt(9)
	v_fmac_f32_e32 v9, v91, v67
	s_waitcnt lgkmcnt(8)
	v_dual_fmac_f32 v48, v90, v67 :: v_dual_fmac_f32 v49, v93, v56
	v_fmac_f32_e32 v50, v92, v56
	ds_load_2addr_b32 v[51:52], v98 offset0:64 offset1:80
	v_fmac_f32_e32 v9, v93, v68
	s_waitcnt lgkmcnt(8)
	v_dual_fmac_f32 v48, v92, v68 :: v_dual_fmac_f32 v49, v95, v57
	v_fmac_f32_e32 v50, v94, v57
	ds_load_2addr_b32 v[53:54], v98 offset0:96 offset1:112
	;; [unrolled: 5-line block ×5, first 2 shown]
	v_fmac_f32_e32 v9, v37, v72
	ds_load_2addr_b32 v[67:68], v98 offset0:224 offset1:240
	v_add_co_u32 v28, s5, v28, s10
	s_waitcnt lgkmcnt(5)
	v_fmac_f32_e32 v50, v51, v61
	v_fmac_f32_e32 v49, v52, v61
	;; [unrolled: 1-line block ×3, first 2 shown]
	s_add_u32 s16, s16, 32
	v_add_co_ci_u32_e64 v29, s5, s11, v29, s5
	s_waitcnt lgkmcnt(4)
	v_fmac_f32_e32 v50, v53, v62
	v_dual_fmac_f32 v48, v36, v72 :: v_dual_fmac_f32 v49, v54, v62
	ds_load_2addr_b32 v[61:62], v99 offset1:16
	v_fmac_f32_e32 v9, v54, v74
	ds_load_b128 v[34:37], v41 offset:2112
	s_waitcnt lgkmcnt(5)
	v_dual_fmac_f32 v48, v51, v73 :: v_dual_fmac_f32 v49, v56, v63
	v_fmac_f32_e32 v50, v55, v63
	v_fmac_f32_e32 v9, v56, v75
	s_addc_u32 s17, s17, 0
	s_waitcnt lgkmcnt(4)
	v_dual_fmac_f32 v48, v53, v74 :: v_dual_fmac_f32 v49, v58, v64
	v_fmac_f32_e32 v50, v57, v64
	v_fmac_f32_e32 v9, v58, v76
	ds_load_b128 v[51:54], v41 offset:2128
	v_fmac_f32_e32 v48, v55, v75
	ds_load_2addr_b32 v[55:56], v99 offset0:32 offset1:48
	s_waitcnt lgkmcnt(5)
	v_fmac_f32_e32 v49, v60, v65
	v_fmac_f32_e32 v50, v59, v65
	v_dual_fmac_f32 v9, v60, v77 :: v_dual_fmac_f32 v48, v57, v76
	ds_load_2addr_b32 v[57:58], v99 offset0:64 offset1:80
	s_waitcnt lgkmcnt(5)
	v_fmac_f32_e32 v49, v68, v66
	v_fmac_f32_e32 v50, v67, v66
	v_dual_fmac_f32 v9, v68, v78 :: v_dual_fmac_f32 v48, v59, v77
	ds_load_2addr_b32 v[59:60], v99 offset0:96 offset1:112
	ds_load_2addr_b32 v[63:64], v99 offset0:128 offset1:144
	s_waitcnt lgkmcnt(5)
	v_dual_fmac_f32 v50, v61, v79 :: v_dual_fmac_f32 v9, v62, v34
	v_dual_fmac_f32 v48, v67, v78 :: v_dual_fmac_f32 v49, v62, v79
	ds_load_2addr_b32 v[65:66], v99 offset0:192 offset1:208
	ds_load_2addr_b32 v[67:68], v99 offset0:224 offset1:240
	s_sub_i32 s6, s16, 32
	v_fmac_f32_e32 v48, v61, v34
	s_waitcnt lgkmcnt(5)
	v_dual_fmac_f32 v50, v55, v80 :: v_dual_fmac_f32 v9, v56, v35
	v_fmac_f32_e32 v49, v56, v80
	ds_load_2addr_b32 v[61:62], v99 offset0:160 offset1:176
	v_fmac_f32_e32 v48, v55, v35
	s_waitcnt lgkmcnt(5)
	v_dual_fmac_f32 v50, v57, v81 :: v_dual_fmac_f32 v9, v58, v36
	v_fmac_f32_e32 v49, v58, v81
	s_cmp_ge_i32 s6, s20
	v_fmac_f32_e32 v48, v57, v36
	s_waitcnt lgkmcnt(4)
	v_dual_fmac_f32 v50, v59, v82 :: v_dual_fmac_f32 v9, v60, v37
	v_fmac_f32_e32 v49, v60, v82
	s_delay_alu instid0(VALU_DEP_3) | instskip(SKIP_1) | instid1(VALU_DEP_3)
	v_dual_fmac_f32 v48, v59, v37 :: v_dual_add_nc_u32 v73, 0xc00, v42
	s_waitcnt lgkmcnt(3)
	v_fmac_f32_e32 v50, v63, v83
	ds_load_2addr_b32 v[69:70], v73 offset1:16
	ds_load_b128 v[34:37], v41 offset:96
	v_fmac_f32_e32 v49, v64, v83
	ds_load_b128 v[55:58], v41 offset:2144
	ds_load_2addr_b32 v[71:72], v73 offset0:64 offset1:80
	s_waitcnt lgkmcnt(4)
	v_fmac_f32_e32 v50, v61, v84
	v_dual_fmac_f32 v48, v63, v51 :: v_dual_fmac_f32 v49, v62, v84
	v_fmac_f32_e32 v9, v64, v51
	ds_load_2addr_b32 v[63:64], v73 offset0:32 offset1:48
	v_fmac_f32_e32 v50, v65, v85
	v_dual_fmac_f32 v48, v61, v52 :: v_dual_fmac_f32 v49, v66, v85
	s_delay_alu instid0(VALU_DEP_2) | instskip(NEXT) | instid1(VALU_DEP_2)
	v_dual_fmac_f32 v9, v62, v52 :: v_dual_fmac_f32 v50, v67, v86
	v_dual_fmac_f32 v48, v65, v53 :: v_dual_fmac_f32 v49, v68, v86
	s_delay_alu instid0(VALU_DEP_2)
	v_fmac_f32_e32 v9, v66, v53
	ds_load_2addr_b32 v[65:66], v73 offset0:96 offset1:112
	v_fmac_f32_e32 v48, v67, v54
	v_fmac_f32_e32 v9, v68, v54
	ds_load_b128 v[51:54], v41 offset:112
	ds_load_2addr_b32 v[67:68], v73 offset0:128 offset1:144
	ds_load_b128 v[59:62], v41 offset:2160
	s_waitcnt lgkmcnt(6)
	v_fmac_f32_e32 v48, v69, v55
	v_dual_fmac_f32 v50, v69, v34 :: v_dual_fmac_f32 v9, v70, v55
	v_fmac_f32_e32 v49, v70, v34
	ds_load_2addr_b32 v[69:70], v73 offset0:160 offset1:176
	s_waitcnt lgkmcnt(5)
	v_fmac_f32_e32 v48, v63, v56
	v_dual_fmac_f32 v50, v63, v35 :: v_dual_fmac_f32 v9, v64, v56
	v_fmac_f32_e32 v49, v64, v35
	ds_load_2addr_b32 v[34:35], v73 offset0:192 offset1:208
	v_fmac_f32_e32 v48, v71, v57
	v_dual_fmac_f32 v50, v71, v36 :: v_dual_fmac_f32 v9, v72, v57
	v_fmac_f32_e32 v49, v72, v36
	ds_load_2addr_b32 v[55:56], v73 offset0:224 offset1:240
	s_waitcnt lgkmcnt(6)
	v_fmac_f32_e32 v48, v65, v58
	v_dual_fmac_f32 v50, v65, v37 :: v_dual_fmac_f32 v9, v66, v58
	v_fmac_f32_e32 v49, v66, v37
	s_waitcnt lgkmcnt(0)
	s_barrier
	s_delay_alu instid0(VALU_DEP_2) | instskip(SKIP_2) | instid1(VALU_DEP_1)
	v_fmac_f32_e32 v50, v67, v51
	buffer_gl0_inv
	v_dual_fmac_f32 v49, v68, v51 :: v_dual_fmac_f32 v50, v69, v52
	v_dual_fmac_f32 v48, v67, v59 :: v_dual_fmac_f32 v49, v70, v52
	s_delay_alu instid0(VALU_DEP_1) | instskip(NEXT) | instid1(VALU_DEP_2)
	v_dual_fmac_f32 v9, v68, v59 :: v_dual_fmac_f32 v48, v69, v60
	v_fmac_f32_e32 v49, v35, v53
	s_delay_alu instid0(VALU_DEP_1) | instskip(NEXT) | instid1(VALU_DEP_1)
	v_dual_fmac_f32 v50, v34, v53 :: v_dual_fmac_f32 v49, v56, v54
	v_dual_fmac_f32 v9, v70, v60 :: v_dual_fmac_f32 v50, v55, v54
	s_delay_alu instid0(VALU_DEP_1) | instskip(NEXT) | instid1(VALU_DEP_1)
	v_fmac_f32_e32 v9, v35, v61
	v_dual_fmac_f32 v48, v34, v61 :: v_dual_fmac_f32 v9, v56, v62
	s_delay_alu instid0(VALU_DEP_1)
	v_fmac_f32_e32 v48, v55, v62
	s_cbranch_scc1 .LBB20_55
.LBB20_7:                               ;   Parent Loop BB20_4 Depth=1
                                        ; =>  This Inner Loop Header: Depth=2
	v_add_co_u32 v34, s5, v38, s16
	s_delay_alu instid0(VALU_DEP_1) | instskip(SKIP_1) | instid1(VALU_DEP_2)
	v_add_co_ci_u32_e64 v35, null, 0, s17, s5
	v_cmp_eq_u64_e64 s6, s[16:17], v[20:21]
	v_cmp_gt_i64_e64 s5, v[34:35], v[16:17]
	s_delay_alu instid0(VALU_DEP_2) | instskip(SKIP_1) | instid1(VALU_DEP_2)
	s_and_b32 s24, s42, s6
	v_cmp_le_i64_e64 s6, s[18:19], v[34:35]
	s_or_b32 s7, s3, s5
	s_delay_alu instid0(SALU_CYCLE_1) | instskip(SKIP_1) | instid1(VALU_DEP_1)
	s_or_b32 s8, s7, s24
	v_add_co_u32 v36, s7, v28, v22
	v_add_co_ci_u32_e64 v37, s7, v29, v23, s7
	s_delay_alu instid0(VALU_DEP_3) | instskip(NEXT) | instid1(SALU_CYCLE_1)
	s_or_b32 s7, s6, s8
	s_xor_b32 s7, s7, -1
	s_delay_alu instid0(SALU_CYCLE_1) | instskip(NEXT) | instid1(SALU_CYCLE_1)
	s_and_saveexec_b32 s8, s7
	s_xor_b32 s7, exec_lo, s8
	s_cbranch_execz .LBB20_9
; %bb.8:                                ;   in Loop: Header=BB20_7 Depth=2
	global_load_b32 v51, v[36:37], off
	s_waitcnt vmcnt(0)
	ds_store_b32 v43, v51
.LBB20_9:                               ;   in Loop: Header=BB20_7 Depth=2
	s_or_saveexec_b32 s7, s7
	s_xor_b32 s21, s24, -1
	s_xor_b32 exec_lo, exec_lo, s7
	s_cbranch_execz .LBB20_15
; %bb.10:                               ;   in Loop: Header=BB20_7 Depth=2
	s_and_saveexec_b32 s8, s21
	s_delay_alu instid0(SALU_CYCLE_1)
	s_xor_b32 s8, exec_lo, s8
	s_cbranch_execz .LBB20_12
; %bb.11:                               ;   in Loop: Header=BB20_7 Depth=2
	ds_store_b32 v43, v40
.LBB20_12:                              ;   in Loop: Header=BB20_7 Depth=2
	s_and_not1_saveexec_b32 s8, s8
	s_cbranch_execz .LBB20_14
; %bb.13:                               ;   in Loop: Header=BB20_7 Depth=2
	ds_store_b32 v43, v47
.LBB20_14:                              ;   in Loop: Header=BB20_7 Depth=2
	s_or_b32 exec_lo, exec_lo, s8
.LBB20_15:                              ;   in Loop: Header=BB20_7 Depth=2
	s_delay_alu instid0(SALU_CYCLE_1) | instskip(SKIP_1) | instid1(VALU_DEP_1)
	s_or_b32 exec_lo, exec_lo, s7
	v_add_co_u32 v51, s7, v34, 16
	v_add_co_ci_u32_e64 v52, s7, 0, v35, s7
	v_cmp_eq_u64_e64 s8, s[16:17], v[26:27]
	s_delay_alu instid0(VALU_DEP_2) | instskip(SKIP_1) | instid1(VALU_DEP_3)
	v_cmp_gt_i64_e64 s9, v[51:52], v[16:17]
	v_cmp_le_i64_e64 s7, s[18:19], v[51:52]
	s_and_b32 s25, s42, s8
	s_delay_alu instid0(VALU_DEP_2) | instskip(NEXT) | instid1(SALU_CYCLE_1)
	s_or_b32 s8, s3, s9
	s_or_b32 s8, s8, s25
	s_delay_alu instid0(VALU_DEP_1) | instid1(SALU_CYCLE_1)
	s_or_b32 s8, s7, s8
	s_delay_alu instid0(SALU_CYCLE_1) | instskip(NEXT) | instid1(SALU_CYCLE_1)
	s_xor_b32 s8, s8, -1
	s_and_saveexec_b32 s9, s8
	s_delay_alu instid0(SALU_CYCLE_1)
	s_xor_b32 s9, exec_lo, s9
	s_cbranch_execz .LBB20_17
; %bb.16:                               ;   in Loop: Header=BB20_7 Depth=2
	v_add_co_u32 v51, s8, v30, v22
	s_delay_alu instid0(VALU_DEP_1)
	v_add_co_ci_u32_e64 v52, s8, v31, v23, s8
	global_load_b32 v51, v[51:52], off
	s_waitcnt vmcnt(0)
	ds_store_b32 v43, v51 offset:64
.LBB20_17:                              ;   in Loop: Header=BB20_7 Depth=2
	s_and_not1_saveexec_b32 s8, s9
	s_cbranch_execz .LBB20_23
; %bb.18:                               ;   in Loop: Header=BB20_7 Depth=2
	s_xor_b32 s9, s25, -1
	s_delay_alu instid0(SALU_CYCLE_1) | instskip(NEXT) | instid1(SALU_CYCLE_1)
	s_and_saveexec_b32 s25, s9
	s_xor_b32 s9, exec_lo, s25
	s_cbranch_execz .LBB20_20
; %bb.19:                               ;   in Loop: Header=BB20_7 Depth=2
	ds_store_b32 v43, v40 offset:64
.LBB20_20:                              ;   in Loop: Header=BB20_7 Depth=2
	s_and_not1_saveexec_b32 s9, s9
	s_cbranch_execz .LBB20_22
; %bb.21:                               ;   in Loop: Header=BB20_7 Depth=2
	ds_store_b32 v43, v47 offset:64
.LBB20_22:                              ;   in Loop: Header=BB20_7 Depth=2
	s_or_b32 exec_lo, exec_lo, s9
.LBB20_23:                              ;   in Loop: Header=BB20_7 Depth=2
	s_delay_alu instid0(SALU_CYCLE_1) | instskip(SKIP_2) | instid1(VALU_DEP_2)
	s_or_b32 exec_lo, exec_lo, s8
	v_cmp_eq_u64_e64 s8, s[16:17], v[24:25]
	v_cmp_gt_i64_e64 s9, v[34:35], v[18:19]
	s_and_b32 s8, s42, s8
	s_delay_alu instid0(VALU_DEP_1) | instskip(NEXT) | instid1(SALU_CYCLE_1)
	s_or_b32 s9, s4, s9
	s_or_b32 s9, s9, s8
	s_delay_alu instid0(SALU_CYCLE_1) | instskip(NEXT) | instid1(SALU_CYCLE_1)
	s_or_b32 s6, s6, s9
	s_xor_b32 s6, s6, -1
	s_delay_alu instid0(SALU_CYCLE_1) | instskip(NEXT) | instid1(SALU_CYCLE_1)
	s_and_saveexec_b32 s9, s6
	s_xor_b32 s6, exec_lo, s9
	s_cbranch_execz .LBB20_25
; %bb.24:                               ;   in Loop: Header=BB20_7 Depth=2
	global_load_b32 v34, v[36:37], off offset:64
	s_waitcnt vmcnt(0)
	ds_store_b32 v43, v34 offset:2048
.LBB20_25:                              ;   in Loop: Header=BB20_7 Depth=2
	s_and_not1_saveexec_b32 s6, s6
	s_cbranch_execz .LBB20_31
; %bb.26:                               ;   in Loop: Header=BB20_7 Depth=2
	s_xor_b32 s8, s8, -1
	s_delay_alu instid0(SALU_CYCLE_1) | instskip(NEXT) | instid1(SALU_CYCLE_1)
	s_and_saveexec_b32 s9, s8
	s_xor_b32 s8, exec_lo, s9
	s_cbranch_execz .LBB20_28
; %bb.27:                               ;   in Loop: Header=BB20_7 Depth=2
	ds_store_b32 v43, v40 offset:2048
.LBB20_28:                              ;   in Loop: Header=BB20_7 Depth=2
	s_and_not1_saveexec_b32 s8, s8
	s_cbranch_execz .LBB20_30
; %bb.29:                               ;   in Loop: Header=BB20_7 Depth=2
	ds_store_b32 v43, v47 offset:2048
.LBB20_30:                              ;   in Loop: Header=BB20_7 Depth=2
	s_or_b32 exec_lo, exec_lo, s8
.LBB20_31:                              ;   in Loop: Header=BB20_7 Depth=2
	s_delay_alu instid0(SALU_CYCLE_1) | instskip(SKIP_1) | instid1(SALU_CYCLE_1)
	s_or_b32 exec_lo, exec_lo, s6
	s_or_b32 s5, s4, s5
	s_or_b32 s5, s5, s24
	s_delay_alu instid0(SALU_CYCLE_1) | instskip(NEXT) | instid1(SALU_CYCLE_1)
	s_or_b32 s5, s7, s5
	s_xor_b32 s5, s5, -1
	s_delay_alu instid0(SALU_CYCLE_1) | instskip(NEXT) | instid1(SALU_CYCLE_1)
	s_and_saveexec_b32 s6, s5
	s_xor_b32 s6, exec_lo, s6
	s_cbranch_execz .LBB20_33
; %bb.32:                               ;   in Loop: Header=BB20_7 Depth=2
	v_add_co_u32 v34, s5, v30, v22
	s_delay_alu instid0(VALU_DEP_1)
	v_add_co_ci_u32_e64 v35, s5, v31, v23, s5
	global_load_b32 v34, v[34:35], off offset:64
	s_waitcnt vmcnt(0)
	ds_store_b32 v43, v34 offset:2112
.LBB20_33:                              ;   in Loop: Header=BB20_7 Depth=2
	s_and_not1_saveexec_b32 s5, s6
	s_cbranch_execz .LBB20_39
; %bb.34:                               ;   in Loop: Header=BB20_7 Depth=2
	s_and_saveexec_b32 s6, s21
	s_delay_alu instid0(SALU_CYCLE_1)
	s_xor_b32 s6, exec_lo, s6
	s_cbranch_execz .LBB20_36
; %bb.35:                               ;   in Loop: Header=BB20_7 Depth=2
	ds_store_b32 v43, v40 offset:2112
.LBB20_36:                              ;   in Loop: Header=BB20_7 Depth=2
	s_and_not1_saveexec_b32 s6, s6
	s_cbranch_execz .LBB20_38
; %bb.37:                               ;   in Loop: Header=BB20_7 Depth=2
	ds_store_b32 v43, v47 offset:2112
.LBB20_38:                              ;   in Loop: Header=BB20_7 Depth=2
	s_or_b32 exec_lo, exec_lo, s6
.LBB20_39:                              ;   in Loop: Header=BB20_7 Depth=2
	s_delay_alu instid0(SALU_CYCLE_1) | instskip(SKIP_1) | instid1(VALU_DEP_1)
	s_or_b32 exec_lo, exec_lo, s5
	v_add_co_u32 v34, s5, v39, s16
	v_add_co_ci_u32_e64 v35, null, 0, s17, s5
	v_add_co_u32 v36, s6, v32, v12
	s_delay_alu instid0(VALU_DEP_1) | instskip(NEXT) | instid1(VALU_DEP_3)
	v_add_co_ci_u32_e64 v37, s6, v33, v13, s6
	v_cmp_le_i64_e64 s5, s[18:19], v[34:35]
	s_delay_alu instid0(VALU_DEP_1) | instskip(NEXT) | instid1(SALU_CYCLE_1)
	s_or_b32 s6, s5, vcc_lo
	s_xor_b32 s6, s6, -1
	s_delay_alu instid0(SALU_CYCLE_1) | instskip(NEXT) | instid1(SALU_CYCLE_1)
	s_and_saveexec_b32 s7, s6
	s_xor_b32 s6, exec_lo, s7
	s_cbranch_execz .LBB20_41
; %bb.40:                               ;   in Loop: Header=BB20_7 Depth=2
	global_load_b32 v51, v[36:37], off offset:-64
	s_waitcnt vmcnt(0)
	ds_store_b32 v44, v51
.LBB20_41:                              ;   in Loop: Header=BB20_7 Depth=2
	s_and_not1_saveexec_b32 s6, s6
	s_cbranch_execz .LBB20_43
; %bb.42:                               ;   in Loop: Header=BB20_7 Depth=2
	ds_store_b32 v44, v40
.LBB20_43:                              ;   in Loop: Header=BB20_7 Depth=2
	s_or_b32 exec_lo, exec_lo, s6
	s_or_b32 s5, s5, s0
	s_delay_alu instid0(SALU_CYCLE_1) | instskip(NEXT) | instid1(SALU_CYCLE_1)
	s_xor_b32 s5, s5, -1
	s_and_saveexec_b32 s6, s5
	s_delay_alu instid0(SALU_CYCLE_1)
	s_xor_b32 s5, exec_lo, s6
	s_cbranch_execz .LBB20_45
; %bb.44:                               ;   in Loop: Header=BB20_7 Depth=2
	global_load_b32 v36, v[36:37], off
	s_waitcnt vmcnt(0)
	ds_store_b32 v44, v36 offset:64
.LBB20_45:                              ;   in Loop: Header=BB20_7 Depth=2
	s_and_not1_saveexec_b32 s5, s5
	s_cbranch_execz .LBB20_47
; %bb.46:                               ;   in Loop: Header=BB20_7 Depth=2
	ds_store_b32 v44, v40 offset:64
.LBB20_47:                              ;   in Loop: Header=BB20_7 Depth=2
	s_or_b32 exec_lo, exec_lo, s5
	v_cmp_le_i64_e64 s5, s[22:23], v[34:35]
	s_delay_alu instid0(VALU_DEP_1) | instskip(NEXT) | instid1(SALU_CYCLE_1)
	s_or_b32 s6, s5, vcc_lo
	s_xor_b32 s6, s6, -1
	s_delay_alu instid0(SALU_CYCLE_1) | instskip(NEXT) | instid1(SALU_CYCLE_1)
	s_and_saveexec_b32 s7, s6
	s_xor_b32 s7, exec_lo, s7
	s_cbranch_execz .LBB20_49
; %bb.48:                               ;   in Loop: Header=BB20_7 Depth=2
	v_add_co_u32 v34, s6, v32, v6
	s_delay_alu instid0(VALU_DEP_1)
	v_add_co_ci_u32_e64 v35, s6, v33, v7, s6
	global_load_b32 v34, v[34:35], off offset:-64
	s_waitcnt vmcnt(0)
	ds_store_b32 v44, v34 offset:2048
.LBB20_49:                              ;   in Loop: Header=BB20_7 Depth=2
	s_and_not1_saveexec_b32 s6, s7
	s_cbranch_execz .LBB20_51
; %bb.50:                               ;   in Loop: Header=BB20_7 Depth=2
	ds_store_b32 v44, v40 offset:2048
.LBB20_51:                              ;   in Loop: Header=BB20_7 Depth=2
	s_or_b32 exec_lo, exec_lo, s6
	s_or_b32 s5, s5, s0
	s_delay_alu instid0(SALU_CYCLE_1) | instskip(NEXT) | instid1(SALU_CYCLE_1)
	s_xor_b32 s5, s5, -1
	s_and_saveexec_b32 s6, s5
	s_delay_alu instid0(SALU_CYCLE_1)
	s_xor_b32 s6, exec_lo, s6
	s_cbranch_execz .LBB20_53
; %bb.52:                               ;   in Loop: Header=BB20_7 Depth=2
	v_add_co_u32 v34, s5, v32, v6
	s_delay_alu instid0(VALU_DEP_1)
	v_add_co_ci_u32_e64 v35, s5, v33, v7, s5
	global_load_b32 v34, v[34:35], off
	s_waitcnt vmcnt(0)
	ds_store_b32 v44, v34 offset:2112
.LBB20_53:                              ;   in Loop: Header=BB20_7 Depth=2
	s_and_not1_saveexec_b32 s5, s6
	s_cbranch_execz .LBB20_6
; %bb.54:                               ;   in Loop: Header=BB20_7 Depth=2
	ds_store_b32 v44, v40 offset:2112
	s_branch .LBB20_6
.LBB20_55:                              ;   in Loop: Header=BB20_4 Depth=1
	s_delay_alu instid0(VALU_DEP_1) | instskip(SKIP_3) | instid1(VALU_DEP_2)
	v_mul_lo_u32 v19, v17, s36
	v_mul_lo_u32 v20, v16, s37
	v_mad_u64_u32 v[17:18], null, v16, s36, 0
	v_cmp_gt_i32_e64 s3, s18, v16
	v_add3_u32 v18, v18, v20, v19
	s_delay_alu instid0(VALU_DEP_1) | instskip(NEXT) | instid1(VALU_DEP_1)
	v_lshlrev_b64 v[17:18], 2, v[17:18]
	v_add_co_u32 v17, s4, s38, v17
	s_delay_alu instid0(VALU_DEP_1) | instskip(SKIP_1) | instid1(SALU_CYCLE_1)
	v_add_co_ci_u32_e64 v18, s4, s39, v18, s4
	s_and_b32 s4, s1, s3
	s_and_saveexec_b32 s5, s4
	s_cbranch_execz .LBB20_57
; %bb.56:                               ;   in Loop: Header=BB20_4 Depth=1
	v_add_co_u32 v19, s4, v17, v10
	s_delay_alu instid0(VALU_DEP_1)
	v_add_co_ci_u32_e64 v20, s4, v18, v11, s4
	global_load_b32 v21, v[19:20], off
	s_waitcnt vmcnt(0)
	v_fmac_f32_e32 v21, s33, v50
	global_store_b32 v[19:20], v21, off
.LBB20_57:                              ;   in Loop: Header=BB20_4 Depth=1
	s_or_b32 exec_lo, exec_lo, s5
	s_and_b32 s3, s2, s3
	s_delay_alu instid0(SALU_CYCLE_1)
	s_and_saveexec_b32 s4, s3
	s_cbranch_execz .LBB20_59
; %bb.58:                               ;   in Loop: Header=BB20_4 Depth=1
	v_lshlrev_b64 v[19:20], 2, v[2:3]
	s_delay_alu instid0(VALU_DEP_1) | instskip(NEXT) | instid1(VALU_DEP_1)
	v_add_co_u32 v17, s3, v17, v19
	v_add_co_ci_u32_e64 v18, s3, v18, v20, s3
	global_load_b32 v19, v[17:18], off
	s_waitcnt vmcnt(0)
	v_fmac_f32_e32 v19, s33, v49
	global_store_b32 v[17:18], v19, off
.LBB20_59:                              ;   in Loop: Header=BB20_4 Depth=1
	s_or_b32 exec_lo, exec_lo, s4
	v_add_nc_u32_e32 v18, 16, v16
	s_delay_alu instid0(VALU_DEP_1) | instskip(SKIP_3) | instid1(VALU_DEP_4)
	v_ashrrev_i32_e32 v19, 31, v18
	v_mul_lo_u32 v20, v18, s37
	v_mad_u64_u32 v[16:17], null, v18, s36, 0
	v_cmp_gt_i32_e64 s3, s18, v18
	v_mul_lo_u32 v19, v19, s36
	s_delay_alu instid0(VALU_DEP_1) | instskip(NEXT) | instid1(VALU_DEP_1)
	v_add3_u32 v17, v17, v20, v19
	v_lshlrev_b64 v[16:17], 2, v[16:17]
	s_delay_alu instid0(VALU_DEP_1) | instskip(NEXT) | instid1(VALU_DEP_1)
	v_add_co_u32 v16, s4, s38, v16
	v_add_co_ci_u32_e64 v17, s4, s39, v17, s4
	s_and_b32 s4, s1, s3
	s_delay_alu instid0(SALU_CYCLE_1)
	s_and_saveexec_b32 s5, s4
	s_cbranch_execz .LBB20_61
; %bb.60:                               ;   in Loop: Header=BB20_4 Depth=1
	v_add_co_u32 v18, s4, v16, v10
	s_delay_alu instid0(VALU_DEP_1)
	v_add_co_ci_u32_e64 v19, s4, v17, v11, s4
	global_load_b32 v20, v[18:19], off
	s_waitcnt vmcnt(0)
	v_fmac_f32_e32 v20, s33, v48
	global_store_b32 v[18:19], v20, off
.LBB20_61:                              ;   in Loop: Header=BB20_4 Depth=1
	s_or_b32 exec_lo, exec_lo, s5
	s_and_b32 s3, s2, s3
	s_delay_alu instid0(SALU_CYCLE_1)
	s_and_saveexec_b32 s4, s3
	s_cbranch_execz .LBB20_3
; %bb.62:                               ;   in Loop: Header=BB20_4 Depth=1
	v_lshlrev_b64 v[18:19], 2, v[2:3]
	s_delay_alu instid0(VALU_DEP_1) | instskip(NEXT) | instid1(VALU_DEP_1)
	v_add_co_u32 v16, s3, v16, v18
	v_add_co_ci_u32_e64 v17, s3, v17, v19, s3
	global_load_b32 v18, v[16:17], off
	s_waitcnt vmcnt(0)
	v_fmac_f32_e32 v18, s33, v9
	global_store_b32 v[16:17], v18, off
	s_branch .LBB20_3
.LBB20_63:
	s_nop 0
	s_sendmsg sendmsg(MSG_DEALLOC_VGPRS)
	s_endpgm
	.section	.rodata,"a",@progbits
	.p2align	6, 0x0
	.amdhsa_kernel _ZL30rocblas_trmm_outofplace_kernelIfLi32ELi2ELb0ELb0ELb1ELb1EPKfS0_fEv17rocblas_diagonal_iiT6_lPT7_lllS5_lllPT8_llli
		.amdhsa_group_segment_fixed_size 8192
		.amdhsa_private_segment_fixed_size 0
		.amdhsa_kernarg_size 392
		.amdhsa_user_sgpr_count 13
		.amdhsa_user_sgpr_dispatch_ptr 0
		.amdhsa_user_sgpr_queue_ptr 0
		.amdhsa_user_sgpr_kernarg_segment_ptr 1
		.amdhsa_user_sgpr_dispatch_id 0
		.amdhsa_user_sgpr_private_segment_size 0
		.amdhsa_wavefront_size32 1
		.amdhsa_uses_dynamic_stack 0
		.amdhsa_enable_private_segment 0
		.amdhsa_system_sgpr_workgroup_id_x 1
		.amdhsa_system_sgpr_workgroup_id_y 1
		.amdhsa_system_sgpr_workgroup_id_z 1
		.amdhsa_system_sgpr_workgroup_info 0
		.amdhsa_system_vgpr_workitem_id 1
		.amdhsa_next_free_vgpr 100
		.amdhsa_next_free_sgpr 43
		.amdhsa_reserve_vcc 1
		.amdhsa_float_round_mode_32 0
		.amdhsa_float_round_mode_16_64 0
		.amdhsa_float_denorm_mode_32 3
		.amdhsa_float_denorm_mode_16_64 3
		.amdhsa_dx10_clamp 1
		.amdhsa_ieee_mode 1
		.amdhsa_fp16_overflow 0
		.amdhsa_workgroup_processor_mode 1
		.amdhsa_memory_ordered 1
		.amdhsa_forward_progress 0
		.amdhsa_shared_vgpr_count 0
		.amdhsa_exception_fp_ieee_invalid_op 0
		.amdhsa_exception_fp_denorm_src 0
		.amdhsa_exception_fp_ieee_div_zero 0
		.amdhsa_exception_fp_ieee_overflow 0
		.amdhsa_exception_fp_ieee_underflow 0
		.amdhsa_exception_fp_ieee_inexact 0
		.amdhsa_exception_int_div_zero 0
	.end_amdhsa_kernel
	.section	.text._ZL30rocblas_trmm_outofplace_kernelIfLi32ELi2ELb0ELb0ELb1ELb1EPKfS0_fEv17rocblas_diagonal_iiT6_lPT7_lllS5_lllPT8_llli,"axG",@progbits,_ZL30rocblas_trmm_outofplace_kernelIfLi32ELi2ELb0ELb0ELb1ELb1EPKfS0_fEv17rocblas_diagonal_iiT6_lPT7_lllS5_lllPT8_llli,comdat
.Lfunc_end20:
	.size	_ZL30rocblas_trmm_outofplace_kernelIfLi32ELi2ELb0ELb0ELb1ELb1EPKfS0_fEv17rocblas_diagonal_iiT6_lPT7_lllS5_lllPT8_llli, .Lfunc_end20-_ZL30rocblas_trmm_outofplace_kernelIfLi32ELi2ELb0ELb0ELb1ELb1EPKfS0_fEv17rocblas_diagonal_iiT6_lPT7_lllS5_lllPT8_llli
                                        ; -- End function
	.section	.AMDGPU.csdata,"",@progbits
; Kernel info:
; codeLenInByte = 3504
; NumSgprs: 45
; NumVgprs: 100
; ScratchSize: 0
; MemoryBound: 0
; FloatMode: 240
; IeeeMode: 1
; LDSByteSize: 8192 bytes/workgroup (compile time only)
; SGPRBlocks: 5
; VGPRBlocks: 12
; NumSGPRsForWavesPerEU: 45
; NumVGPRsForWavesPerEU: 100
; Occupancy: 12
; WaveLimiterHint : 0
; COMPUTE_PGM_RSRC2:SCRATCH_EN: 0
; COMPUTE_PGM_RSRC2:USER_SGPR: 13
; COMPUTE_PGM_RSRC2:TRAP_HANDLER: 0
; COMPUTE_PGM_RSRC2:TGID_X_EN: 1
; COMPUTE_PGM_RSRC2:TGID_Y_EN: 1
; COMPUTE_PGM_RSRC2:TGID_Z_EN: 1
; COMPUTE_PGM_RSRC2:TIDIG_COMP_CNT: 1
	.section	.text._ZL30rocblas_trmm_outofplace_kernelIfLi32ELi2ELb0ELb0ELb1ELb1EfKffEv17rocblas_diagonal_iiT6_lPT7_lllS4_lllPT8_llli,"axG",@progbits,_ZL30rocblas_trmm_outofplace_kernelIfLi32ELi2ELb0ELb0ELb1ELb1EfKffEv17rocblas_diagonal_iiT6_lPT7_lllS4_lllPT8_llli,comdat
	.globl	_ZL30rocblas_trmm_outofplace_kernelIfLi32ELi2ELb0ELb0ELb1ELb1EfKffEv17rocblas_diagonal_iiT6_lPT7_lllS4_lllPT8_llli ; -- Begin function _ZL30rocblas_trmm_outofplace_kernelIfLi32ELi2ELb0ELb0ELb1ELb1EfKffEv17rocblas_diagonal_iiT6_lPT7_lllS4_lllPT8_llli
	.p2align	8
	.type	_ZL30rocblas_trmm_outofplace_kernelIfLi32ELi2ELb0ELb0ELb1ELb1EfKffEv17rocblas_diagonal_iiT6_lPT7_lllS4_lllPT8_llli,@function
_ZL30rocblas_trmm_outofplace_kernelIfLi32ELi2ELb0ELb0ELb1ELb1EfKffEv17rocblas_diagonal_iiT6_lPT7_lllS4_lllPT8_llli: ; @_ZL30rocblas_trmm_outofplace_kernelIfLi32ELi2ELb0ELb0ELb1ELb1EfKffEv17rocblas_diagonal_iiT6_lPT7_lllS4_lllPT8_llli
; %bb.0:
	s_load_b128 s[8:11], s[0:1], 0x0
	s_waitcnt lgkmcnt(0)
	v_cmp_eq_f32_e64 s2, s11, 0
	s_delay_alu instid0(VALU_DEP_1)
	s_and_b32 vcc_lo, exec_lo, s2
	s_cbranch_vccnz .LBB21_63
; %bb.1:
	s_add_i32 s2, s10, -1
	s_delay_alu instid0(SALU_CYCLE_1) | instskip(NEXT) | instid1(SALU_CYCLE_1)
	s_ashr_i32 s3, s2, 31
	s_lshr_b32 s3, s3, 27
	s_delay_alu instid0(SALU_CYCLE_1) | instskip(NEXT) | instid1(SALU_CYCLE_1)
	s_add_i32 s2, s2, s3
	s_ashr_i32 s33, s2, 5
	s_delay_alu instid0(SALU_CYCLE_1)
	s_cmp_gt_i32 s14, s33
	s_cbranch_scc1 .LBB21_63
; %bb.2:
	s_clause 0x1
	s_load_b512 s[16:31], s[0:1], 0x18
	s_load_b256 s[36:43], s[0:1], 0x58
	v_and_b32_e32 v38, 0x3ff, v0
	v_bfe_u32 v39, v0, 10, 10
	s_load_b32 s44, s[0:1], 0x84
	v_mov_b32_e32 v47, 1.0
	s_delay_alu instid0(VALU_DEP_2)
	v_lshl_add_u32 v15, v39, 2, 64
	v_lshl_add_u32 v8, s14, 5, v39
	s_waitcnt lgkmcnt(0)
	v_mad_u64_u32 v[0:1], null, v38, s20, 0
	s_mul_i32 s1, s15, s23
	s_mul_hi_u32 s2, s15, s22
	s_mul_i32 s0, s15, s22
	s_add_i32 s1, s2, s1
	s_mul_i32 s3, s15, s43
	s_lshl_b64 s[4:5], s[0:1], 2
	s_delay_alu instid0(VALU_DEP_1)
	v_mad_u64_u32 v[2:3], null, v38, s21, v[1:2]
	s_add_u32 s1, s16, s4
	s_addc_u32 s12, s17, s5
	s_lshl_b64 s[6:7], s[18:19], 2
	s_mul_hi_u32 s2, s15, s42
	s_add_u32 s34, s1, s6
	s_mul_i32 s0, s15, s42
	s_delay_alu instid0(VALU_DEP_1)
	v_mov_b32_e32 v1, v2
	s_addc_u32 s12, s12, s7
	s_add_i32 s1, s2, s3
	v_lshl_add_u32 v9, s13, 5, v38
	s_lshl_b64 s[0:1], s[0:1], 2
	v_lshlrev_b64 v[0:1], 2, v[0:1]
	s_add_u32 s2, s36, s0
	s_addc_u32 s3, s37, s1
	s_lshl_b64 s[0:1], s[38:39], 2
	v_ashrrev_i32_e32 v10, 31, v9
	s_add_u32 s36, s2, s0
	s_addc_u32 s37, s3, s1
	s_cmpk_eq_i32 s8, 0x84
	v_sub_co_u32 v2, vcc_lo, s9, v9
	s_cselect_b32 s38, -1, 0
	s_ashr_i32 s0, s9, 31
	v_mad_u64_u32 v[12:13], null, s28, v39, 0
	v_sub_co_ci_u32_e32 v3, vcc_lo, s0, v10, vcc_lo
	v_add_co_u32 v0, vcc_lo, s34, v0
	v_add_co_ci_u32_e32 v1, vcc_lo, s12, v1, vcc_lo
	s_delay_alu instid0(VALU_DEP_3)
	v_cmp_gt_i64_e32 vcc_lo, 1, v[2:3]
	v_cmp_gt_i64_e64 s0, 17, v[2:3]
	v_add_nc_u32_e32 v2, 16, v9
	s_ashr_i32 s13, s10, 31
	s_lshl_b64 s[18:19], s[20:21], 7
	s_lshl_b64 s[22:23], s[28:29], 7
	s_mul_i32 s3, s31, s15
	s_mul_hi_u32 s8, s30, s15
	s_add_u32 s34, s10, -16
	s_addc_u32 s35, s13, -1
	v_cmp_gt_i32_e64 s1, s9, v9
	v_cmp_gt_i32_e64 s2, s9, v2
	s_add_i32 s9, s8, s3
	s_mul_i32 s8, s30, s15
	v_dual_mov_b32 v40, 0 :: v_dual_lshlrev_b32 v5, 2, v38
	v_dual_mov_b32 v4, v13 :: v_dual_lshlrev_b32 v41, 7, v39
	s_lshl_b64 s[8:9], s[8:9], 2
	s_lshl_b64 s[26:27], s[26:27], 2
	s_lshl_b32 s15, s44, 5
	s_add_u32 s3, s8, s26
	s_addc_u32 s8, s9, s27
	s_add_u32 s3, s24, s3
	v_mad_u64_u32 v[13:14], null, s29, v39, v[4:5]
	s_addc_u32 s8, s25, s8
	v_add_nc_u32_e32 v14, 64, v5
	s_add_u32 s6, s16, s6
	s_addc_u32 s7, s17, s7
	s_add_u32 s4, s6, s4
	s_addc_u32 s5, s7, s5
	v_add_nc_u32_e32 v42, v41, v5
	v_or_b32_e32 v43, 0x1000, v5
	v_mad_u64_u32 v[4:5], null, s20, v14, s[4:5]
	v_mad_u64_u32 v[6:7], null, s28, v15, 0
	v_lshlrev_b64 v[10:11], 2, v[9:10]
	v_sub_co_u32 v45, s4, 0, v38
	v_lshlrev_b64 v[12:13], 2, v[12:13]
	v_ashrrev_i32_e32 v3, 31, v2
	v_sub_co_ci_u32_e64 v46, null, 0, 0, s4
	v_mad_u64_u32 v[16:17], null, s21, v14, v[5:6]
	v_mad_u64_u32 v[17:18], null, s29, v15, v[7:8]
	v_add_co_u32 v5, s3, s3, v10
	s_delay_alu instid0(VALU_DEP_1) | instskip(SKIP_1) | instid1(VALU_DEP_3)
	v_add_co_ci_u32_e64 v7, s3, s8, v11, s3
	v_add_nc_u32_e32 v44, v43, v41
	v_add_co_u32 v14, s3, v5, 64
	s_delay_alu instid0(VALU_DEP_1)
	v_add_co_ci_u32_e64 v15, s3, 0, v7, s3
	v_mov_b32_e32 v7, v17
	v_mov_b32_e32 v5, v16
	s_mov_b32 s12, s10
	s_branch .LBB21_4
.LBB21_3:                               ;   in Loop: Header=BB21_4 Depth=1
	s_or_b32 exec_lo, exec_lo, s4
	v_add_nc_u32_e32 v8, s15, v8
	s_add_i32 s14, s44, s14
	s_delay_alu instid0(SALU_CYCLE_1)
	s_cmp_le_i32 s14, s33
	s_cbranch_scc0 .LBB21_63
.LBB21_4:                               ; =>This Loop Header: Depth=1
                                        ;     Child Loop BB21_7 Depth 2
	s_lshl_b32 s20, s14, 5
	v_dual_mov_b32 v50, 0 :: v_dual_mov_b32 v9, 0
	v_dual_mov_b32 v49, 0 :: v_dual_add_nc_u32 v16, s20, v39
	v_mov_b32_e32 v48, 0
	s_cmp_lt_i32 s14, 0
	s_delay_alu instid0(VALU_DEP_2)
	v_ashrrev_i32_e32 v17, 31, v16
	s_cbranch_scc1 .LBB21_55
; %bb.5:                                ;   in Loop: Header=BB21_4 Depth=1
	v_ashrrev_i32_e32 v9, 31, v8
	v_add_co_u32 v18, s3, v16, 16
	s_delay_alu instid0(VALU_DEP_1) | instskip(SKIP_1) | instid1(VALU_DEP_1)
	v_add_co_ci_u32_e64 v19, s3, 0, v17, s3
	v_add_co_u32 v20, s3, v45, v8
	v_add_co_ci_u32_e64 v21, s3, v46, v9, s3
	v_lshlrev_b64 v[22:23], 2, v[8:9]
	s_delay_alu instid0(VALU_DEP_3) | instskip(NEXT) | instid1(VALU_DEP_1)
	v_add_co_u32 v24, s5, v20, 16
	v_add_co_ci_u32_e64 v25, s5, 0, v21, s5
	v_add_co_u32 v26, s5, v20, -16
	v_cmp_le_i64_e64 s4, s[12:13], v[18:19]
	v_mov_b32_e32 v29, v1
	v_mov_b32_e32 v31, v5
	v_dual_mov_b32 v33, v15 :: v_dual_mov_b32 v48, 0
	v_cmp_le_i32_e64 s3, s10, v16
	v_add_co_ci_u32_e64 v27, s5, -1, v21, s5
	v_dual_mov_b32 v9, 0 :: v_dual_mov_b32 v28, v0
	v_mov_b32_e32 v30, v4
	v_dual_mov_b32 v32, v14 :: v_dual_mov_b32 v49, 0
	v_mov_b32_e32 v50, 0
	s_mov_b64 s[16:17], 0
	s_branch .LBB21_7
.LBB21_6:                               ;   in Loop: Header=BB21_7 Depth=2
	s_or_b32 exec_lo, exec_lo, s5
	s_waitcnt lgkmcnt(0)
	s_waitcnt_vscnt null, 0x0
	s_barrier
	buffer_gl0_inv
	ds_load_2addr_b32 v[78:79], v43 offset1:16
	ds_load_b128 v[34:37], v41
	ds_load_b128 v[51:54], v41 offset:2048
	ds_load_2addr_b32 v[80:81], v43 offset0:32 offset1:48
	ds_load_b128 v[55:58], v41 offset:16
	ds_load_2addr_b32 v[86:87], v43 offset0:64 offset1:80
	ds_load_b128 v[59:62], v41 offset:32
	ds_load_b128 v[63:66], v41 offset:48
	ds_load_2addr_b32 v[88:89], v43 offset0:96 offset1:112
	ds_load_2addr_b32 v[90:91], v43 offset0:128 offset1:144
	ds_load_b128 v[67:70], v41 offset:2064
	ds_load_2addr_b32 v[92:93], v43 offset0:160 offset1:176
	ds_load_2addr_b32 v[94:95], v43 offset0:192 offset1:208
	ds_load_2addr_b32 v[96:97], v43 offset0:224 offset1:240
	v_add_nc_u32_e32 v98, 0x400, v43
	v_add_co_u32 v32, s5, v32, s22
	s_delay_alu instid0(VALU_DEP_1)
	v_add_co_ci_u32_e64 v33, s5, s23, v33, s5
	v_add_co_u32 v30, s5, v30, s18
	s_waitcnt lgkmcnt(12)
	v_fmac_f32_e32 v49, v79, v34
	s_waitcnt lgkmcnt(11)
	v_dual_fmac_f32 v50, v78, v34 :: v_dual_fmac_f32 v9, v79, v51
	v_fmac_f32_e32 v48, v78, v51
	ds_load_b128 v[71:74], v41 offset:2080
	ds_load_b128 v[75:78], v41 offset:2096
	v_add_co_ci_u32_e64 v31, s5, s19, v31, s5
	s_waitcnt lgkmcnt(12)
	v_fmac_f32_e32 v9, v81, v52
	v_dual_fmac_f32 v49, v81, v35 :: v_dual_fmac_f32 v48, v80, v52
	v_fmac_f32_e32 v50, v80, v35
	v_add_co_u32 v28, s5, v28, s18
	s_waitcnt lgkmcnt(10)
	s_delay_alu instid0(VALU_DEP_3) | instskip(NEXT) | instid1(VALU_DEP_3)
	v_fmac_f32_e32 v49, v87, v36
	v_dual_fmac_f32 v50, v86, v36 :: v_dual_add_nc_u32 v99, 0x800, v43
	v_fmac_f32_e32 v9, v87, v53
	v_fmac_f32_e32 v48, v86, v53
	s_waitcnt lgkmcnt(7)
	v_fmac_f32_e32 v49, v89, v37
	ds_load_b128 v[79:82], v41 offset:64
	ds_load_b128 v[83:86], v41 offset:80
	v_fmac_f32_e32 v50, v88, v37
	ds_load_2addr_b32 v[34:35], v98 offset1:16
	v_fmac_f32_e32 v9, v89, v54
	s_waitcnt lgkmcnt(9)
	v_dual_fmac_f32 v49, v91, v55 :: v_dual_fmac_f32 v48, v88, v54
	v_fmac_f32_e32 v50, v90, v55
	ds_load_2addr_b32 v[36:37], v98 offset0:32 offset1:48
	s_waitcnt lgkmcnt(9)
	v_fmac_f32_e32 v9, v91, v67
	s_waitcnt lgkmcnt(8)
	v_dual_fmac_f32 v49, v93, v56 :: v_dual_fmac_f32 v48, v90, v67
	v_fmac_f32_e32 v50, v92, v56
	ds_load_2addr_b32 v[51:52], v98 offset0:64 offset1:80
	v_fmac_f32_e32 v9, v93, v68
	s_waitcnt lgkmcnt(8)
	v_dual_fmac_f32 v49, v95, v57 :: v_dual_fmac_f32 v48, v92, v68
	v_fmac_f32_e32 v50, v94, v57
	ds_load_2addr_b32 v[53:54], v98 offset0:96 offset1:112
	;; [unrolled: 5-line block ×5, first 2 shown]
	v_fmac_f32_e32 v9, v37, v72
	ds_load_2addr_b32 v[67:68], v98 offset0:224 offset1:240
	s_add_u32 s16, s16, 32
	s_waitcnt lgkmcnt(5)
	v_fmac_f32_e32 v50, v51, v61
	v_fmac_f32_e32 v49, v52, v61
	;; [unrolled: 1-line block ×3, first 2 shown]
	v_add_co_ci_u32_e64 v29, s5, s19, v29, s5
	s_waitcnt lgkmcnt(4)
	v_fmac_f32_e32 v50, v53, v62
	v_dual_fmac_f32 v48, v36, v72 :: v_dual_fmac_f32 v49, v54, v62
	ds_load_2addr_b32 v[61:62], v99 offset1:16
	v_fmac_f32_e32 v9, v54, v74
	ds_load_b128 v[34:37], v41 offset:2112
	s_waitcnt lgkmcnt(5)
	v_dual_fmac_f32 v48, v51, v73 :: v_dual_fmac_f32 v49, v56, v63
	v_fmac_f32_e32 v50, v55, v63
	v_fmac_f32_e32 v9, v56, v75
	s_addc_u32 s17, s17, 0
	s_waitcnt lgkmcnt(4)
	v_dual_fmac_f32 v48, v53, v74 :: v_dual_fmac_f32 v49, v58, v64
	v_fmac_f32_e32 v50, v57, v64
	v_fmac_f32_e32 v9, v58, v76
	ds_load_b128 v[51:54], v41 offset:2128
	v_fmac_f32_e32 v48, v55, v75
	ds_load_2addr_b32 v[55:56], v99 offset0:32 offset1:48
	s_waitcnt lgkmcnt(5)
	v_fmac_f32_e32 v49, v60, v65
	v_fmac_f32_e32 v50, v59, v65
	v_dual_fmac_f32 v9, v60, v77 :: v_dual_fmac_f32 v48, v57, v76
	ds_load_2addr_b32 v[57:58], v99 offset0:64 offset1:80
	s_waitcnt lgkmcnt(5)
	v_fmac_f32_e32 v49, v68, v66
	v_fmac_f32_e32 v50, v67, v66
	v_dual_fmac_f32 v9, v68, v78 :: v_dual_fmac_f32 v48, v59, v77
	ds_load_2addr_b32 v[59:60], v99 offset0:96 offset1:112
	ds_load_2addr_b32 v[63:64], v99 offset0:128 offset1:144
	s_waitcnt lgkmcnt(5)
	v_dual_fmac_f32 v50, v61, v79 :: v_dual_fmac_f32 v9, v62, v34
	v_dual_fmac_f32 v48, v67, v78 :: v_dual_fmac_f32 v49, v62, v79
	ds_load_2addr_b32 v[65:66], v99 offset0:192 offset1:208
	ds_load_2addr_b32 v[67:68], v99 offset0:224 offset1:240
	s_sub_i32 s6, s16, 32
	v_fmac_f32_e32 v48, v61, v34
	s_waitcnt lgkmcnt(5)
	v_dual_fmac_f32 v50, v55, v80 :: v_dual_fmac_f32 v9, v56, v35
	v_fmac_f32_e32 v49, v56, v80
	ds_load_2addr_b32 v[61:62], v99 offset0:160 offset1:176
	v_fmac_f32_e32 v48, v55, v35
	s_waitcnt lgkmcnt(5)
	v_dual_fmac_f32 v50, v57, v81 :: v_dual_fmac_f32 v9, v58, v36
	v_fmac_f32_e32 v49, v58, v81
	s_delay_alu instid0(VALU_DEP_3) | instskip(SKIP_1) | instid1(VALU_DEP_3)
	v_dual_fmac_f32 v48, v57, v36 :: v_dual_add_nc_u32 v73, 0xc00, v43
	s_waitcnt lgkmcnt(4)
	v_dual_fmac_f32 v50, v59, v82 :: v_dual_fmac_f32 v9, v60, v37
	s_delay_alu instid0(VALU_DEP_3)
	v_fmac_f32_e32 v49, v60, v82
	s_cmp_ge_i32 s6, s20
	v_fmac_f32_e32 v48, v59, v37
	s_waitcnt lgkmcnt(3)
	v_fmac_f32_e32 v50, v63, v83
	ds_load_2addr_b32 v[69:70], v73 offset1:16
	ds_load_b128 v[34:37], v41 offset:96
	v_fmac_f32_e32 v49, v64, v83
	ds_load_b128 v[55:58], v41 offset:2144
	ds_load_2addr_b32 v[71:72], v73 offset0:64 offset1:80
	s_waitcnt lgkmcnt(4)
	v_fmac_f32_e32 v50, v61, v84
	v_dual_fmac_f32 v48, v63, v51 :: v_dual_fmac_f32 v49, v62, v84
	v_fmac_f32_e32 v9, v64, v51
	ds_load_2addr_b32 v[63:64], v73 offset0:32 offset1:48
	v_fmac_f32_e32 v50, v65, v85
	v_dual_fmac_f32 v48, v61, v52 :: v_dual_fmac_f32 v49, v66, v85
	s_delay_alu instid0(VALU_DEP_2) | instskip(NEXT) | instid1(VALU_DEP_2)
	v_dual_fmac_f32 v9, v62, v52 :: v_dual_fmac_f32 v50, v67, v86
	v_dual_fmac_f32 v48, v65, v53 :: v_dual_fmac_f32 v49, v68, v86
	s_delay_alu instid0(VALU_DEP_2)
	v_fmac_f32_e32 v9, v66, v53
	ds_load_2addr_b32 v[65:66], v73 offset0:96 offset1:112
	v_fmac_f32_e32 v48, v67, v54
	v_fmac_f32_e32 v9, v68, v54
	ds_load_b128 v[51:54], v41 offset:112
	ds_load_2addr_b32 v[67:68], v73 offset0:128 offset1:144
	ds_load_b128 v[59:62], v41 offset:2160
	s_waitcnt lgkmcnt(6)
	v_fmac_f32_e32 v48, v69, v55
	v_dual_fmac_f32 v50, v69, v34 :: v_dual_fmac_f32 v9, v70, v55
	v_fmac_f32_e32 v49, v70, v34
	ds_load_2addr_b32 v[69:70], v73 offset0:160 offset1:176
	s_waitcnt lgkmcnt(5)
	v_fmac_f32_e32 v48, v63, v56
	v_dual_fmac_f32 v50, v63, v35 :: v_dual_fmac_f32 v9, v64, v56
	v_fmac_f32_e32 v49, v64, v35
	ds_load_2addr_b32 v[34:35], v73 offset0:192 offset1:208
	v_fmac_f32_e32 v48, v71, v57
	v_dual_fmac_f32 v50, v71, v36 :: v_dual_fmac_f32 v9, v72, v57
	v_fmac_f32_e32 v49, v72, v36
	ds_load_2addr_b32 v[55:56], v73 offset0:224 offset1:240
	s_waitcnt lgkmcnt(6)
	v_fmac_f32_e32 v48, v65, v58
	v_dual_fmac_f32 v50, v65, v37 :: v_dual_fmac_f32 v9, v66, v58
	v_fmac_f32_e32 v49, v66, v37
	s_waitcnt lgkmcnt(0)
	s_barrier
	s_delay_alu instid0(VALU_DEP_2) | instskip(SKIP_2) | instid1(VALU_DEP_1)
	v_fmac_f32_e32 v50, v67, v51
	buffer_gl0_inv
	v_dual_fmac_f32 v49, v68, v51 :: v_dual_fmac_f32 v50, v69, v52
	v_dual_fmac_f32 v48, v67, v59 :: v_dual_fmac_f32 v49, v70, v52
	s_delay_alu instid0(VALU_DEP_1) | instskip(NEXT) | instid1(VALU_DEP_2)
	v_dual_fmac_f32 v9, v68, v59 :: v_dual_fmac_f32 v48, v69, v60
	v_fmac_f32_e32 v49, v35, v53
	s_delay_alu instid0(VALU_DEP_1) | instskip(NEXT) | instid1(VALU_DEP_1)
	v_dual_fmac_f32 v50, v34, v53 :: v_dual_fmac_f32 v49, v56, v54
	v_dual_fmac_f32 v9, v70, v60 :: v_dual_fmac_f32 v50, v55, v54
	s_delay_alu instid0(VALU_DEP_1) | instskip(NEXT) | instid1(VALU_DEP_1)
	v_fmac_f32_e32 v9, v35, v61
	v_dual_fmac_f32 v48, v34, v61 :: v_dual_fmac_f32 v9, v56, v62
	s_delay_alu instid0(VALU_DEP_1)
	v_fmac_f32_e32 v48, v55, v62
	s_cbranch_scc1 .LBB21_55
.LBB21_7:                               ;   Parent Loop BB21_4 Depth=1
                                        ; =>  This Inner Loop Header: Depth=2
	v_add_co_u32 v34, s5, v38, s16
	s_delay_alu instid0(VALU_DEP_1) | instskip(SKIP_1) | instid1(VALU_DEP_2)
	v_add_co_ci_u32_e64 v35, null, 0, s17, s5
	v_cmp_eq_u64_e64 s6, s[16:17], v[20:21]
	v_cmp_gt_i64_e64 s5, v[34:35], v[16:17]
	s_delay_alu instid0(VALU_DEP_2) | instskip(SKIP_1) | instid1(VALU_DEP_2)
	s_and_b32 s24, s38, s6
	v_cmp_le_i64_e64 s6, s[12:13], v[34:35]
	s_or_b32 s7, s3, s5
	s_delay_alu instid0(SALU_CYCLE_1) | instskip(SKIP_1) | instid1(VALU_DEP_1)
	s_or_b32 s8, s7, s24
	v_add_co_u32 v36, s7, v28, v22
	v_add_co_ci_u32_e64 v37, s7, v29, v23, s7
	s_delay_alu instid0(VALU_DEP_3) | instskip(NEXT) | instid1(SALU_CYCLE_1)
	s_or_b32 s7, s6, s8
	s_xor_b32 s7, s7, -1
	s_delay_alu instid0(SALU_CYCLE_1) | instskip(NEXT) | instid1(SALU_CYCLE_1)
	s_and_saveexec_b32 s8, s7
	s_xor_b32 s7, exec_lo, s8
	s_cbranch_execz .LBB21_9
; %bb.8:                                ;   in Loop: Header=BB21_7 Depth=2
	global_load_b32 v51, v[36:37], off
	s_waitcnt vmcnt(0)
	ds_store_b32 v42, v51
.LBB21_9:                               ;   in Loop: Header=BB21_7 Depth=2
	s_or_saveexec_b32 s7, s7
	s_xor_b32 s21, s24, -1
	s_xor_b32 exec_lo, exec_lo, s7
	s_cbranch_execz .LBB21_15
; %bb.10:                               ;   in Loop: Header=BB21_7 Depth=2
	s_and_saveexec_b32 s8, s21
	s_delay_alu instid0(SALU_CYCLE_1)
	s_xor_b32 s8, exec_lo, s8
	s_cbranch_execz .LBB21_12
; %bb.11:                               ;   in Loop: Header=BB21_7 Depth=2
	ds_store_b32 v42, v40
.LBB21_12:                              ;   in Loop: Header=BB21_7 Depth=2
	s_and_not1_saveexec_b32 s8, s8
	s_cbranch_execz .LBB21_14
; %bb.13:                               ;   in Loop: Header=BB21_7 Depth=2
	ds_store_b32 v42, v47
.LBB21_14:                              ;   in Loop: Header=BB21_7 Depth=2
	s_or_b32 exec_lo, exec_lo, s8
.LBB21_15:                              ;   in Loop: Header=BB21_7 Depth=2
	s_delay_alu instid0(SALU_CYCLE_1) | instskip(SKIP_1) | instid1(VALU_DEP_1)
	s_or_b32 exec_lo, exec_lo, s7
	v_add_co_u32 v51, s7, v34, 16
	v_add_co_ci_u32_e64 v52, s7, 0, v35, s7
	v_cmp_eq_u64_e64 s8, s[16:17], v[26:27]
	s_delay_alu instid0(VALU_DEP_2) | instskip(SKIP_1) | instid1(VALU_DEP_3)
	v_cmp_gt_i64_e64 s9, v[51:52], v[16:17]
	v_cmp_le_i64_e64 s7, s[12:13], v[51:52]
	s_and_b32 s25, s38, s8
	s_delay_alu instid0(VALU_DEP_2) | instskip(NEXT) | instid1(SALU_CYCLE_1)
	s_or_b32 s8, s3, s9
	s_or_b32 s8, s8, s25
	s_delay_alu instid0(VALU_DEP_1) | instid1(SALU_CYCLE_1)
	s_or_b32 s8, s7, s8
	s_delay_alu instid0(SALU_CYCLE_1) | instskip(NEXT) | instid1(SALU_CYCLE_1)
	s_xor_b32 s8, s8, -1
	s_and_saveexec_b32 s9, s8
	s_delay_alu instid0(SALU_CYCLE_1)
	s_xor_b32 s9, exec_lo, s9
	s_cbranch_execz .LBB21_17
; %bb.16:                               ;   in Loop: Header=BB21_7 Depth=2
	v_add_co_u32 v51, s8, v30, v22
	s_delay_alu instid0(VALU_DEP_1)
	v_add_co_ci_u32_e64 v52, s8, v31, v23, s8
	global_load_b32 v51, v[51:52], off
	s_waitcnt vmcnt(0)
	ds_store_b32 v42, v51 offset:64
.LBB21_17:                              ;   in Loop: Header=BB21_7 Depth=2
	s_and_not1_saveexec_b32 s8, s9
	s_cbranch_execz .LBB21_23
; %bb.18:                               ;   in Loop: Header=BB21_7 Depth=2
	s_xor_b32 s9, s25, -1
	s_delay_alu instid0(SALU_CYCLE_1) | instskip(NEXT) | instid1(SALU_CYCLE_1)
	s_and_saveexec_b32 s25, s9
	s_xor_b32 s9, exec_lo, s25
	s_cbranch_execz .LBB21_20
; %bb.19:                               ;   in Loop: Header=BB21_7 Depth=2
	ds_store_b32 v42, v40 offset:64
.LBB21_20:                              ;   in Loop: Header=BB21_7 Depth=2
	s_and_not1_saveexec_b32 s9, s9
	s_cbranch_execz .LBB21_22
; %bb.21:                               ;   in Loop: Header=BB21_7 Depth=2
	ds_store_b32 v42, v47 offset:64
.LBB21_22:                              ;   in Loop: Header=BB21_7 Depth=2
	s_or_b32 exec_lo, exec_lo, s9
.LBB21_23:                              ;   in Loop: Header=BB21_7 Depth=2
	s_delay_alu instid0(SALU_CYCLE_1) | instskip(SKIP_2) | instid1(VALU_DEP_2)
	s_or_b32 exec_lo, exec_lo, s8
	v_cmp_eq_u64_e64 s8, s[16:17], v[24:25]
	v_cmp_gt_i64_e64 s9, v[34:35], v[18:19]
	s_and_b32 s8, s38, s8
	s_delay_alu instid0(VALU_DEP_1) | instskip(NEXT) | instid1(SALU_CYCLE_1)
	s_or_b32 s9, s4, s9
	s_or_b32 s9, s9, s8
	s_delay_alu instid0(SALU_CYCLE_1) | instskip(NEXT) | instid1(SALU_CYCLE_1)
	s_or_b32 s6, s6, s9
	s_xor_b32 s6, s6, -1
	s_delay_alu instid0(SALU_CYCLE_1) | instskip(NEXT) | instid1(SALU_CYCLE_1)
	s_and_saveexec_b32 s9, s6
	s_xor_b32 s6, exec_lo, s9
	s_cbranch_execz .LBB21_25
; %bb.24:                               ;   in Loop: Header=BB21_7 Depth=2
	global_load_b32 v34, v[36:37], off offset:64
	s_waitcnt vmcnt(0)
	ds_store_b32 v42, v34 offset:2048
.LBB21_25:                              ;   in Loop: Header=BB21_7 Depth=2
	s_and_not1_saveexec_b32 s6, s6
	s_cbranch_execz .LBB21_31
; %bb.26:                               ;   in Loop: Header=BB21_7 Depth=2
	s_xor_b32 s8, s8, -1
	s_delay_alu instid0(SALU_CYCLE_1) | instskip(NEXT) | instid1(SALU_CYCLE_1)
	s_and_saveexec_b32 s9, s8
	s_xor_b32 s8, exec_lo, s9
	s_cbranch_execz .LBB21_28
; %bb.27:                               ;   in Loop: Header=BB21_7 Depth=2
	ds_store_b32 v42, v40 offset:2048
.LBB21_28:                              ;   in Loop: Header=BB21_7 Depth=2
	s_and_not1_saveexec_b32 s8, s8
	s_cbranch_execz .LBB21_30
; %bb.29:                               ;   in Loop: Header=BB21_7 Depth=2
	ds_store_b32 v42, v47 offset:2048
.LBB21_30:                              ;   in Loop: Header=BB21_7 Depth=2
	s_or_b32 exec_lo, exec_lo, s8
.LBB21_31:                              ;   in Loop: Header=BB21_7 Depth=2
	s_delay_alu instid0(SALU_CYCLE_1) | instskip(SKIP_1) | instid1(SALU_CYCLE_1)
	s_or_b32 exec_lo, exec_lo, s6
	s_or_b32 s5, s4, s5
	s_or_b32 s5, s5, s24
	s_delay_alu instid0(SALU_CYCLE_1) | instskip(NEXT) | instid1(SALU_CYCLE_1)
	s_or_b32 s5, s7, s5
	s_xor_b32 s5, s5, -1
	s_delay_alu instid0(SALU_CYCLE_1) | instskip(NEXT) | instid1(SALU_CYCLE_1)
	s_and_saveexec_b32 s6, s5
	s_xor_b32 s6, exec_lo, s6
	s_cbranch_execz .LBB21_33
; %bb.32:                               ;   in Loop: Header=BB21_7 Depth=2
	v_add_co_u32 v34, s5, v30, v22
	s_delay_alu instid0(VALU_DEP_1)
	v_add_co_ci_u32_e64 v35, s5, v31, v23, s5
	global_load_b32 v34, v[34:35], off offset:64
	s_waitcnt vmcnt(0)
	ds_store_b32 v42, v34 offset:2112
.LBB21_33:                              ;   in Loop: Header=BB21_7 Depth=2
	s_and_not1_saveexec_b32 s5, s6
	s_cbranch_execz .LBB21_39
; %bb.34:                               ;   in Loop: Header=BB21_7 Depth=2
	s_and_saveexec_b32 s6, s21
	s_delay_alu instid0(SALU_CYCLE_1)
	s_xor_b32 s6, exec_lo, s6
	s_cbranch_execz .LBB21_36
; %bb.35:                               ;   in Loop: Header=BB21_7 Depth=2
	ds_store_b32 v42, v40 offset:2112
.LBB21_36:                              ;   in Loop: Header=BB21_7 Depth=2
	s_and_not1_saveexec_b32 s6, s6
	s_cbranch_execz .LBB21_38
; %bb.37:                               ;   in Loop: Header=BB21_7 Depth=2
	ds_store_b32 v42, v47 offset:2112
.LBB21_38:                              ;   in Loop: Header=BB21_7 Depth=2
	s_or_b32 exec_lo, exec_lo, s6
.LBB21_39:                              ;   in Loop: Header=BB21_7 Depth=2
	s_delay_alu instid0(SALU_CYCLE_1) | instskip(SKIP_1) | instid1(VALU_DEP_1)
	s_or_b32 exec_lo, exec_lo, s5
	v_add_co_u32 v34, s5, v39, s16
	v_add_co_ci_u32_e64 v35, null, 0, s17, s5
	v_add_co_u32 v36, s6, v32, v12
	s_delay_alu instid0(VALU_DEP_1) | instskip(NEXT) | instid1(VALU_DEP_3)
	v_add_co_ci_u32_e64 v37, s6, v33, v13, s6
	v_cmp_le_i64_e64 s5, s[12:13], v[34:35]
	s_delay_alu instid0(VALU_DEP_1) | instskip(NEXT) | instid1(SALU_CYCLE_1)
	s_or_b32 s6, s5, vcc_lo
	s_xor_b32 s6, s6, -1
	s_delay_alu instid0(SALU_CYCLE_1) | instskip(NEXT) | instid1(SALU_CYCLE_1)
	s_and_saveexec_b32 s7, s6
	s_xor_b32 s6, exec_lo, s7
	s_cbranch_execz .LBB21_41
; %bb.40:                               ;   in Loop: Header=BB21_7 Depth=2
	global_load_b32 v51, v[36:37], off offset:-64
	s_waitcnt vmcnt(0)
	ds_store_b32 v44, v51
.LBB21_41:                              ;   in Loop: Header=BB21_7 Depth=2
	s_and_not1_saveexec_b32 s6, s6
	s_cbranch_execz .LBB21_43
; %bb.42:                               ;   in Loop: Header=BB21_7 Depth=2
	ds_store_b32 v44, v40
.LBB21_43:                              ;   in Loop: Header=BB21_7 Depth=2
	s_or_b32 exec_lo, exec_lo, s6
	s_or_b32 s5, s5, s0
	s_delay_alu instid0(SALU_CYCLE_1) | instskip(NEXT) | instid1(SALU_CYCLE_1)
	s_xor_b32 s5, s5, -1
	s_and_saveexec_b32 s6, s5
	s_delay_alu instid0(SALU_CYCLE_1)
	s_xor_b32 s5, exec_lo, s6
	s_cbranch_execz .LBB21_45
; %bb.44:                               ;   in Loop: Header=BB21_7 Depth=2
	global_load_b32 v36, v[36:37], off
	s_waitcnt vmcnt(0)
	ds_store_b32 v44, v36 offset:64
.LBB21_45:                              ;   in Loop: Header=BB21_7 Depth=2
	s_and_not1_saveexec_b32 s5, s5
	s_cbranch_execz .LBB21_47
; %bb.46:                               ;   in Loop: Header=BB21_7 Depth=2
	ds_store_b32 v44, v40 offset:64
.LBB21_47:                              ;   in Loop: Header=BB21_7 Depth=2
	s_or_b32 exec_lo, exec_lo, s5
	v_cmp_le_i64_e64 s5, s[34:35], v[34:35]
	s_delay_alu instid0(VALU_DEP_1) | instskip(NEXT) | instid1(SALU_CYCLE_1)
	s_or_b32 s6, s5, vcc_lo
	s_xor_b32 s6, s6, -1
	s_delay_alu instid0(SALU_CYCLE_1) | instskip(NEXT) | instid1(SALU_CYCLE_1)
	s_and_saveexec_b32 s7, s6
	s_xor_b32 s7, exec_lo, s7
	s_cbranch_execz .LBB21_49
; %bb.48:                               ;   in Loop: Header=BB21_7 Depth=2
	v_add_co_u32 v34, s6, v32, v6
	s_delay_alu instid0(VALU_DEP_1)
	v_add_co_ci_u32_e64 v35, s6, v33, v7, s6
	global_load_b32 v34, v[34:35], off offset:-64
	s_waitcnt vmcnt(0)
	ds_store_b32 v44, v34 offset:2048
.LBB21_49:                              ;   in Loop: Header=BB21_7 Depth=2
	s_and_not1_saveexec_b32 s6, s7
	s_cbranch_execz .LBB21_51
; %bb.50:                               ;   in Loop: Header=BB21_7 Depth=2
	ds_store_b32 v44, v40 offset:2048
.LBB21_51:                              ;   in Loop: Header=BB21_7 Depth=2
	s_or_b32 exec_lo, exec_lo, s6
	s_or_b32 s5, s5, s0
	s_delay_alu instid0(SALU_CYCLE_1) | instskip(NEXT) | instid1(SALU_CYCLE_1)
	s_xor_b32 s5, s5, -1
	s_and_saveexec_b32 s6, s5
	s_delay_alu instid0(SALU_CYCLE_1)
	s_xor_b32 s6, exec_lo, s6
	s_cbranch_execz .LBB21_53
; %bb.52:                               ;   in Loop: Header=BB21_7 Depth=2
	v_add_co_u32 v34, s5, v32, v6
	s_delay_alu instid0(VALU_DEP_1)
	v_add_co_ci_u32_e64 v35, s5, v33, v7, s5
	global_load_b32 v34, v[34:35], off
	s_waitcnt vmcnt(0)
	ds_store_b32 v44, v34 offset:2112
.LBB21_53:                              ;   in Loop: Header=BB21_7 Depth=2
	s_and_not1_saveexec_b32 s5, s6
	s_cbranch_execz .LBB21_6
; %bb.54:                               ;   in Loop: Header=BB21_7 Depth=2
	ds_store_b32 v44, v40 offset:2112
	s_branch .LBB21_6
.LBB21_55:                              ;   in Loop: Header=BB21_4 Depth=1
	s_delay_alu instid0(VALU_DEP_1) | instskip(SKIP_3) | instid1(VALU_DEP_2)
	v_mul_lo_u32 v19, v17, s40
	v_mul_lo_u32 v20, v16, s41
	v_mad_u64_u32 v[17:18], null, v16, s40, 0
	v_cmp_gt_i32_e64 s3, s10, v16
	v_add3_u32 v18, v18, v20, v19
	s_delay_alu instid0(VALU_DEP_1) | instskip(NEXT) | instid1(VALU_DEP_1)
	v_lshlrev_b64 v[17:18], 2, v[17:18]
	v_add_co_u32 v17, s4, s36, v17
	s_delay_alu instid0(VALU_DEP_1) | instskip(SKIP_1) | instid1(SALU_CYCLE_1)
	v_add_co_ci_u32_e64 v18, s4, s37, v18, s4
	s_and_b32 s4, s1, s3
	s_and_saveexec_b32 s5, s4
	s_cbranch_execz .LBB21_57
; %bb.56:                               ;   in Loop: Header=BB21_4 Depth=1
	v_add_co_u32 v19, s4, v17, v10
	s_delay_alu instid0(VALU_DEP_1)
	v_add_co_ci_u32_e64 v20, s4, v18, v11, s4
	global_load_b32 v21, v[19:20], off
	s_waitcnt vmcnt(0)
	v_fmac_f32_e32 v21, s11, v50
	global_store_b32 v[19:20], v21, off
.LBB21_57:                              ;   in Loop: Header=BB21_4 Depth=1
	s_or_b32 exec_lo, exec_lo, s5
	s_and_b32 s3, s2, s3
	s_delay_alu instid0(SALU_CYCLE_1)
	s_and_saveexec_b32 s4, s3
	s_cbranch_execz .LBB21_59
; %bb.58:                               ;   in Loop: Header=BB21_4 Depth=1
	v_lshlrev_b64 v[19:20], 2, v[2:3]
	s_delay_alu instid0(VALU_DEP_1) | instskip(NEXT) | instid1(VALU_DEP_1)
	v_add_co_u32 v17, s3, v17, v19
	v_add_co_ci_u32_e64 v18, s3, v18, v20, s3
	global_load_b32 v19, v[17:18], off
	s_waitcnt vmcnt(0)
	v_fmac_f32_e32 v19, s11, v49
	global_store_b32 v[17:18], v19, off
.LBB21_59:                              ;   in Loop: Header=BB21_4 Depth=1
	s_or_b32 exec_lo, exec_lo, s4
	v_add_nc_u32_e32 v18, 16, v16
	s_delay_alu instid0(VALU_DEP_1) | instskip(SKIP_3) | instid1(VALU_DEP_4)
	v_ashrrev_i32_e32 v19, 31, v18
	v_mul_lo_u32 v20, v18, s41
	v_mad_u64_u32 v[16:17], null, v18, s40, 0
	v_cmp_gt_i32_e64 s3, s10, v18
	v_mul_lo_u32 v19, v19, s40
	s_delay_alu instid0(VALU_DEP_1) | instskip(NEXT) | instid1(VALU_DEP_1)
	v_add3_u32 v17, v17, v20, v19
	v_lshlrev_b64 v[16:17], 2, v[16:17]
	s_delay_alu instid0(VALU_DEP_1) | instskip(NEXT) | instid1(VALU_DEP_1)
	v_add_co_u32 v16, s4, s36, v16
	v_add_co_ci_u32_e64 v17, s4, s37, v17, s4
	s_and_b32 s4, s1, s3
	s_delay_alu instid0(SALU_CYCLE_1)
	s_and_saveexec_b32 s5, s4
	s_cbranch_execz .LBB21_61
; %bb.60:                               ;   in Loop: Header=BB21_4 Depth=1
	v_add_co_u32 v18, s4, v16, v10
	s_delay_alu instid0(VALU_DEP_1)
	v_add_co_ci_u32_e64 v19, s4, v17, v11, s4
	global_load_b32 v20, v[18:19], off
	s_waitcnt vmcnt(0)
	v_fmac_f32_e32 v20, s11, v48
	global_store_b32 v[18:19], v20, off
.LBB21_61:                              ;   in Loop: Header=BB21_4 Depth=1
	s_or_b32 exec_lo, exec_lo, s5
	s_and_b32 s3, s2, s3
	s_delay_alu instid0(SALU_CYCLE_1)
	s_and_saveexec_b32 s4, s3
	s_cbranch_execz .LBB21_3
; %bb.62:                               ;   in Loop: Header=BB21_4 Depth=1
	v_lshlrev_b64 v[18:19], 2, v[2:3]
	s_delay_alu instid0(VALU_DEP_1) | instskip(NEXT) | instid1(VALU_DEP_1)
	v_add_co_u32 v16, s3, v16, v18
	v_add_co_ci_u32_e64 v17, s3, v17, v19, s3
	global_load_b32 v18, v[16:17], off
	s_waitcnt vmcnt(0)
	v_fmac_f32_e32 v18, s11, v9
	global_store_b32 v[16:17], v18, off
	s_branch .LBB21_3
.LBB21_63:
	s_nop 0
	s_sendmsg sendmsg(MSG_DEALLOC_VGPRS)
	s_endpgm
	.section	.rodata,"a",@progbits
	.p2align	6, 0x0
	.amdhsa_kernel _ZL30rocblas_trmm_outofplace_kernelIfLi32ELi2ELb0ELb0ELb1ELb1EfKffEv17rocblas_diagonal_iiT6_lPT7_lllS4_lllPT8_llli
		.amdhsa_group_segment_fixed_size 8192
		.amdhsa_private_segment_fixed_size 0
		.amdhsa_kernarg_size 384
		.amdhsa_user_sgpr_count 13
		.amdhsa_user_sgpr_dispatch_ptr 0
		.amdhsa_user_sgpr_queue_ptr 0
		.amdhsa_user_sgpr_kernarg_segment_ptr 1
		.amdhsa_user_sgpr_dispatch_id 0
		.amdhsa_user_sgpr_private_segment_size 0
		.amdhsa_wavefront_size32 1
		.amdhsa_uses_dynamic_stack 0
		.amdhsa_enable_private_segment 0
		.amdhsa_system_sgpr_workgroup_id_x 1
		.amdhsa_system_sgpr_workgroup_id_y 1
		.amdhsa_system_sgpr_workgroup_id_z 1
		.amdhsa_system_sgpr_workgroup_info 0
		.amdhsa_system_vgpr_workitem_id 1
		.amdhsa_next_free_vgpr 100
		.amdhsa_next_free_sgpr 45
		.amdhsa_reserve_vcc 1
		.amdhsa_float_round_mode_32 0
		.amdhsa_float_round_mode_16_64 0
		.amdhsa_float_denorm_mode_32 3
		.amdhsa_float_denorm_mode_16_64 3
		.amdhsa_dx10_clamp 1
		.amdhsa_ieee_mode 1
		.amdhsa_fp16_overflow 0
		.amdhsa_workgroup_processor_mode 1
		.amdhsa_memory_ordered 1
		.amdhsa_forward_progress 0
		.amdhsa_shared_vgpr_count 0
		.amdhsa_exception_fp_ieee_invalid_op 0
		.amdhsa_exception_fp_denorm_src 0
		.amdhsa_exception_fp_ieee_div_zero 0
		.amdhsa_exception_fp_ieee_overflow 0
		.amdhsa_exception_fp_ieee_underflow 0
		.amdhsa_exception_fp_ieee_inexact 0
		.amdhsa_exception_int_div_zero 0
	.end_amdhsa_kernel
	.section	.text._ZL30rocblas_trmm_outofplace_kernelIfLi32ELi2ELb0ELb0ELb1ELb1EfKffEv17rocblas_diagonal_iiT6_lPT7_lllS4_lllPT8_llli,"axG",@progbits,_ZL30rocblas_trmm_outofplace_kernelIfLi32ELi2ELb0ELb0ELb1ELb1EfKffEv17rocblas_diagonal_iiT6_lPT7_lllS4_lllPT8_llli,comdat
.Lfunc_end21:
	.size	_ZL30rocblas_trmm_outofplace_kernelIfLi32ELi2ELb0ELb0ELb1ELb1EfKffEv17rocblas_diagonal_iiT6_lPT7_lllS4_lllPT8_llli, .Lfunc_end21-_ZL30rocblas_trmm_outofplace_kernelIfLi32ELi2ELb0ELb0ELb1ELb1EfKffEv17rocblas_diagonal_iiT6_lPT7_lllS4_lllPT8_llli
                                        ; -- End function
	.section	.AMDGPU.csdata,"",@progbits
; Kernel info:
; codeLenInByte = 3468
; NumSgprs: 47
; NumVgprs: 100
; ScratchSize: 0
; MemoryBound: 0
; FloatMode: 240
; IeeeMode: 1
; LDSByteSize: 8192 bytes/workgroup (compile time only)
; SGPRBlocks: 5
; VGPRBlocks: 12
; NumSGPRsForWavesPerEU: 47
; NumVGPRsForWavesPerEU: 100
; Occupancy: 12
; WaveLimiterHint : 0
; COMPUTE_PGM_RSRC2:SCRATCH_EN: 0
; COMPUTE_PGM_RSRC2:USER_SGPR: 13
; COMPUTE_PGM_RSRC2:TRAP_HANDLER: 0
; COMPUTE_PGM_RSRC2:TGID_X_EN: 1
; COMPUTE_PGM_RSRC2:TGID_Y_EN: 1
; COMPUTE_PGM_RSRC2:TGID_Z_EN: 1
; COMPUTE_PGM_RSRC2:TIDIG_COMP_CNT: 1
	.section	.text._ZL30rocblas_trmm_outofplace_kernelIfLi32ELi2ELb0ELb1ELb1ELb1EPKfS0_fEv17rocblas_diagonal_iiT6_lPT7_lllS5_lllPT8_llli,"axG",@progbits,_ZL30rocblas_trmm_outofplace_kernelIfLi32ELi2ELb0ELb1ELb1ELb1EPKfS0_fEv17rocblas_diagonal_iiT6_lPT7_lllS5_lllPT8_llli,comdat
	.globl	_ZL30rocblas_trmm_outofplace_kernelIfLi32ELi2ELb0ELb1ELb1ELb1EPKfS0_fEv17rocblas_diagonal_iiT6_lPT7_lllS5_lllPT8_llli ; -- Begin function _ZL30rocblas_trmm_outofplace_kernelIfLi32ELi2ELb0ELb1ELb1ELb1EPKfS0_fEv17rocblas_diagonal_iiT6_lPT7_lllS5_lllPT8_llli
	.p2align	8
	.type	_ZL30rocblas_trmm_outofplace_kernelIfLi32ELi2ELb0ELb1ELb1ELb1EPKfS0_fEv17rocblas_diagonal_iiT6_lPT7_lllS5_lllPT8_llli,@function
_ZL30rocblas_trmm_outofplace_kernelIfLi32ELi2ELb0ELb1ELb1ELb1EPKfS0_fEv17rocblas_diagonal_iiT6_lPT7_lllS5_lllPT8_llli: ; @_ZL30rocblas_trmm_outofplace_kernelIfLi32ELi2ELb0ELb1ELb1ELb1EPKfS0_fEv17rocblas_diagonal_iiT6_lPT7_lllS5_lllPT8_llli
; %bb.0:
	s_load_b512 s[16:31], s[0:1], 0x10
	s_waitcnt lgkmcnt(0)
	s_mul_i32 s2, s15, s19
	s_mul_hi_u32 s3, s15, s18
	s_delay_alu instid0(SALU_CYCLE_1) | instskip(SKIP_1) | instid1(SALU_CYCLE_1)
	s_add_i32 s3, s3, s2
	s_mul_i32 s2, s15, s18
	s_lshl_b64 s[2:3], s[2:3], 2
	s_delay_alu instid0(SALU_CYCLE_1) | instskip(SKIP_4) | instid1(VALU_DEP_1)
	s_add_u32 s2, s16, s2
	s_addc_u32 s3, s17, s3
	s_load_b32 s33, s[2:3], 0x0
	s_waitcnt lgkmcnt(0)
	v_cmp_eq_f32_e64 s2, s33, 0
	s_and_b32 vcc_lo, exec_lo, s2
	s_cbranch_vccnz .LBB22_63
; %bb.1:
	s_load_b128 s[8:11], s[0:1], 0x0
	s_waitcnt lgkmcnt(0)
	s_add_i32 s2, s10, -1
	s_delay_alu instid0(SALU_CYCLE_1) | instskip(NEXT) | instid1(SALU_CYCLE_1)
	s_ashr_i32 s3, s2, 31
	s_lshr_b32 s3, s3, 27
	s_delay_alu instid0(SALU_CYCLE_1) | instskip(NEXT) | instid1(SALU_CYCLE_1)
	s_add_i32 s2, s2, s3
	s_ashr_i32 s34, s2, 5
	s_delay_alu instid0(SALU_CYCLE_1)
	s_cmp_gt_i32 s14, s34
	s_cbranch_scc1 .LBB22_63
; %bb.2:
	s_clause 0x2
	s_load_b256 s[36:43], s[0:1], 0x50
	s_load_b128 s[16:19], s[0:1], 0x70
	s_load_b32 s35, s[0:1], 0x8c
	v_dual_mov_b32 v41, 0 :: v_dual_and_b32 v10, 0x3ff, v0
	v_bfe_u32 v36, v0, 10, 10
	v_mov_b32_e32 v42, 1.0
	s_delay_alu instid0(VALU_DEP_3) | instskip(SKIP_1) | instid1(VALU_DEP_4)
	v_lshl_add_u32 v6, s13, 5, v10
	v_lshlrev_b32_e32 v0, 2, v10
	v_lshlrev_b32_e32 v37, 7, v36
	s_delay_alu instid0(VALU_DEP_3) | instskip(SKIP_1) | instid1(VALU_DEP_3)
	v_ashrrev_i32_e32 v7, 31, v6
	v_sub_co_u32 v8, vcc_lo, s9, v6
	v_add_nc_u32_e32 v38, v37, v0
	v_or_b32_e32 v39, 0x1000, v0
	s_delay_alu instid0(VALU_DEP_4)
	v_lshlrev_b64 v[2:3], 2, v[6:7]
	v_add_nc_u32_e32 v0, 16, v6
	s_waitcnt lgkmcnt(0)
	s_mul_i32 s1, s15, s39
	s_mul_hi_u32 s2, s15, s38
	s_mul_i32 s0, s15, s38
	s_add_i32 s1, s2, s1
	s_mul_i32 s3, s15, s19
	s_lshl_b64 s[0:1], s[0:1], 2
	s_mul_hi_u32 s4, s15, s18
	s_add_u32 s5, s28, s0
	s_addc_u32 s6, s29, s1
	s_lshl_b64 s[0:1], s[30:31], 2
	s_mul_i32 s2, s15, s18
	s_add_u32 s5, s5, s0
	s_addc_u32 s6, s6, s1
	s_add_i32 s3, s4, s3
	s_mul_i32 s4, s27, s15
	s_lshl_b64 s[0:1], s[2:3], 2
	v_add_nc_u32_e32 v40, v39, v37
	s_add_u32 s2, s40, s0
	s_addc_u32 s3, s41, s1
	s_lshl_b64 s[0:1], s[42:43], 2
	v_ashrrev_i32_e32 v1, 31, v0
	s_add_u32 s38, s2, s0
	s_addc_u32 s39, s3, s1
	s_cmpk_eq_i32 s8, 0x84
	v_cmp_gt_i32_e64 s1, s9, v6
	s_cselect_b32 s40, -1, 0
	s_ashr_i32 s0, s9, 31
	s_ashr_i32 s11, s10, 31
	v_sub_co_ci_u32_e32 v9, vcc_lo, s0, v7, vcc_lo
	v_add_co_u32 v4, vcc_lo, s5, v2
	s_lshl_b64 s[12:13], s[24:25], 7
	s_lshl_b64 s[18:19], s[36:37], 7
	s_mul_hi_u32 s5, s26, s15
	s_add_u32 s28, s10, -16
	s_addc_u32 s29, s11, -1
	s_add_i32 s5, s5, s4
	s_mul_i32 s4, s26, s15
	v_add_co_ci_u32_e32 v5, vcc_lo, s6, v3, vcc_lo
	s_lshl_b32 s3, s14, 5
	s_lshl_b64 s[4:5], s[4:5], 2
	s_lshl_b64 s[6:7], s[22:23], 2
	v_cmp_gt_i64_e32 vcc_lo, 1, v[8:9]
	v_cmp_gt_i64_e64 s0, 17, v[8:9]
	s_lshl_b32 s41, s35, 5
	s_lshl_b64 s[22:23], s[36:37], 2
	v_cmp_gt_i32_e64 s2, s9, v0
	v_add_nc_u32_e32 v6, s3, v10
	v_add_nc_u32_e32 v8, s3, v36
	s_add_u32 s3, s4, s6
	s_addc_u32 s4, s5, s7
	s_add_u32 s20, s20, s3
	s_addc_u32 s21, s21, s4
	s_lshl_b64 s[26:27], s[24:25], 2
	s_branch .LBB22_4
.LBB22_3:                               ;   in Loop: Header=BB22_4 Depth=1
	s_or_b32 exec_lo, exec_lo, s4
	v_add_nc_u32_e32 v6, s41, v6
	v_add_nc_u32_e32 v8, s41, v8
	s_add_i32 s14, s35, s14
	s_delay_alu instid0(SALU_CYCLE_1)
	s_cmp_le_i32 s14, s34
	s_cbranch_scc0 .LBB22_63
.LBB22_4:                               ; =>This Loop Header: Depth=1
                                        ;     Child Loop BB22_7 Depth 2
	s_lshl_b32 s3, s14, 5
	v_ashrrev_i32_e32 v7, 31, v6
	v_dual_mov_b32 v45, 0 :: v_dual_add_nc_u32 v10, s3, v36
	v_ashrrev_i32_e32 v9, 31, v8
	v_dual_mov_b32 v46, 0 :: v_dual_mov_b32 v43, 0
	s_delay_alu instid0(VALU_DEP_3) | instskip(SKIP_2) | instid1(SALU_CYCLE_1)
	v_ashrrev_i32_e32 v11, 31, v10
	v_mov_b32_e32 v44, 0
	s_sub_i32 s15, s10, s3
	s_cmp_lt_i32 s15, 1
	s_cbranch_scc1 .LBB22_55
; %bb.5:                                ;   in Loop: Header=BB22_4 Depth=1
	v_lshlrev_b64 v[14:15], 2, v[6:7]
	v_sub_co_u32 v12, s3, v8, v6
	v_lshlrev_b64 v[16:17], 2, v[8:9]
	v_sub_co_ci_u32_e64 v13, s3, v9, v7, s3
	s_delay_alu instid0(VALU_DEP_4) | instskip(NEXT) | instid1(VALU_DEP_1)
	v_add_co_u32 v20, s3, v14, 64
	v_add_co_ci_u32_e64 v18, s3, 0, v15, s3
	v_mad_u64_u32 v[14:15], null, s22, v8, 64
	v_mul_lo_u32 v24, s22, v9
	v_mul_lo_u32 v25, s23, v8
	v_add_co_u32 v28, s3, v16, 64
	s_delay_alu instid0(VALU_DEP_1)
	v_add_co_ci_u32_e64 v22, s3, 0, v17, s3
	v_mul_lo_u32 v26, s24, v18
	v_mul_lo_u32 v27, s25, v20
	v_mad_u64_u32 v[18:19], null, s24, v20, s[20:21]
	v_mad_u64_u32 v[20:21], null, s26, v6, s[20:21]
	v_mul_lo_u32 v29, s26, v7
	v_mul_lo_u32 v30, s27, v6
	;; [unrolled: 1-line block ×4, first 2 shown]
	v_mad_u64_u32 v[22:23], null, s36, v28, 64
	v_add3_u32 v15, v25, v15, v24
	v_add_co_u32 v24, s3, v10, 16
	s_delay_alu instid0(VALU_DEP_1) | instskip(SKIP_2) | instid1(VALU_DEP_1)
	v_add_co_ci_u32_e64 v25, s3, 0, v11, s3
	v_add3_u32 v19, v27, v19, v26
	v_add_co_u32 v26, s5, v12, 16
	v_add_co_ci_u32_e64 v27, s5, 0, v13, s5
	v_add_co_u32 v28, s5, v12, -16
	v_add3_u32 v21, v30, v21, v29
	v_add3_u32 v23, v32, v23, v31
	v_cmp_le_i64_e64 s4, s[10:11], v[24:25]
	v_dual_mov_b32 v31, v5 :: v_dual_mov_b32 v44, 0
	v_cmp_le_i32_e64 s3, s10, v10
	v_add_co_ci_u32_e64 v29, s5, -1, v13, s5
	v_dual_mov_b32 v43, 0 :: v_dual_mov_b32 v30, v4
	v_dual_mov_b32 v45, 0 :: v_dual_mov_b32 v46, 0
	s_mov_b64 s[30:31], 0
	s_branch .LBB22_7
.LBB22_6:                               ;   in Loop: Header=BB22_7 Depth=2
	s_or_b32 exec_lo, exec_lo, s5
	s_waitcnt lgkmcnt(0)
	s_waitcnt_vscnt null, 0x0
	s_barrier
	buffer_gl0_inv
	ds_load_2addr_b32 v[74:75], v39 offset1:16
	ds_load_b128 v[32:35], v37
	ds_load_b128 v[47:50], v37 offset:2048
	ds_load_2addr_b32 v[76:77], v39 offset0:32 offset1:48
	ds_load_b128 v[51:54], v37 offset:16
	ds_load_2addr_b32 v[82:83], v39 offset0:64 offset1:80
	ds_load_b128 v[55:58], v37 offset:32
	ds_load_b128 v[59:62], v37 offset:48
	ds_load_2addr_b32 v[84:85], v39 offset0:96 offset1:112
	ds_load_2addr_b32 v[86:87], v39 offset0:128 offset1:144
	ds_load_b128 v[63:66], v37 offset:2064
	ds_load_2addr_b32 v[88:89], v39 offset0:160 offset1:176
	ds_load_2addr_b32 v[90:91], v39 offset0:192 offset1:208
	;; [unrolled: 1-line block ×3, first 2 shown]
	v_add_nc_u32_e32 v94, 0x400, v39
	v_add_co_u32 v30, s5, v30, s18
	s_delay_alu instid0(VALU_DEP_1)
	v_add_co_ci_u32_e64 v31, s5, s19, v31, s5
	v_add_co_u32 v18, s5, v18, s12
	s_waitcnt lgkmcnt(12)
	v_fmac_f32_e32 v45, v75, v32
	s_waitcnt lgkmcnt(11)
	v_dual_fmac_f32 v46, v74, v32 :: v_dual_fmac_f32 v43, v75, v47
	v_fmac_f32_e32 v44, v74, v47
	v_add_nc_u32_e32 v95, 0x800, v39
	s_waitcnt lgkmcnt(10)
	v_fmac_f32_e32 v45, v77, v33
	v_dual_fmac_f32 v46, v76, v33 :: v_dual_fmac_f32 v43, v77, v48
	v_fmac_f32_e32 v44, v76, v48
	ds_load_b128 v[67:70], v37 offset:2080
	ds_load_b128 v[71:74], v37 offset:2096
	s_waitcnt lgkmcnt(10)
	v_fmac_f32_e32 v45, v83, v34
	v_dual_fmac_f32 v46, v82, v34 :: v_dual_fmac_f32 v43, v83, v49
	v_fmac_f32_e32 v44, v82, v49
	ds_load_b128 v[75:78], v37 offset:64
	ds_load_b128 v[79:82], v37 offset:80
	s_waitcnt lgkmcnt(9)
	v_fmac_f32_e32 v45, v85, v35
	v_fmac_f32_e32 v46, v84, v35
	ds_load_2addr_b32 v[32:33], v94 offset1:16
	v_fmac_f32_e32 v44, v84, v50
	v_fmac_f32_e32 v43, v85, v50
	s_waitcnt lgkmcnt(9)
	v_fmac_f32_e32 v45, v87, v51
	v_fmac_f32_e32 v46, v86, v51
	ds_load_2addr_b32 v[34:35], v94 offset0:32 offset1:48
	s_waitcnt lgkmcnt(9)
	v_fmac_f32_e32 v44, v86, v63
	v_fmac_f32_e32 v43, v87, v63
	s_waitcnt lgkmcnt(8)
	v_fmac_f32_e32 v45, v89, v52
	v_fmac_f32_e32 v46, v88, v52
	ds_load_2addr_b32 v[47:48], v94 offset0:64 offset1:80
	v_fmac_f32_e32 v44, v88, v64
	v_fmac_f32_e32 v43, v89, v64
	s_waitcnt lgkmcnt(8)
	v_fmac_f32_e32 v45, v91, v53
	v_fmac_f32_e32 v46, v90, v53
	ds_load_2addr_b32 v[49:50], v94 offset0:96 offset1:112
	;; [unrolled: 6-line block ×5, first 2 shown]
	v_fmac_f32_e32 v44, v34, v68
	ds_load_2addr_b32 v[63:64], v94 offset0:224 offset1:240
	s_waitcnt lgkmcnt(5)
	v_fmac_f32_e32 v45, v48, v57
	v_fmac_f32_e32 v46, v47, v57
	v_add_co_ci_u32_e64 v19, s5, s13, v19, s5
	v_add_co_u32 v20, s5, v20, s12
	s_waitcnt lgkmcnt(4)
	v_fmac_f32_e32 v45, v50, v58
	v_dual_fmac_f32 v43, v35, v68 :: v_dual_fmac_f32 v46, v49, v58
	ds_load_2addr_b32 v[57:58], v95 offset1:16
	ds_load_b128 v[32:35], v37 offset:2112
	s_waitcnt lgkmcnt(5)
	v_fmac_f32_e32 v45, v52, v59
	v_fmac_f32_e32 v43, v48, v69
	;; [unrolled: 1-line block ×4, first 2 shown]
	v_add_co_ci_u32_e64 v21, s5, s13, v21, s5
	s_waitcnt lgkmcnt(4)
	v_fmac_f32_e32 v45, v54, v60
	v_fmac_f32_e32 v43, v50, v70
	;; [unrolled: 1-line block ×4, first 2 shown]
	ds_load_b128 v[47:50], v37 offset:2128
	s_waitcnt lgkmcnt(4)
	v_fmac_f32_e32 v45, v56, v61
	v_fmac_f32_e32 v43, v52, v71
	;; [unrolled: 1-line block ×3, first 2 shown]
	ds_load_2addr_b32 v[51:52], v95 offset0:32 offset1:48
	s_waitcnt lgkmcnt(4)
	v_dual_fmac_f32 v46, v55, v61 :: v_dual_fmac_f32 v45, v64, v62
	v_fmac_f32_e32 v43, v54, v72
	v_fmac_f32_e32 v44, v53, v72
	ds_load_2addr_b32 v[53:54], v95 offset0:64 offset1:80
	v_fmac_f32_e32 v46, v63, v62
	ds_load_2addr_b32 v[59:60], v95 offset0:128 offset1:144
	v_fmac_f32_e32 v43, v56, v73
	v_fmac_f32_e32 v44, v55, v73
	ds_load_2addr_b32 v[55:56], v95 offset0:96 offset1:112
	ds_load_2addr_b32 v[61:62], v95 offset0:192 offset1:208
	s_add_u32 s30, s30, 32
	v_fmac_f32_e32 v43, v64, v74
	s_waitcnt lgkmcnt(7)
	v_dual_fmac_f32 v44, v63, v74 :: v_dual_fmac_f32 v45, v58, v75
	v_fmac_f32_e32 v46, v57, v75
	ds_load_2addr_b32 v[63:64], v95 offset0:224 offset1:240
	s_waitcnt lgkmcnt(7)
	v_fmac_f32_e32 v43, v58, v32
	v_fmac_f32_e32 v44, v57, v32
	s_waitcnt lgkmcnt(5)
	v_fmac_f32_e32 v45, v52, v76
	ds_load_2addr_b32 v[57:58], v95 offset0:160 offset1:176
	v_dual_fmac_f32 v46, v51, v76 :: v_dual_fmac_f32 v43, v52, v33
	v_fmac_f32_e32 v44, v51, v33
	s_waitcnt lgkmcnt(5)
	v_fmac_f32_e32 v45, v54, v77
	s_delay_alu instid0(VALU_DEP_3)
	v_dual_fmac_f32 v46, v53, v77 :: v_dual_add_nc_u32 v69, 0xc00, v39
	v_fmac_f32_e32 v43, v54, v34
	v_fmac_f32_e32 v44, v53, v34
	s_waitcnt lgkmcnt(3)
	v_fmac_f32_e32 v45, v56, v78
	s_addc_u32 s31, s31, 0
	v_fmac_f32_e32 v46, v55, v78
	s_cmp_ge_i32 s30, s15
	v_fmac_f32_e32 v44, v55, v35
	s_delay_alu instid0(VALU_DEP_1) | instskip(SKIP_1) | instid1(VALU_DEP_1)
	v_fmac_f32_e32 v44, v59, v47
	s_waitcnt lgkmcnt(0)
	v_dual_fmac_f32 v45, v60, v79 :: v_dual_fmac_f32 v44, v57, v48
	s_delay_alu instid0(VALU_DEP_1)
	v_dual_fmac_f32 v46, v59, v79 :: v_dual_fmac_f32 v45, v58, v80
	v_fmac_f32_e32 v43, v56, v35
	ds_load_2addr_b32 v[65:66], v69 offset1:16
	ds_load_b128 v[32:35], v37 offset:96
	ds_load_b128 v[51:54], v37 offset:2144
	v_fmac_f32_e32 v46, v57, v80
	ds_load_2addr_b32 v[67:68], v69 offset0:64 offset1:80
	v_fmac_f32_e32 v43, v60, v47
	ds_load_2addr_b32 v[59:60], v69 offset0:32 offset1:48
	v_fmac_f32_e32 v46, v61, v81
	v_fmac_f32_e32 v45, v62, v81
	s_delay_alu instid0(VALU_DEP_2) | instskip(NEXT) | instid1(VALU_DEP_2)
	v_dual_fmac_f32 v43, v58, v48 :: v_dual_fmac_f32 v46, v63, v82
	v_dual_fmac_f32 v44, v61, v49 :: v_dual_fmac_f32 v45, v64, v82
	s_delay_alu instid0(VALU_DEP_2)
	v_fmac_f32_e32 v43, v62, v49
	ds_load_2addr_b32 v[61:62], v69 offset0:96 offset1:112
	v_fmac_f32_e32 v44, v63, v50
	s_waitcnt lgkmcnt(4)
	v_dual_fmac_f32 v43, v64, v50 :: v_dual_fmac_f32 v46, v65, v32
	ds_load_b128 v[47:50], v37 offset:112
	s_waitcnt lgkmcnt(4)
	v_dual_fmac_f32 v45, v66, v32 :: v_dual_fmac_f32 v44, v65, v51
	ds_load_2addr_b32 v[63:64], v69 offset0:128 offset1:144
	ds_load_b128 v[55:58], v37 offset:2160
	s_waitcnt lgkmcnt(4)
	v_dual_fmac_f32 v43, v66, v51 :: v_dual_fmac_f32 v46, v59, v33
	ds_load_2addr_b32 v[65:66], v69 offset0:160 offset1:176
	v_dual_fmac_f32 v45, v60, v33 :: v_dual_fmac_f32 v44, v59, v52
	v_dual_fmac_f32 v43, v60, v52 :: v_dual_fmac_f32 v46, v67, v34
	ds_load_2addr_b32 v[32:33], v69 offset0:192 offset1:208
	v_dual_fmac_f32 v45, v68, v34 :: v_dual_fmac_f32 v44, v67, v53
	s_waitcnt lgkmcnt(5)
	v_dual_fmac_f32 v43, v68, v53 :: v_dual_fmac_f32 v46, v61, v35
	ds_load_2addr_b32 v[51:52], v69 offset0:224 offset1:240
	v_dual_fmac_f32 v45, v62, v35 :: v_dual_fmac_f32 v44, v61, v54
	v_fmac_f32_e32 v43, v62, v54
	s_waitcnt lgkmcnt(0)
	s_barrier
	v_fmac_f32_e32 v46, v63, v47
	v_fmac_f32_e32 v45, v64, v47
	buffer_gl0_inv
	v_fmac_f32_e32 v46, v65, v48
	v_dual_fmac_f32 v44, v63, v55 :: v_dual_fmac_f32 v45, v66, v48
	v_fmac_f32_e32 v43, v64, v55
	s_delay_alu instid0(VALU_DEP_3) | instskip(NEXT) | instid1(VALU_DEP_3)
	v_fmac_f32_e32 v46, v32, v49
	v_fmac_f32_e32 v44, v65, v56
	s_delay_alu instid0(VALU_DEP_4) | instskip(NEXT) | instid1(VALU_DEP_3)
	v_fmac_f32_e32 v45, v33, v49
	v_dual_fmac_f32 v43, v66, v56 :: v_dual_fmac_f32 v46, v51, v50
	s_delay_alu instid0(VALU_DEP_3) | instskip(NEXT) | instid1(VALU_DEP_3)
	v_fmac_f32_e32 v44, v32, v57
	v_fmac_f32_e32 v45, v52, v50
	s_delay_alu instid0(VALU_DEP_2) | instskip(NEXT) | instid1(VALU_DEP_1)
	v_dual_fmac_f32 v43, v33, v57 :: v_dual_fmac_f32 v44, v51, v58
	v_fmac_f32_e32 v43, v52, v58
	s_cbranch_scc1 .LBB22_55
.LBB22_7:                               ;   Parent Loop BB22_4 Depth=1
                                        ; =>  This Inner Loop Header: Depth=2
	v_add_co_u32 v32, s5, v6, s30
	s_delay_alu instid0(VALU_DEP_1) | instskip(SKIP_1) | instid1(VALU_DEP_2)
	v_add_co_ci_u32_e64 v33, s5, s31, v7, s5
	v_cmp_eq_u64_e64 s7, s[30:31], v[12:13]
	v_cmp_lt_i64_e64 s5, v[32:33], v[10:11]
	v_cmp_le_i64_e64 s6, s[10:11], v[32:33]
	s_delay_alu instid0(VALU_DEP_3) | instskip(SKIP_1) | instid1(VALU_DEP_3)
	s_and_b32 s43, s40, s7
	v_add_co_u32 v34, s7, v20, v16
	s_or_b32 s8, s3, s5
	v_add_co_ci_u32_e64 v35, s7, v21, v17, s7
	s_delay_alu instid0(VALU_DEP_3) | instskip(NEXT) | instid1(SALU_CYCLE_1)
	s_or_b32 s8, s6, s8
	s_or_b32 s7, s8, s43
	s_delay_alu instid0(SALU_CYCLE_1) | instskip(NEXT) | instid1(SALU_CYCLE_1)
	s_xor_b32 s7, s7, -1
	s_and_saveexec_b32 s8, s7
	s_delay_alu instid0(SALU_CYCLE_1)
	s_xor_b32 s7, exec_lo, s8
	s_cbranch_execz .LBB22_9
; %bb.8:                                ;   in Loop: Header=BB22_7 Depth=2
	global_load_b32 v47, v[34:35], off
	s_waitcnt vmcnt(0)
	ds_store_b32 v38, v47
.LBB22_9:                               ;   in Loop: Header=BB22_7 Depth=2
	s_or_saveexec_b32 s7, s7
	s_xor_b32 s42, s43, -1
	s_xor_b32 exec_lo, exec_lo, s7
	s_cbranch_execz .LBB22_15
; %bb.10:                               ;   in Loop: Header=BB22_7 Depth=2
	s_and_saveexec_b32 s8, s42
	s_delay_alu instid0(SALU_CYCLE_1)
	s_xor_b32 s8, exec_lo, s8
	s_cbranch_execz .LBB22_12
; %bb.11:                               ;   in Loop: Header=BB22_7 Depth=2
	ds_store_b32 v38, v41
.LBB22_12:                              ;   in Loop: Header=BB22_7 Depth=2
	s_and_not1_saveexec_b32 s8, s8
	s_cbranch_execz .LBB22_14
; %bb.13:                               ;   in Loop: Header=BB22_7 Depth=2
	ds_store_b32 v38, v42
.LBB22_14:                              ;   in Loop: Header=BB22_7 Depth=2
	s_or_b32 exec_lo, exec_lo, s8
.LBB22_15:                              ;   in Loop: Header=BB22_7 Depth=2
	s_delay_alu instid0(SALU_CYCLE_1) | instskip(SKIP_1) | instid1(VALU_DEP_1)
	s_or_b32 exec_lo, exec_lo, s7
	v_add_co_u32 v47, s7, v32, 16
	v_add_co_ci_u32_e64 v48, s7, 0, v33, s7
	v_cmp_eq_u64_e64 s9, s[30:31], v[28:29]
	s_delay_alu instid0(VALU_DEP_2) | instskip(SKIP_1) | instid1(VALU_DEP_3)
	v_cmp_lt_i64_e64 s8, v[47:48], v[10:11]
	v_cmp_le_i64_e64 s7, s[10:11], v[47:48]
	s_and_b32 s9, s40, s9
	s_delay_alu instid0(VALU_DEP_2)
	s_or_b32 s8, s3, s8
	s_delay_alu instid0(VALU_DEP_1) | instid1(SALU_CYCLE_1)
	s_or_b32 s8, s7, s8
	s_delay_alu instid0(SALU_CYCLE_1) | instskip(NEXT) | instid1(SALU_CYCLE_1)
	s_or_b32 s8, s8, s9
	s_xor_b32 s8, s8, -1
	s_delay_alu instid0(SALU_CYCLE_1) | instskip(NEXT) | instid1(SALU_CYCLE_1)
	s_and_saveexec_b32 s44, s8
	s_xor_b32 s44, exec_lo, s44
	s_cbranch_execz .LBB22_17
; %bb.16:                               ;   in Loop: Header=BB22_7 Depth=2
	v_add_co_u32 v47, s8, v18, v16
	s_delay_alu instid0(VALU_DEP_1)
	v_add_co_ci_u32_e64 v48, s8, v19, v17, s8
	global_load_b32 v47, v[47:48], off
	s_waitcnt vmcnt(0)
	ds_store_b32 v38, v47 offset:64
.LBB22_17:                              ;   in Loop: Header=BB22_7 Depth=2
	s_and_not1_saveexec_b32 s8, s44
	s_cbranch_execz .LBB22_23
; %bb.18:                               ;   in Loop: Header=BB22_7 Depth=2
	s_xor_b32 s9, s9, -1
	s_delay_alu instid0(SALU_CYCLE_1) | instskip(NEXT) | instid1(SALU_CYCLE_1)
	s_and_saveexec_b32 s44, s9
	s_xor_b32 s9, exec_lo, s44
	s_cbranch_execz .LBB22_20
; %bb.19:                               ;   in Loop: Header=BB22_7 Depth=2
	ds_store_b32 v38, v41 offset:64
.LBB22_20:                              ;   in Loop: Header=BB22_7 Depth=2
	s_and_not1_saveexec_b32 s9, s9
	s_cbranch_execz .LBB22_22
; %bb.21:                               ;   in Loop: Header=BB22_7 Depth=2
	ds_store_b32 v38, v42 offset:64
.LBB22_22:                              ;   in Loop: Header=BB22_7 Depth=2
	s_or_b32 exec_lo, exec_lo, s9
.LBB22_23:                              ;   in Loop: Header=BB22_7 Depth=2
	s_delay_alu instid0(SALU_CYCLE_1) | instskip(SKIP_2) | instid1(VALU_DEP_2)
	s_or_b32 exec_lo, exec_lo, s8
	v_cmp_eq_u64_e64 s8, s[30:31], v[26:27]
	v_cmp_lt_i64_e64 s9, v[32:33], v[24:25]
	s_and_b32 s8, s40, s8
	s_delay_alu instid0(VALU_DEP_1) | instskip(NEXT) | instid1(SALU_CYCLE_1)
	s_or_b32 s9, s4, s9
	s_or_b32 s9, s9, s8
	s_delay_alu instid0(SALU_CYCLE_1) | instskip(NEXT) | instid1(SALU_CYCLE_1)
	s_or_b32 s6, s6, s9
	s_xor_b32 s6, s6, -1
	s_delay_alu instid0(SALU_CYCLE_1) | instskip(NEXT) | instid1(SALU_CYCLE_1)
	s_and_saveexec_b32 s9, s6
	s_xor_b32 s6, exec_lo, s9
	s_cbranch_execz .LBB22_25
; %bb.24:                               ;   in Loop: Header=BB22_7 Depth=2
	global_load_b32 v32, v[34:35], off offset:64
	s_waitcnt vmcnt(0)
	ds_store_b32 v38, v32 offset:2048
.LBB22_25:                              ;   in Loop: Header=BB22_7 Depth=2
	s_and_not1_saveexec_b32 s6, s6
	s_cbranch_execz .LBB22_31
; %bb.26:                               ;   in Loop: Header=BB22_7 Depth=2
	s_xor_b32 s8, s8, -1
	s_delay_alu instid0(SALU_CYCLE_1) | instskip(NEXT) | instid1(SALU_CYCLE_1)
	s_and_saveexec_b32 s9, s8
	s_xor_b32 s8, exec_lo, s9
	s_cbranch_execz .LBB22_28
; %bb.27:                               ;   in Loop: Header=BB22_7 Depth=2
	ds_store_b32 v38, v41 offset:2048
.LBB22_28:                              ;   in Loop: Header=BB22_7 Depth=2
	s_and_not1_saveexec_b32 s8, s8
	s_cbranch_execz .LBB22_30
; %bb.29:                               ;   in Loop: Header=BB22_7 Depth=2
	ds_store_b32 v38, v42 offset:2048
.LBB22_30:                              ;   in Loop: Header=BB22_7 Depth=2
	s_or_b32 exec_lo, exec_lo, s8
.LBB22_31:                              ;   in Loop: Header=BB22_7 Depth=2
	s_delay_alu instid0(SALU_CYCLE_1) | instskip(SKIP_1) | instid1(SALU_CYCLE_1)
	s_or_b32 exec_lo, exec_lo, s6
	s_or_b32 s5, s4, s5
	s_or_b32 s5, s7, s5
	s_delay_alu instid0(SALU_CYCLE_1) | instskip(NEXT) | instid1(SALU_CYCLE_1)
	s_or_b32 s5, s5, s43
	s_xor_b32 s5, s5, -1
	s_delay_alu instid0(SALU_CYCLE_1) | instskip(NEXT) | instid1(SALU_CYCLE_1)
	s_and_saveexec_b32 s6, s5
	s_xor_b32 s6, exec_lo, s6
	s_cbranch_execz .LBB22_33
; %bb.32:                               ;   in Loop: Header=BB22_7 Depth=2
	v_add_co_u32 v32, s5, v18, v16
	s_delay_alu instid0(VALU_DEP_1)
	v_add_co_ci_u32_e64 v33, s5, v19, v17, s5
	global_load_b32 v32, v[32:33], off offset:64
	s_waitcnt vmcnt(0)
	ds_store_b32 v38, v32 offset:2112
.LBB22_33:                              ;   in Loop: Header=BB22_7 Depth=2
	s_and_not1_saveexec_b32 s5, s6
	s_cbranch_execz .LBB22_39
; %bb.34:                               ;   in Loop: Header=BB22_7 Depth=2
	s_and_saveexec_b32 s6, s42
	s_delay_alu instid0(SALU_CYCLE_1)
	s_xor_b32 s6, exec_lo, s6
	s_cbranch_execz .LBB22_36
; %bb.35:                               ;   in Loop: Header=BB22_7 Depth=2
	ds_store_b32 v38, v41 offset:2112
.LBB22_36:                              ;   in Loop: Header=BB22_7 Depth=2
	s_and_not1_saveexec_b32 s6, s6
	s_cbranch_execz .LBB22_38
; %bb.37:                               ;   in Loop: Header=BB22_7 Depth=2
	ds_store_b32 v38, v42 offset:2112
.LBB22_38:                              ;   in Loop: Header=BB22_7 Depth=2
	s_or_b32 exec_lo, exec_lo, s6
.LBB22_39:                              ;   in Loop: Header=BB22_7 Depth=2
	s_delay_alu instid0(SALU_CYCLE_1) | instskip(SKIP_1) | instid1(VALU_DEP_1)
	s_or_b32 exec_lo, exec_lo, s5
	v_add_co_u32 v32, s5, v8, s30
	v_add_co_ci_u32_e64 v33, s5, s31, v9, s5
	v_add_co_u32 v34, s6, v30, v14
	s_delay_alu instid0(VALU_DEP_1) | instskip(NEXT) | instid1(VALU_DEP_3)
	v_add_co_ci_u32_e64 v35, s6, v31, v15, s6
	v_cmp_le_i64_e64 s5, s[10:11], v[32:33]
	s_delay_alu instid0(VALU_DEP_1) | instskip(NEXT) | instid1(SALU_CYCLE_1)
	s_or_b32 s6, s5, vcc_lo
	s_xor_b32 s6, s6, -1
	s_delay_alu instid0(SALU_CYCLE_1) | instskip(NEXT) | instid1(SALU_CYCLE_1)
	s_and_saveexec_b32 s7, s6
	s_xor_b32 s6, exec_lo, s7
	s_cbranch_execz .LBB22_41
; %bb.40:                               ;   in Loop: Header=BB22_7 Depth=2
	global_load_b32 v47, v[34:35], off offset:-64
	s_waitcnt vmcnt(0)
	ds_store_b32 v40, v47
.LBB22_41:                              ;   in Loop: Header=BB22_7 Depth=2
	s_and_not1_saveexec_b32 s6, s6
	s_cbranch_execz .LBB22_43
; %bb.42:                               ;   in Loop: Header=BB22_7 Depth=2
	ds_store_b32 v40, v41
.LBB22_43:                              ;   in Loop: Header=BB22_7 Depth=2
	s_or_b32 exec_lo, exec_lo, s6
	s_or_b32 s5, s5, s0
	s_delay_alu instid0(SALU_CYCLE_1) | instskip(NEXT) | instid1(SALU_CYCLE_1)
	s_xor_b32 s5, s5, -1
	s_and_saveexec_b32 s6, s5
	s_delay_alu instid0(SALU_CYCLE_1)
	s_xor_b32 s5, exec_lo, s6
	s_cbranch_execz .LBB22_45
; %bb.44:                               ;   in Loop: Header=BB22_7 Depth=2
	global_load_b32 v34, v[34:35], off
	s_waitcnt vmcnt(0)
	ds_store_b32 v40, v34 offset:64
.LBB22_45:                              ;   in Loop: Header=BB22_7 Depth=2
	s_and_not1_saveexec_b32 s5, s5
	s_cbranch_execz .LBB22_47
; %bb.46:                               ;   in Loop: Header=BB22_7 Depth=2
	ds_store_b32 v40, v41 offset:64
.LBB22_47:                              ;   in Loop: Header=BB22_7 Depth=2
	s_or_b32 exec_lo, exec_lo, s5
	v_cmp_le_i64_e64 s5, s[28:29], v[32:33]
	s_delay_alu instid0(VALU_DEP_1) | instskip(NEXT) | instid1(SALU_CYCLE_1)
	s_or_b32 s6, s5, vcc_lo
	s_xor_b32 s6, s6, -1
	s_delay_alu instid0(SALU_CYCLE_1) | instskip(NEXT) | instid1(SALU_CYCLE_1)
	s_and_saveexec_b32 s7, s6
	s_xor_b32 s7, exec_lo, s7
	s_cbranch_execz .LBB22_49
; %bb.48:                               ;   in Loop: Header=BB22_7 Depth=2
	v_add_co_u32 v32, s6, v30, v22
	s_delay_alu instid0(VALU_DEP_1)
	v_add_co_ci_u32_e64 v33, s6, v31, v23, s6
	global_load_b32 v32, v[32:33], off offset:-64
	s_waitcnt vmcnt(0)
	ds_store_b32 v40, v32 offset:2048
.LBB22_49:                              ;   in Loop: Header=BB22_7 Depth=2
	s_and_not1_saveexec_b32 s6, s7
	s_cbranch_execz .LBB22_51
; %bb.50:                               ;   in Loop: Header=BB22_7 Depth=2
	ds_store_b32 v40, v41 offset:2048
.LBB22_51:                              ;   in Loop: Header=BB22_7 Depth=2
	s_or_b32 exec_lo, exec_lo, s6
	s_or_b32 s5, s5, s0
	s_delay_alu instid0(SALU_CYCLE_1) | instskip(NEXT) | instid1(SALU_CYCLE_1)
	s_xor_b32 s5, s5, -1
	s_and_saveexec_b32 s6, s5
	s_delay_alu instid0(SALU_CYCLE_1)
	s_xor_b32 s6, exec_lo, s6
	s_cbranch_execz .LBB22_53
; %bb.52:                               ;   in Loop: Header=BB22_7 Depth=2
	v_add_co_u32 v32, s5, v30, v22
	s_delay_alu instid0(VALU_DEP_1)
	v_add_co_ci_u32_e64 v33, s5, v31, v23, s5
	global_load_b32 v32, v[32:33], off
	s_waitcnt vmcnt(0)
	ds_store_b32 v40, v32 offset:2112
.LBB22_53:                              ;   in Loop: Header=BB22_7 Depth=2
	s_and_not1_saveexec_b32 s5, s6
	s_cbranch_execz .LBB22_6
; %bb.54:                               ;   in Loop: Header=BB22_7 Depth=2
	ds_store_b32 v40, v41 offset:2112
	s_branch .LBB22_6
.LBB22_55:                              ;   in Loop: Header=BB22_4 Depth=1
	v_mul_lo_u32 v7, v11, s16
	v_mul_lo_u32 v9, v10, s17
	v_mad_u64_u32 v[11:12], null, v10, s16, 0
	v_cmp_gt_i32_e64 s3, s10, v10
	s_delay_alu instid0(VALU_DEP_2) | instskip(NEXT) | instid1(VALU_DEP_1)
	v_add3_u32 v12, v12, v9, v7
	v_lshlrev_b64 v[11:12], 2, v[11:12]
	s_delay_alu instid0(VALU_DEP_1) | instskip(NEXT) | instid1(VALU_DEP_1)
	v_add_co_u32 v7, s4, s38, v11
	v_add_co_ci_u32_e64 v9, s4, s39, v12, s4
	s_and_b32 s4, s1, s3
	s_delay_alu instid0(SALU_CYCLE_1)
	s_and_saveexec_b32 s5, s4
	s_cbranch_execz .LBB22_57
; %bb.56:                               ;   in Loop: Header=BB22_4 Depth=1
	v_add_co_u32 v11, s4, v7, v2
	s_delay_alu instid0(VALU_DEP_1)
	v_add_co_ci_u32_e64 v12, s4, v9, v3, s4
	global_load_b32 v13, v[11:12], off
	s_waitcnt vmcnt(0)
	v_fmac_f32_e32 v13, s33, v46
	global_store_b32 v[11:12], v13, off
.LBB22_57:                              ;   in Loop: Header=BB22_4 Depth=1
	s_or_b32 exec_lo, exec_lo, s5
	s_and_b32 s3, s2, s3
	s_delay_alu instid0(SALU_CYCLE_1)
	s_and_saveexec_b32 s4, s3
	s_cbranch_execz .LBB22_59
; %bb.58:                               ;   in Loop: Header=BB22_4 Depth=1
	v_lshlrev_b64 v[11:12], 2, v[0:1]
	s_delay_alu instid0(VALU_DEP_1) | instskip(NEXT) | instid1(VALU_DEP_1)
	v_add_co_u32 v11, s3, v7, v11
	v_add_co_ci_u32_e64 v12, s3, v9, v12, s3
	global_load_b32 v7, v[11:12], off
	s_waitcnt vmcnt(0)
	v_fmac_f32_e32 v7, s33, v45
	global_store_b32 v[11:12], v7, off
.LBB22_59:                              ;   in Loop: Header=BB22_4 Depth=1
	s_or_b32 exec_lo, exec_lo, s4
	v_add_nc_u32_e32 v7, 16, v10
	s_delay_alu instid0(VALU_DEP_1) | instskip(SKIP_3) | instid1(VALU_DEP_4)
	v_ashrrev_i32_e32 v11, 31, v7
	v_mul_lo_u32 v12, v7, s17
	v_mad_u64_u32 v[9:10], null, v7, s16, 0
	v_cmp_gt_i32_e64 s3, s10, v7
	v_mul_lo_u32 v11, v11, s16
	s_delay_alu instid0(VALU_DEP_1) | instskip(NEXT) | instid1(VALU_DEP_1)
	v_add3_u32 v10, v10, v12, v11
	v_lshlrev_b64 v[9:10], 2, v[9:10]
	s_delay_alu instid0(VALU_DEP_1) | instskip(NEXT) | instid1(VALU_DEP_1)
	v_add_co_u32 v7, s4, s38, v9
	v_add_co_ci_u32_e64 v9, s4, s39, v10, s4
	s_and_b32 s4, s1, s3
	s_delay_alu instid0(SALU_CYCLE_1)
	s_and_saveexec_b32 s5, s4
	s_cbranch_execz .LBB22_61
; %bb.60:                               ;   in Loop: Header=BB22_4 Depth=1
	v_add_co_u32 v10, s4, v7, v2
	s_delay_alu instid0(VALU_DEP_1)
	v_add_co_ci_u32_e64 v11, s4, v9, v3, s4
	global_load_b32 v12, v[10:11], off
	s_waitcnt vmcnt(0)
	v_fmac_f32_e32 v12, s33, v44
	global_store_b32 v[10:11], v12, off
.LBB22_61:                              ;   in Loop: Header=BB22_4 Depth=1
	s_or_b32 exec_lo, exec_lo, s5
	s_and_b32 s3, s2, s3
	s_delay_alu instid0(SALU_CYCLE_1)
	s_and_saveexec_b32 s4, s3
	s_cbranch_execz .LBB22_3
; %bb.62:                               ;   in Loop: Header=BB22_4 Depth=1
	v_lshlrev_b64 v[10:11], 2, v[0:1]
	s_delay_alu instid0(VALU_DEP_1) | instskip(NEXT) | instid1(VALU_DEP_1)
	v_add_co_u32 v10, s3, v7, v10
	v_add_co_ci_u32_e64 v11, s3, v9, v11, s3
	global_load_b32 v7, v[10:11], off
	s_waitcnt vmcnt(0)
	v_fmac_f32_e32 v7, s33, v43
	global_store_b32 v[10:11], v7, off
	s_branch .LBB22_3
.LBB22_63:
	s_nop 0
	s_sendmsg sendmsg(MSG_DEALLOC_VGPRS)
	s_endpgm
	.section	.rodata,"a",@progbits
	.p2align	6, 0x0
	.amdhsa_kernel _ZL30rocblas_trmm_outofplace_kernelIfLi32ELi2ELb0ELb1ELb1ELb1EPKfS0_fEv17rocblas_diagonal_iiT6_lPT7_lllS5_lllPT8_llli
		.amdhsa_group_segment_fixed_size 8192
		.amdhsa_private_segment_fixed_size 0
		.amdhsa_kernarg_size 392
		.amdhsa_user_sgpr_count 13
		.amdhsa_user_sgpr_dispatch_ptr 0
		.amdhsa_user_sgpr_queue_ptr 0
		.amdhsa_user_sgpr_kernarg_segment_ptr 1
		.amdhsa_user_sgpr_dispatch_id 0
		.amdhsa_user_sgpr_private_segment_size 0
		.amdhsa_wavefront_size32 1
		.amdhsa_uses_dynamic_stack 0
		.amdhsa_enable_private_segment 0
		.amdhsa_system_sgpr_workgroup_id_x 1
		.amdhsa_system_sgpr_workgroup_id_y 1
		.amdhsa_system_sgpr_workgroup_id_z 1
		.amdhsa_system_sgpr_workgroup_info 0
		.amdhsa_system_vgpr_workitem_id 1
		.amdhsa_next_free_vgpr 96
		.amdhsa_next_free_sgpr 45
		.amdhsa_reserve_vcc 1
		.amdhsa_float_round_mode_32 0
		.amdhsa_float_round_mode_16_64 0
		.amdhsa_float_denorm_mode_32 3
		.amdhsa_float_denorm_mode_16_64 3
		.amdhsa_dx10_clamp 1
		.amdhsa_ieee_mode 1
		.amdhsa_fp16_overflow 0
		.amdhsa_workgroup_processor_mode 1
		.amdhsa_memory_ordered 1
		.amdhsa_forward_progress 0
		.amdhsa_shared_vgpr_count 0
		.amdhsa_exception_fp_ieee_invalid_op 0
		.amdhsa_exception_fp_denorm_src 0
		.amdhsa_exception_fp_ieee_div_zero 0
		.amdhsa_exception_fp_ieee_overflow 0
		.amdhsa_exception_fp_ieee_underflow 0
		.amdhsa_exception_fp_ieee_inexact 0
		.amdhsa_exception_int_div_zero 0
	.end_amdhsa_kernel
	.section	.text._ZL30rocblas_trmm_outofplace_kernelIfLi32ELi2ELb0ELb1ELb1ELb1EPKfS0_fEv17rocblas_diagonal_iiT6_lPT7_lllS5_lllPT8_llli,"axG",@progbits,_ZL30rocblas_trmm_outofplace_kernelIfLi32ELi2ELb0ELb1ELb1ELb1EPKfS0_fEv17rocblas_diagonal_iiT6_lPT7_lllS5_lllPT8_llli,comdat
.Lfunc_end22:
	.size	_ZL30rocblas_trmm_outofplace_kernelIfLi32ELi2ELb0ELb1ELb1ELb1EPKfS0_fEv17rocblas_diagonal_iiT6_lPT7_lllS5_lllPT8_llli, .Lfunc_end22-_ZL30rocblas_trmm_outofplace_kernelIfLi32ELi2ELb0ELb1ELb1ELb1EPKfS0_fEv17rocblas_diagonal_iiT6_lPT7_lllS5_lllPT8_llli
                                        ; -- End function
	.section	.AMDGPU.csdata,"",@progbits
; Kernel info:
; codeLenInByte = 3512
; NumSgprs: 47
; NumVgprs: 96
; ScratchSize: 0
; MemoryBound: 0
; FloatMode: 240
; IeeeMode: 1
; LDSByteSize: 8192 bytes/workgroup (compile time only)
; SGPRBlocks: 5
; VGPRBlocks: 11
; NumSGPRsForWavesPerEU: 47
; NumVGPRsForWavesPerEU: 96
; Occupancy: 16
; WaveLimiterHint : 0
; COMPUTE_PGM_RSRC2:SCRATCH_EN: 0
; COMPUTE_PGM_RSRC2:USER_SGPR: 13
; COMPUTE_PGM_RSRC2:TRAP_HANDLER: 0
; COMPUTE_PGM_RSRC2:TGID_X_EN: 1
; COMPUTE_PGM_RSRC2:TGID_Y_EN: 1
; COMPUTE_PGM_RSRC2:TGID_Z_EN: 1
; COMPUTE_PGM_RSRC2:TIDIG_COMP_CNT: 1
	.section	.text._ZL30rocblas_trmm_outofplace_kernelIfLi32ELi2ELb0ELb1ELb1ELb1EfKffEv17rocblas_diagonal_iiT6_lPT7_lllS4_lllPT8_llli,"axG",@progbits,_ZL30rocblas_trmm_outofplace_kernelIfLi32ELi2ELb0ELb1ELb1ELb1EfKffEv17rocblas_diagonal_iiT6_lPT7_lllS4_lllPT8_llli,comdat
	.globl	_ZL30rocblas_trmm_outofplace_kernelIfLi32ELi2ELb0ELb1ELb1ELb1EfKffEv17rocblas_diagonal_iiT6_lPT7_lllS4_lllPT8_llli ; -- Begin function _ZL30rocblas_trmm_outofplace_kernelIfLi32ELi2ELb0ELb1ELb1ELb1EfKffEv17rocblas_diagonal_iiT6_lPT7_lllS4_lllPT8_llli
	.p2align	8
	.type	_ZL30rocblas_trmm_outofplace_kernelIfLi32ELi2ELb0ELb1ELb1ELb1EfKffEv17rocblas_diagonal_iiT6_lPT7_lllS4_lllPT8_llli,@function
_ZL30rocblas_trmm_outofplace_kernelIfLi32ELi2ELb0ELb1ELb1ELb1EfKffEv17rocblas_diagonal_iiT6_lPT7_lllS4_lllPT8_llli: ; @_ZL30rocblas_trmm_outofplace_kernelIfLi32ELi2ELb0ELb1ELb1ELb1EfKffEv17rocblas_diagonal_iiT6_lPT7_lllS4_lllPT8_llli
; %bb.0:
	s_load_b128 s[8:11], s[0:1], 0x0
	s_waitcnt lgkmcnt(0)
	v_cmp_eq_f32_e64 s2, s11, 0
	s_delay_alu instid0(VALU_DEP_1)
	s_and_b32 vcc_lo, exec_lo, s2
	s_cbranch_vccnz .LBB23_63
; %bb.1:
	s_add_i32 s2, s10, -1
	s_delay_alu instid0(SALU_CYCLE_1) | instskip(NEXT) | instid1(SALU_CYCLE_1)
	s_ashr_i32 s3, s2, 31
	s_lshr_b32 s3, s3, 27
	s_delay_alu instid0(SALU_CYCLE_1) | instskip(NEXT) | instid1(SALU_CYCLE_1)
	s_add_i32 s2, s2, s3
	s_ashr_i32 s33, s2, 5
	s_delay_alu instid0(SALU_CYCLE_1)
	s_cmp_gt_i32 s14, s33
	s_cbranch_scc1 .LBB23_63
; %bb.2:
	s_clause 0x2
	s_load_b512 s[16:31], s[0:1], 0x18
	s_load_b256 s[36:43], s[0:1], 0x58
	s_load_b32 s44, s[0:1], 0x84
	v_dual_mov_b32 v42, 1.0 :: v_dual_and_b32 v9, 0x3ff, v0
	v_bfe_u32 v36, v0, 10, 10
	v_mov_b32_e32 v41, 0
	s_mov_b32 s12, s10
	s_delay_alu instid0(VALU_DEP_3) | instskip(SKIP_2) | instid1(VALU_DEP_3)
	v_lshl_add_u32 v5, s13, 5, v9
	v_lshlrev_b32_e32 v0, 2, v9
	v_lshlrev_b32_e32 v37, 7, v36
	v_ashrrev_i32_e32 v6, 31, v5
	s_delay_alu instid0(VALU_DEP_3) | instskip(NEXT) | instid1(VALU_DEP_3)
	v_or_b32_e32 v39, 0x1000, v0
	v_add_nc_u32_e32 v38, v37, v0
	v_sub_co_u32 v7, vcc_lo, s9, v5
	s_delay_alu instid0(VALU_DEP_4)
	v_lshlrev_b64 v[0:1], 2, v[5:6]
	v_add_nc_u32_e32 v4, 16, v5
	s_waitcnt lgkmcnt(0)
	s_mul_i32 s1, s15, s31
	s_mul_hi_u32 s2, s15, s30
	s_mul_i32 s0, s15, s30
	s_add_i32 s1, s2, s1
	s_mul_i32 s3, s15, s43
	s_lshl_b64 s[0:1], s[0:1], 2
	s_mul_hi_u32 s4, s15, s42
	s_add_u32 s5, s24, s0
	s_addc_u32 s6, s25, s1
	s_lshl_b64 s[0:1], s[26:27], 2
	s_mul_i32 s2, s15, s42
	s_add_u32 s5, s5, s0
	s_addc_u32 s6, s6, s1
	s_add_i32 s3, s4, s3
	s_mul_i32 s4, s23, s15
	s_lshl_b64 s[0:1], s[2:3], 2
	v_add_nc_u32_e32 v40, v39, v37
	s_add_u32 s2, s36, s0
	s_addc_u32 s3, s37, s1
	s_lshl_b64 s[0:1], s[38:39], 2
	s_delay_alu instid0(SALU_CYCLE_1)
	s_add_u32 s36, s2, s0
	s_addc_u32 s37, s3, s1
	s_cmpk_eq_i32 s8, 0x84
	v_cmp_gt_i32_e64 s1, s9, v5
	s_cselect_b32 s38, -1, 0
	s_ashr_i32 s0, s9, 31
	s_ashr_i32 s13, s10, 31
	v_sub_co_ci_u32_e32 v8, vcc_lo, s0, v6, vcc_lo
	v_add_co_u32 v2, vcc_lo, s5, v0
	s_lshl_b64 s[24:25], s[20:21], 7
	s_lshl_b64 s[26:27], s[28:29], 7
	s_mul_hi_u32 s5, s22, s15
	s_add_u32 s30, s10, -16
	s_addc_u32 s31, s13, -1
	s_add_i32 s5, s5, s4
	s_mul_i32 s4, s22, s15
	v_add_co_ci_u32_e32 v3, vcc_lo, s6, v1, vcc_lo
	s_lshl_b32 s3, s14, 5
	s_lshl_b64 s[4:5], s[4:5], 2
	s_lshl_b64 s[6:7], s[18:19], 2
	v_cmp_gt_i64_e32 vcc_lo, 1, v[7:8]
	v_cmp_gt_i64_e64 s0, 17, v[7:8]
	s_lshl_b32 s39, s44, 5
	s_lshl_b64 s[18:19], s[28:29], 2
	v_cmp_gt_i32_e64 s2, s9, v4
	v_ashrrev_i32_e32 v5, 31, v4
	v_add_nc_u32_e32 v6, s3, v9
	v_add_nc_u32_e32 v8, s3, v36
	s_add_u32 s3, s4, s6
	s_addc_u32 s4, s5, s7
	s_add_u32 s16, s16, s3
	s_addc_u32 s17, s17, s4
	s_lshl_b64 s[22:23], s[20:21], 2
	s_branch .LBB23_4
.LBB23_3:                               ;   in Loop: Header=BB23_4 Depth=1
	s_or_b32 exec_lo, exec_lo, s4
	v_add_nc_u32_e32 v6, s39, v6
	v_add_nc_u32_e32 v8, s39, v8
	s_add_i32 s14, s44, s14
	s_delay_alu instid0(SALU_CYCLE_1)
	s_cmp_le_i32 s14, s33
	s_cbranch_scc0 .LBB23_63
.LBB23_4:                               ; =>This Loop Header: Depth=1
                                        ;     Child Loop BB23_7 Depth 2
	s_lshl_b32 s3, s14, 5
	v_ashrrev_i32_e32 v7, 31, v6
	v_dual_mov_b32 v45, 0 :: v_dual_add_nc_u32 v10, s3, v36
	v_ashrrev_i32_e32 v9, 31, v8
	v_dual_mov_b32 v46, 0 :: v_dual_mov_b32 v43, 0
	s_delay_alu instid0(VALU_DEP_3) | instskip(SKIP_2) | instid1(SALU_CYCLE_1)
	v_ashrrev_i32_e32 v11, 31, v10
	v_mov_b32_e32 v44, 0
	s_sub_i32 s15, s10, s3
	s_cmp_lt_i32 s15, 1
	s_cbranch_scc1 .LBB23_55
; %bb.5:                                ;   in Loop: Header=BB23_4 Depth=1
	v_lshlrev_b64 v[14:15], 2, v[6:7]
	v_sub_co_u32 v12, s3, v8, v6
	v_lshlrev_b64 v[16:17], 2, v[8:9]
	v_sub_co_ci_u32_e64 v13, s3, v9, v7, s3
	s_delay_alu instid0(VALU_DEP_4) | instskip(NEXT) | instid1(VALU_DEP_1)
	v_add_co_u32 v20, s3, v14, 64
	v_add_co_ci_u32_e64 v18, s3, 0, v15, s3
	v_mad_u64_u32 v[14:15], null, s18, v8, 64
	v_mul_lo_u32 v24, s18, v9
	v_mul_lo_u32 v25, s19, v8
	v_add_co_u32 v28, s3, v16, 64
	s_delay_alu instid0(VALU_DEP_1)
	v_add_co_ci_u32_e64 v22, s3, 0, v17, s3
	v_mul_lo_u32 v26, s20, v18
	v_mul_lo_u32 v27, s21, v20
	v_mad_u64_u32 v[18:19], null, s20, v20, s[16:17]
	v_mad_u64_u32 v[20:21], null, s22, v6, s[16:17]
	v_mul_lo_u32 v29, s22, v7
	v_mul_lo_u32 v30, s23, v6
	;; [unrolled: 1-line block ×4, first 2 shown]
	v_mad_u64_u32 v[22:23], null, s28, v28, 64
	v_add3_u32 v15, v25, v15, v24
	v_add_co_u32 v24, s3, v10, 16
	s_delay_alu instid0(VALU_DEP_1) | instskip(SKIP_2) | instid1(VALU_DEP_1)
	v_add_co_ci_u32_e64 v25, s3, 0, v11, s3
	v_add3_u32 v19, v27, v19, v26
	v_add_co_u32 v26, s5, v12, 16
	v_add_co_ci_u32_e64 v27, s5, 0, v13, s5
	v_add_co_u32 v28, s5, v12, -16
	v_add3_u32 v21, v30, v21, v29
	v_add3_u32 v23, v32, v23, v31
	v_cmp_le_i64_e64 s4, s[12:13], v[24:25]
	v_dual_mov_b32 v31, v3 :: v_dual_mov_b32 v44, 0
	v_cmp_le_i32_e64 s3, s10, v10
	v_add_co_ci_u32_e64 v29, s5, -1, v13, s5
	v_dual_mov_b32 v43, 0 :: v_dual_mov_b32 v30, v2
	v_dual_mov_b32 v45, 0 :: v_dual_mov_b32 v46, 0
	s_mov_b64 s[34:35], 0
	s_branch .LBB23_7
.LBB23_6:                               ;   in Loop: Header=BB23_7 Depth=2
	s_or_b32 exec_lo, exec_lo, s5
	s_waitcnt lgkmcnt(0)
	s_waitcnt_vscnt null, 0x0
	s_barrier
	buffer_gl0_inv
	ds_load_2addr_b32 v[74:75], v39 offset1:16
	ds_load_b128 v[32:35], v37
	ds_load_b128 v[47:50], v37 offset:2048
	ds_load_2addr_b32 v[76:77], v39 offset0:32 offset1:48
	ds_load_b128 v[51:54], v37 offset:16
	ds_load_2addr_b32 v[82:83], v39 offset0:64 offset1:80
	ds_load_b128 v[55:58], v37 offset:32
	ds_load_b128 v[59:62], v37 offset:48
	ds_load_2addr_b32 v[84:85], v39 offset0:96 offset1:112
	ds_load_2addr_b32 v[86:87], v39 offset0:128 offset1:144
	ds_load_b128 v[63:66], v37 offset:2064
	ds_load_2addr_b32 v[88:89], v39 offset0:160 offset1:176
	ds_load_2addr_b32 v[90:91], v39 offset0:192 offset1:208
	;; [unrolled: 1-line block ×3, first 2 shown]
	v_add_nc_u32_e32 v94, 0x400, v39
	v_add_co_u32 v30, s5, v30, s26
	s_delay_alu instid0(VALU_DEP_1)
	v_add_co_ci_u32_e64 v31, s5, s27, v31, s5
	v_add_co_u32 v18, s5, v18, s24
	s_waitcnt lgkmcnt(12)
	v_fmac_f32_e32 v45, v75, v32
	s_waitcnt lgkmcnt(11)
	v_dual_fmac_f32 v46, v74, v32 :: v_dual_fmac_f32 v43, v75, v47
	v_fmac_f32_e32 v44, v74, v47
	v_add_nc_u32_e32 v95, 0x800, v39
	s_waitcnt lgkmcnt(10)
	v_fmac_f32_e32 v45, v77, v33
	v_dual_fmac_f32 v46, v76, v33 :: v_dual_fmac_f32 v43, v77, v48
	v_fmac_f32_e32 v44, v76, v48
	ds_load_b128 v[67:70], v37 offset:2080
	ds_load_b128 v[71:74], v37 offset:2096
	s_waitcnt lgkmcnt(10)
	v_fmac_f32_e32 v45, v83, v34
	v_dual_fmac_f32 v46, v82, v34 :: v_dual_fmac_f32 v43, v83, v49
	v_fmac_f32_e32 v44, v82, v49
	ds_load_b128 v[75:78], v37 offset:64
	ds_load_b128 v[79:82], v37 offset:80
	s_waitcnt lgkmcnt(9)
	v_fmac_f32_e32 v45, v85, v35
	v_fmac_f32_e32 v46, v84, v35
	ds_load_2addr_b32 v[32:33], v94 offset1:16
	v_fmac_f32_e32 v44, v84, v50
	v_fmac_f32_e32 v43, v85, v50
	s_waitcnt lgkmcnt(9)
	v_fmac_f32_e32 v45, v87, v51
	v_fmac_f32_e32 v46, v86, v51
	ds_load_2addr_b32 v[34:35], v94 offset0:32 offset1:48
	s_waitcnt lgkmcnt(9)
	v_fmac_f32_e32 v44, v86, v63
	v_fmac_f32_e32 v43, v87, v63
	s_waitcnt lgkmcnt(8)
	v_fmac_f32_e32 v45, v89, v52
	v_fmac_f32_e32 v46, v88, v52
	ds_load_2addr_b32 v[47:48], v94 offset0:64 offset1:80
	v_fmac_f32_e32 v44, v88, v64
	v_fmac_f32_e32 v43, v89, v64
	s_waitcnt lgkmcnt(8)
	v_fmac_f32_e32 v45, v91, v53
	v_fmac_f32_e32 v46, v90, v53
	ds_load_2addr_b32 v[49:50], v94 offset0:96 offset1:112
	;; [unrolled: 6-line block ×5, first 2 shown]
	v_fmac_f32_e32 v44, v34, v68
	ds_load_2addr_b32 v[63:64], v94 offset0:224 offset1:240
	s_waitcnt lgkmcnt(5)
	v_fmac_f32_e32 v45, v48, v57
	v_fmac_f32_e32 v46, v47, v57
	v_add_co_ci_u32_e64 v19, s5, s25, v19, s5
	v_add_co_u32 v20, s5, v20, s24
	s_waitcnt lgkmcnt(4)
	v_fmac_f32_e32 v45, v50, v58
	v_dual_fmac_f32 v43, v35, v68 :: v_dual_fmac_f32 v46, v49, v58
	ds_load_2addr_b32 v[57:58], v95 offset1:16
	ds_load_b128 v[32:35], v37 offset:2112
	s_waitcnt lgkmcnt(5)
	v_fmac_f32_e32 v45, v52, v59
	v_fmac_f32_e32 v43, v48, v69
	;; [unrolled: 1-line block ×4, first 2 shown]
	v_add_co_ci_u32_e64 v21, s5, s25, v21, s5
	s_waitcnt lgkmcnt(4)
	v_fmac_f32_e32 v45, v54, v60
	v_fmac_f32_e32 v43, v50, v70
	v_fmac_f32_e32 v44, v49, v70
	v_fmac_f32_e32 v46, v53, v60
	ds_load_b128 v[47:50], v37 offset:2128
	s_waitcnt lgkmcnt(4)
	v_fmac_f32_e32 v45, v56, v61
	v_fmac_f32_e32 v43, v52, v71
	;; [unrolled: 1-line block ×3, first 2 shown]
	ds_load_2addr_b32 v[51:52], v95 offset0:32 offset1:48
	s_waitcnt lgkmcnt(4)
	v_dual_fmac_f32 v46, v55, v61 :: v_dual_fmac_f32 v45, v64, v62
	v_fmac_f32_e32 v43, v54, v72
	v_fmac_f32_e32 v44, v53, v72
	ds_load_2addr_b32 v[53:54], v95 offset0:64 offset1:80
	v_fmac_f32_e32 v46, v63, v62
	ds_load_2addr_b32 v[59:60], v95 offset0:128 offset1:144
	v_fmac_f32_e32 v43, v56, v73
	v_fmac_f32_e32 v44, v55, v73
	ds_load_2addr_b32 v[55:56], v95 offset0:96 offset1:112
	ds_load_2addr_b32 v[61:62], v95 offset0:192 offset1:208
	s_add_u32 s34, s34, 32
	v_fmac_f32_e32 v43, v64, v74
	s_waitcnt lgkmcnt(7)
	v_dual_fmac_f32 v44, v63, v74 :: v_dual_fmac_f32 v45, v58, v75
	v_fmac_f32_e32 v46, v57, v75
	ds_load_2addr_b32 v[63:64], v95 offset0:224 offset1:240
	s_waitcnt lgkmcnt(7)
	v_fmac_f32_e32 v43, v58, v32
	v_fmac_f32_e32 v44, v57, v32
	s_waitcnt lgkmcnt(5)
	v_fmac_f32_e32 v45, v52, v76
	ds_load_2addr_b32 v[57:58], v95 offset0:160 offset1:176
	v_dual_fmac_f32 v46, v51, v76 :: v_dual_fmac_f32 v43, v52, v33
	v_fmac_f32_e32 v44, v51, v33
	s_waitcnt lgkmcnt(5)
	v_fmac_f32_e32 v45, v54, v77
	s_delay_alu instid0(VALU_DEP_3)
	v_dual_fmac_f32 v46, v53, v77 :: v_dual_add_nc_u32 v69, 0xc00, v39
	v_fmac_f32_e32 v43, v54, v34
	v_fmac_f32_e32 v44, v53, v34
	s_waitcnt lgkmcnt(3)
	v_fmac_f32_e32 v45, v56, v78
	s_addc_u32 s35, s35, 0
	v_fmac_f32_e32 v46, v55, v78
	s_cmp_ge_i32 s34, s15
	v_fmac_f32_e32 v44, v55, v35
	s_delay_alu instid0(VALU_DEP_1) | instskip(SKIP_1) | instid1(VALU_DEP_1)
	v_fmac_f32_e32 v44, v59, v47
	s_waitcnt lgkmcnt(0)
	v_dual_fmac_f32 v45, v60, v79 :: v_dual_fmac_f32 v44, v57, v48
	s_delay_alu instid0(VALU_DEP_1)
	v_dual_fmac_f32 v46, v59, v79 :: v_dual_fmac_f32 v45, v58, v80
	v_fmac_f32_e32 v43, v56, v35
	ds_load_2addr_b32 v[65:66], v69 offset1:16
	ds_load_b128 v[32:35], v37 offset:96
	ds_load_b128 v[51:54], v37 offset:2144
	v_fmac_f32_e32 v46, v57, v80
	ds_load_2addr_b32 v[67:68], v69 offset0:64 offset1:80
	v_fmac_f32_e32 v43, v60, v47
	ds_load_2addr_b32 v[59:60], v69 offset0:32 offset1:48
	v_fmac_f32_e32 v46, v61, v81
	v_fmac_f32_e32 v45, v62, v81
	s_delay_alu instid0(VALU_DEP_2) | instskip(NEXT) | instid1(VALU_DEP_2)
	v_dual_fmac_f32 v43, v58, v48 :: v_dual_fmac_f32 v46, v63, v82
	v_dual_fmac_f32 v44, v61, v49 :: v_dual_fmac_f32 v45, v64, v82
	s_delay_alu instid0(VALU_DEP_2)
	v_fmac_f32_e32 v43, v62, v49
	ds_load_2addr_b32 v[61:62], v69 offset0:96 offset1:112
	v_fmac_f32_e32 v44, v63, v50
	s_waitcnt lgkmcnt(4)
	v_dual_fmac_f32 v43, v64, v50 :: v_dual_fmac_f32 v46, v65, v32
	ds_load_b128 v[47:50], v37 offset:112
	s_waitcnt lgkmcnt(4)
	v_dual_fmac_f32 v45, v66, v32 :: v_dual_fmac_f32 v44, v65, v51
	ds_load_2addr_b32 v[63:64], v69 offset0:128 offset1:144
	ds_load_b128 v[55:58], v37 offset:2160
	s_waitcnt lgkmcnt(4)
	v_dual_fmac_f32 v43, v66, v51 :: v_dual_fmac_f32 v46, v59, v33
	ds_load_2addr_b32 v[65:66], v69 offset0:160 offset1:176
	v_dual_fmac_f32 v45, v60, v33 :: v_dual_fmac_f32 v44, v59, v52
	v_dual_fmac_f32 v43, v60, v52 :: v_dual_fmac_f32 v46, v67, v34
	ds_load_2addr_b32 v[32:33], v69 offset0:192 offset1:208
	v_dual_fmac_f32 v45, v68, v34 :: v_dual_fmac_f32 v44, v67, v53
	s_waitcnt lgkmcnt(5)
	v_dual_fmac_f32 v43, v68, v53 :: v_dual_fmac_f32 v46, v61, v35
	ds_load_2addr_b32 v[51:52], v69 offset0:224 offset1:240
	v_dual_fmac_f32 v45, v62, v35 :: v_dual_fmac_f32 v44, v61, v54
	v_fmac_f32_e32 v43, v62, v54
	s_waitcnt lgkmcnt(0)
	s_barrier
	v_fmac_f32_e32 v46, v63, v47
	v_fmac_f32_e32 v45, v64, v47
	buffer_gl0_inv
	v_fmac_f32_e32 v46, v65, v48
	v_dual_fmac_f32 v44, v63, v55 :: v_dual_fmac_f32 v45, v66, v48
	v_fmac_f32_e32 v43, v64, v55
	s_delay_alu instid0(VALU_DEP_3) | instskip(NEXT) | instid1(VALU_DEP_3)
	v_fmac_f32_e32 v46, v32, v49
	v_fmac_f32_e32 v44, v65, v56
	s_delay_alu instid0(VALU_DEP_4) | instskip(NEXT) | instid1(VALU_DEP_3)
	v_fmac_f32_e32 v45, v33, v49
	v_dual_fmac_f32 v43, v66, v56 :: v_dual_fmac_f32 v46, v51, v50
	s_delay_alu instid0(VALU_DEP_3) | instskip(NEXT) | instid1(VALU_DEP_3)
	v_fmac_f32_e32 v44, v32, v57
	v_fmac_f32_e32 v45, v52, v50
	s_delay_alu instid0(VALU_DEP_2) | instskip(NEXT) | instid1(VALU_DEP_1)
	v_dual_fmac_f32 v43, v33, v57 :: v_dual_fmac_f32 v44, v51, v58
	v_fmac_f32_e32 v43, v52, v58
	s_cbranch_scc1 .LBB23_55
.LBB23_7:                               ;   Parent Loop BB23_4 Depth=1
                                        ; =>  This Inner Loop Header: Depth=2
	v_add_co_u32 v32, s5, v6, s34
	s_delay_alu instid0(VALU_DEP_1) | instskip(SKIP_1) | instid1(VALU_DEP_2)
	v_add_co_ci_u32_e64 v33, s5, s35, v7, s5
	v_cmp_eq_u64_e64 s7, s[34:35], v[12:13]
	v_cmp_lt_i64_e64 s5, v[32:33], v[10:11]
	v_cmp_le_i64_e64 s6, s[12:13], v[32:33]
	s_delay_alu instid0(VALU_DEP_3) | instskip(SKIP_1) | instid1(VALU_DEP_3)
	s_and_b32 s43, s38, s7
	v_add_co_u32 v34, s7, v20, v16
	s_or_b32 s8, s3, s5
	v_add_co_ci_u32_e64 v35, s7, v21, v17, s7
	s_delay_alu instid0(VALU_DEP_3) | instskip(NEXT) | instid1(SALU_CYCLE_1)
	s_or_b32 s8, s6, s8
	s_or_b32 s7, s8, s43
	s_delay_alu instid0(SALU_CYCLE_1) | instskip(NEXT) | instid1(SALU_CYCLE_1)
	s_xor_b32 s7, s7, -1
	s_and_saveexec_b32 s8, s7
	s_delay_alu instid0(SALU_CYCLE_1)
	s_xor_b32 s7, exec_lo, s8
	s_cbranch_execz .LBB23_9
; %bb.8:                                ;   in Loop: Header=BB23_7 Depth=2
	global_load_b32 v47, v[34:35], off
	s_waitcnt vmcnt(0)
	ds_store_b32 v38, v47
.LBB23_9:                               ;   in Loop: Header=BB23_7 Depth=2
	s_or_saveexec_b32 s7, s7
	s_xor_b32 s42, s43, -1
	s_xor_b32 exec_lo, exec_lo, s7
	s_cbranch_execz .LBB23_15
; %bb.10:                               ;   in Loop: Header=BB23_7 Depth=2
	s_and_saveexec_b32 s8, s42
	s_delay_alu instid0(SALU_CYCLE_1)
	s_xor_b32 s8, exec_lo, s8
	s_cbranch_execz .LBB23_12
; %bb.11:                               ;   in Loop: Header=BB23_7 Depth=2
	ds_store_b32 v38, v41
.LBB23_12:                              ;   in Loop: Header=BB23_7 Depth=2
	s_and_not1_saveexec_b32 s8, s8
	s_cbranch_execz .LBB23_14
; %bb.13:                               ;   in Loop: Header=BB23_7 Depth=2
	ds_store_b32 v38, v42
.LBB23_14:                              ;   in Loop: Header=BB23_7 Depth=2
	s_or_b32 exec_lo, exec_lo, s8
.LBB23_15:                              ;   in Loop: Header=BB23_7 Depth=2
	s_delay_alu instid0(SALU_CYCLE_1) | instskip(SKIP_1) | instid1(VALU_DEP_1)
	s_or_b32 exec_lo, exec_lo, s7
	v_add_co_u32 v47, s7, v32, 16
	v_add_co_ci_u32_e64 v48, s7, 0, v33, s7
	v_cmp_eq_u64_e64 s9, s[34:35], v[28:29]
	s_delay_alu instid0(VALU_DEP_2) | instskip(SKIP_1) | instid1(VALU_DEP_3)
	v_cmp_lt_i64_e64 s8, v[47:48], v[10:11]
	v_cmp_le_i64_e64 s7, s[12:13], v[47:48]
	s_and_b32 s9, s38, s9
	s_delay_alu instid0(VALU_DEP_2)
	s_or_b32 s8, s3, s8
	s_delay_alu instid0(VALU_DEP_1) | instid1(SALU_CYCLE_1)
	s_or_b32 s8, s7, s8
	s_delay_alu instid0(SALU_CYCLE_1) | instskip(NEXT) | instid1(SALU_CYCLE_1)
	s_or_b32 s8, s8, s9
	s_xor_b32 s8, s8, -1
	s_delay_alu instid0(SALU_CYCLE_1) | instskip(NEXT) | instid1(SALU_CYCLE_1)
	s_and_saveexec_b32 s45, s8
	s_xor_b32 s45, exec_lo, s45
	s_cbranch_execz .LBB23_17
; %bb.16:                               ;   in Loop: Header=BB23_7 Depth=2
	v_add_co_u32 v47, s8, v18, v16
	s_delay_alu instid0(VALU_DEP_1)
	v_add_co_ci_u32_e64 v48, s8, v19, v17, s8
	global_load_b32 v47, v[47:48], off
	s_waitcnt vmcnt(0)
	ds_store_b32 v38, v47 offset:64
.LBB23_17:                              ;   in Loop: Header=BB23_7 Depth=2
	s_and_not1_saveexec_b32 s8, s45
	s_cbranch_execz .LBB23_23
; %bb.18:                               ;   in Loop: Header=BB23_7 Depth=2
	s_xor_b32 s9, s9, -1
	s_delay_alu instid0(SALU_CYCLE_1) | instskip(NEXT) | instid1(SALU_CYCLE_1)
	s_and_saveexec_b32 s45, s9
	s_xor_b32 s9, exec_lo, s45
	s_cbranch_execz .LBB23_20
; %bb.19:                               ;   in Loop: Header=BB23_7 Depth=2
	ds_store_b32 v38, v41 offset:64
.LBB23_20:                              ;   in Loop: Header=BB23_7 Depth=2
	s_and_not1_saveexec_b32 s9, s9
	s_cbranch_execz .LBB23_22
; %bb.21:                               ;   in Loop: Header=BB23_7 Depth=2
	ds_store_b32 v38, v42 offset:64
.LBB23_22:                              ;   in Loop: Header=BB23_7 Depth=2
	s_or_b32 exec_lo, exec_lo, s9
.LBB23_23:                              ;   in Loop: Header=BB23_7 Depth=2
	s_delay_alu instid0(SALU_CYCLE_1) | instskip(SKIP_2) | instid1(VALU_DEP_2)
	s_or_b32 exec_lo, exec_lo, s8
	v_cmp_eq_u64_e64 s8, s[34:35], v[26:27]
	v_cmp_lt_i64_e64 s9, v[32:33], v[24:25]
	s_and_b32 s8, s38, s8
	s_delay_alu instid0(VALU_DEP_1) | instskip(NEXT) | instid1(SALU_CYCLE_1)
	s_or_b32 s9, s4, s9
	s_or_b32 s9, s9, s8
	s_delay_alu instid0(SALU_CYCLE_1) | instskip(NEXT) | instid1(SALU_CYCLE_1)
	s_or_b32 s6, s6, s9
	s_xor_b32 s6, s6, -1
	s_delay_alu instid0(SALU_CYCLE_1) | instskip(NEXT) | instid1(SALU_CYCLE_1)
	s_and_saveexec_b32 s9, s6
	s_xor_b32 s6, exec_lo, s9
	s_cbranch_execz .LBB23_25
; %bb.24:                               ;   in Loop: Header=BB23_7 Depth=2
	global_load_b32 v32, v[34:35], off offset:64
	s_waitcnt vmcnt(0)
	ds_store_b32 v38, v32 offset:2048
.LBB23_25:                              ;   in Loop: Header=BB23_7 Depth=2
	s_and_not1_saveexec_b32 s6, s6
	s_cbranch_execz .LBB23_31
; %bb.26:                               ;   in Loop: Header=BB23_7 Depth=2
	s_xor_b32 s8, s8, -1
	s_delay_alu instid0(SALU_CYCLE_1) | instskip(NEXT) | instid1(SALU_CYCLE_1)
	s_and_saveexec_b32 s9, s8
	s_xor_b32 s8, exec_lo, s9
	s_cbranch_execz .LBB23_28
; %bb.27:                               ;   in Loop: Header=BB23_7 Depth=2
	ds_store_b32 v38, v41 offset:2048
.LBB23_28:                              ;   in Loop: Header=BB23_7 Depth=2
	s_and_not1_saveexec_b32 s8, s8
	s_cbranch_execz .LBB23_30
; %bb.29:                               ;   in Loop: Header=BB23_7 Depth=2
	ds_store_b32 v38, v42 offset:2048
.LBB23_30:                              ;   in Loop: Header=BB23_7 Depth=2
	s_or_b32 exec_lo, exec_lo, s8
.LBB23_31:                              ;   in Loop: Header=BB23_7 Depth=2
	s_delay_alu instid0(SALU_CYCLE_1) | instskip(SKIP_1) | instid1(SALU_CYCLE_1)
	s_or_b32 exec_lo, exec_lo, s6
	s_or_b32 s5, s4, s5
	s_or_b32 s5, s7, s5
	s_delay_alu instid0(SALU_CYCLE_1) | instskip(NEXT) | instid1(SALU_CYCLE_1)
	s_or_b32 s5, s5, s43
	s_xor_b32 s5, s5, -1
	s_delay_alu instid0(SALU_CYCLE_1) | instskip(NEXT) | instid1(SALU_CYCLE_1)
	s_and_saveexec_b32 s6, s5
	s_xor_b32 s6, exec_lo, s6
	s_cbranch_execz .LBB23_33
; %bb.32:                               ;   in Loop: Header=BB23_7 Depth=2
	v_add_co_u32 v32, s5, v18, v16
	s_delay_alu instid0(VALU_DEP_1)
	v_add_co_ci_u32_e64 v33, s5, v19, v17, s5
	global_load_b32 v32, v[32:33], off offset:64
	s_waitcnt vmcnt(0)
	ds_store_b32 v38, v32 offset:2112
.LBB23_33:                              ;   in Loop: Header=BB23_7 Depth=2
	s_and_not1_saveexec_b32 s5, s6
	s_cbranch_execz .LBB23_39
; %bb.34:                               ;   in Loop: Header=BB23_7 Depth=2
	s_and_saveexec_b32 s6, s42
	s_delay_alu instid0(SALU_CYCLE_1)
	s_xor_b32 s6, exec_lo, s6
	s_cbranch_execz .LBB23_36
; %bb.35:                               ;   in Loop: Header=BB23_7 Depth=2
	ds_store_b32 v38, v41 offset:2112
.LBB23_36:                              ;   in Loop: Header=BB23_7 Depth=2
	s_and_not1_saveexec_b32 s6, s6
	s_cbranch_execz .LBB23_38
; %bb.37:                               ;   in Loop: Header=BB23_7 Depth=2
	ds_store_b32 v38, v42 offset:2112
.LBB23_38:                              ;   in Loop: Header=BB23_7 Depth=2
	s_or_b32 exec_lo, exec_lo, s6
.LBB23_39:                              ;   in Loop: Header=BB23_7 Depth=2
	s_delay_alu instid0(SALU_CYCLE_1) | instskip(SKIP_1) | instid1(VALU_DEP_1)
	s_or_b32 exec_lo, exec_lo, s5
	v_add_co_u32 v32, s5, v8, s34
	v_add_co_ci_u32_e64 v33, s5, s35, v9, s5
	v_add_co_u32 v34, s6, v30, v14
	s_delay_alu instid0(VALU_DEP_1) | instskip(NEXT) | instid1(VALU_DEP_3)
	v_add_co_ci_u32_e64 v35, s6, v31, v15, s6
	v_cmp_le_i64_e64 s5, s[12:13], v[32:33]
	s_delay_alu instid0(VALU_DEP_1) | instskip(NEXT) | instid1(SALU_CYCLE_1)
	s_or_b32 s6, s5, vcc_lo
	s_xor_b32 s6, s6, -1
	s_delay_alu instid0(SALU_CYCLE_1) | instskip(NEXT) | instid1(SALU_CYCLE_1)
	s_and_saveexec_b32 s7, s6
	s_xor_b32 s6, exec_lo, s7
	s_cbranch_execz .LBB23_41
; %bb.40:                               ;   in Loop: Header=BB23_7 Depth=2
	global_load_b32 v47, v[34:35], off offset:-64
	s_waitcnt vmcnt(0)
	ds_store_b32 v40, v47
.LBB23_41:                              ;   in Loop: Header=BB23_7 Depth=2
	s_and_not1_saveexec_b32 s6, s6
	s_cbranch_execz .LBB23_43
; %bb.42:                               ;   in Loop: Header=BB23_7 Depth=2
	ds_store_b32 v40, v41
.LBB23_43:                              ;   in Loop: Header=BB23_7 Depth=2
	s_or_b32 exec_lo, exec_lo, s6
	s_or_b32 s5, s5, s0
	s_delay_alu instid0(SALU_CYCLE_1) | instskip(NEXT) | instid1(SALU_CYCLE_1)
	s_xor_b32 s5, s5, -1
	s_and_saveexec_b32 s6, s5
	s_delay_alu instid0(SALU_CYCLE_1)
	s_xor_b32 s5, exec_lo, s6
	s_cbranch_execz .LBB23_45
; %bb.44:                               ;   in Loop: Header=BB23_7 Depth=2
	global_load_b32 v34, v[34:35], off
	s_waitcnt vmcnt(0)
	ds_store_b32 v40, v34 offset:64
.LBB23_45:                              ;   in Loop: Header=BB23_7 Depth=2
	s_and_not1_saveexec_b32 s5, s5
	s_cbranch_execz .LBB23_47
; %bb.46:                               ;   in Loop: Header=BB23_7 Depth=2
	ds_store_b32 v40, v41 offset:64
.LBB23_47:                              ;   in Loop: Header=BB23_7 Depth=2
	s_or_b32 exec_lo, exec_lo, s5
	v_cmp_le_i64_e64 s5, s[30:31], v[32:33]
	s_delay_alu instid0(VALU_DEP_1) | instskip(NEXT) | instid1(SALU_CYCLE_1)
	s_or_b32 s6, s5, vcc_lo
	s_xor_b32 s6, s6, -1
	s_delay_alu instid0(SALU_CYCLE_1) | instskip(NEXT) | instid1(SALU_CYCLE_1)
	s_and_saveexec_b32 s7, s6
	s_xor_b32 s7, exec_lo, s7
	s_cbranch_execz .LBB23_49
; %bb.48:                               ;   in Loop: Header=BB23_7 Depth=2
	v_add_co_u32 v32, s6, v30, v22
	s_delay_alu instid0(VALU_DEP_1)
	v_add_co_ci_u32_e64 v33, s6, v31, v23, s6
	global_load_b32 v32, v[32:33], off offset:-64
	s_waitcnt vmcnt(0)
	ds_store_b32 v40, v32 offset:2048
.LBB23_49:                              ;   in Loop: Header=BB23_7 Depth=2
	s_and_not1_saveexec_b32 s6, s7
	s_cbranch_execz .LBB23_51
; %bb.50:                               ;   in Loop: Header=BB23_7 Depth=2
	ds_store_b32 v40, v41 offset:2048
.LBB23_51:                              ;   in Loop: Header=BB23_7 Depth=2
	s_or_b32 exec_lo, exec_lo, s6
	s_or_b32 s5, s5, s0
	s_delay_alu instid0(SALU_CYCLE_1) | instskip(NEXT) | instid1(SALU_CYCLE_1)
	s_xor_b32 s5, s5, -1
	s_and_saveexec_b32 s6, s5
	s_delay_alu instid0(SALU_CYCLE_1)
	s_xor_b32 s6, exec_lo, s6
	s_cbranch_execz .LBB23_53
; %bb.52:                               ;   in Loop: Header=BB23_7 Depth=2
	v_add_co_u32 v32, s5, v30, v22
	s_delay_alu instid0(VALU_DEP_1)
	v_add_co_ci_u32_e64 v33, s5, v31, v23, s5
	global_load_b32 v32, v[32:33], off
	s_waitcnt vmcnt(0)
	ds_store_b32 v40, v32 offset:2112
.LBB23_53:                              ;   in Loop: Header=BB23_7 Depth=2
	s_and_not1_saveexec_b32 s5, s6
	s_cbranch_execz .LBB23_6
; %bb.54:                               ;   in Loop: Header=BB23_7 Depth=2
	ds_store_b32 v40, v41 offset:2112
	s_branch .LBB23_6
.LBB23_55:                              ;   in Loop: Header=BB23_4 Depth=1
	v_mul_lo_u32 v7, v11, s40
	v_mul_lo_u32 v9, v10, s41
	v_mad_u64_u32 v[11:12], null, v10, s40, 0
	v_cmp_gt_i32_e64 s3, s10, v10
	s_delay_alu instid0(VALU_DEP_2) | instskip(NEXT) | instid1(VALU_DEP_1)
	v_add3_u32 v12, v12, v9, v7
	v_lshlrev_b64 v[11:12], 2, v[11:12]
	s_delay_alu instid0(VALU_DEP_1) | instskip(NEXT) | instid1(VALU_DEP_1)
	v_add_co_u32 v7, s4, s36, v11
	v_add_co_ci_u32_e64 v9, s4, s37, v12, s4
	s_and_b32 s4, s1, s3
	s_delay_alu instid0(SALU_CYCLE_1)
	s_and_saveexec_b32 s5, s4
	s_cbranch_execz .LBB23_57
; %bb.56:                               ;   in Loop: Header=BB23_4 Depth=1
	v_add_co_u32 v11, s4, v7, v0
	s_delay_alu instid0(VALU_DEP_1)
	v_add_co_ci_u32_e64 v12, s4, v9, v1, s4
	global_load_b32 v13, v[11:12], off
	s_waitcnt vmcnt(0)
	v_fmac_f32_e32 v13, s11, v46
	global_store_b32 v[11:12], v13, off
.LBB23_57:                              ;   in Loop: Header=BB23_4 Depth=1
	s_or_b32 exec_lo, exec_lo, s5
	s_and_b32 s3, s2, s3
	s_delay_alu instid0(SALU_CYCLE_1)
	s_and_saveexec_b32 s4, s3
	s_cbranch_execz .LBB23_59
; %bb.58:                               ;   in Loop: Header=BB23_4 Depth=1
	v_lshlrev_b64 v[11:12], 2, v[4:5]
	s_delay_alu instid0(VALU_DEP_1) | instskip(NEXT) | instid1(VALU_DEP_1)
	v_add_co_u32 v11, s3, v7, v11
	v_add_co_ci_u32_e64 v12, s3, v9, v12, s3
	global_load_b32 v7, v[11:12], off
	s_waitcnt vmcnt(0)
	v_fmac_f32_e32 v7, s11, v45
	global_store_b32 v[11:12], v7, off
.LBB23_59:                              ;   in Loop: Header=BB23_4 Depth=1
	s_or_b32 exec_lo, exec_lo, s4
	v_add_nc_u32_e32 v7, 16, v10
	s_delay_alu instid0(VALU_DEP_1) | instskip(SKIP_3) | instid1(VALU_DEP_4)
	v_ashrrev_i32_e32 v11, 31, v7
	v_mul_lo_u32 v12, v7, s41
	v_mad_u64_u32 v[9:10], null, v7, s40, 0
	v_cmp_gt_i32_e64 s3, s10, v7
	v_mul_lo_u32 v11, v11, s40
	s_delay_alu instid0(VALU_DEP_1) | instskip(NEXT) | instid1(VALU_DEP_1)
	v_add3_u32 v10, v10, v12, v11
	v_lshlrev_b64 v[9:10], 2, v[9:10]
	s_delay_alu instid0(VALU_DEP_1) | instskip(NEXT) | instid1(VALU_DEP_1)
	v_add_co_u32 v7, s4, s36, v9
	v_add_co_ci_u32_e64 v9, s4, s37, v10, s4
	s_and_b32 s4, s1, s3
	s_delay_alu instid0(SALU_CYCLE_1)
	s_and_saveexec_b32 s5, s4
	s_cbranch_execz .LBB23_61
; %bb.60:                               ;   in Loop: Header=BB23_4 Depth=1
	v_add_co_u32 v10, s4, v7, v0
	s_delay_alu instid0(VALU_DEP_1)
	v_add_co_ci_u32_e64 v11, s4, v9, v1, s4
	global_load_b32 v12, v[10:11], off
	s_waitcnt vmcnt(0)
	v_fmac_f32_e32 v12, s11, v44
	global_store_b32 v[10:11], v12, off
.LBB23_61:                              ;   in Loop: Header=BB23_4 Depth=1
	s_or_b32 exec_lo, exec_lo, s5
	s_and_b32 s3, s2, s3
	s_delay_alu instid0(SALU_CYCLE_1)
	s_and_saveexec_b32 s4, s3
	s_cbranch_execz .LBB23_3
; %bb.62:                               ;   in Loop: Header=BB23_4 Depth=1
	v_lshlrev_b64 v[10:11], 2, v[4:5]
	s_delay_alu instid0(VALU_DEP_1) | instskip(NEXT) | instid1(VALU_DEP_1)
	v_add_co_u32 v10, s3, v7, v10
	v_add_co_ci_u32_e64 v11, s3, v9, v11, s3
	global_load_b32 v7, v[10:11], off
	s_waitcnt vmcnt(0)
	v_fmac_f32_e32 v7, s11, v43
	global_store_b32 v[10:11], v7, off
	s_branch .LBB23_3
.LBB23_63:
	s_nop 0
	s_sendmsg sendmsg(MSG_DEALLOC_VGPRS)
	s_endpgm
	.section	.rodata,"a",@progbits
	.p2align	6, 0x0
	.amdhsa_kernel _ZL30rocblas_trmm_outofplace_kernelIfLi32ELi2ELb0ELb1ELb1ELb1EfKffEv17rocblas_diagonal_iiT6_lPT7_lllS4_lllPT8_llli
		.amdhsa_group_segment_fixed_size 8192
		.amdhsa_private_segment_fixed_size 0
		.amdhsa_kernarg_size 384
		.amdhsa_user_sgpr_count 13
		.amdhsa_user_sgpr_dispatch_ptr 0
		.amdhsa_user_sgpr_queue_ptr 0
		.amdhsa_user_sgpr_kernarg_segment_ptr 1
		.amdhsa_user_sgpr_dispatch_id 0
		.amdhsa_user_sgpr_private_segment_size 0
		.amdhsa_wavefront_size32 1
		.amdhsa_uses_dynamic_stack 0
		.amdhsa_enable_private_segment 0
		.amdhsa_system_sgpr_workgroup_id_x 1
		.amdhsa_system_sgpr_workgroup_id_y 1
		.amdhsa_system_sgpr_workgroup_id_z 1
		.amdhsa_system_sgpr_workgroup_info 0
		.amdhsa_system_vgpr_workitem_id 1
		.amdhsa_next_free_vgpr 96
		.amdhsa_next_free_sgpr 46
		.amdhsa_reserve_vcc 1
		.amdhsa_float_round_mode_32 0
		.amdhsa_float_round_mode_16_64 0
		.amdhsa_float_denorm_mode_32 3
		.amdhsa_float_denorm_mode_16_64 3
		.amdhsa_dx10_clamp 1
		.amdhsa_ieee_mode 1
		.amdhsa_fp16_overflow 0
		.amdhsa_workgroup_processor_mode 1
		.amdhsa_memory_ordered 1
		.amdhsa_forward_progress 0
		.amdhsa_shared_vgpr_count 0
		.amdhsa_exception_fp_ieee_invalid_op 0
		.amdhsa_exception_fp_denorm_src 0
		.amdhsa_exception_fp_ieee_div_zero 0
		.amdhsa_exception_fp_ieee_overflow 0
		.amdhsa_exception_fp_ieee_underflow 0
		.amdhsa_exception_fp_ieee_inexact 0
		.amdhsa_exception_int_div_zero 0
	.end_amdhsa_kernel
	.section	.text._ZL30rocblas_trmm_outofplace_kernelIfLi32ELi2ELb0ELb1ELb1ELb1EfKffEv17rocblas_diagonal_iiT6_lPT7_lllS4_lllPT8_llli,"axG",@progbits,_ZL30rocblas_trmm_outofplace_kernelIfLi32ELi2ELb0ELb1ELb1ELb1EfKffEv17rocblas_diagonal_iiT6_lPT7_lllS4_lllPT8_llli,comdat
.Lfunc_end23:
	.size	_ZL30rocblas_trmm_outofplace_kernelIfLi32ELi2ELb0ELb1ELb1ELb1EfKffEv17rocblas_diagonal_iiT6_lPT7_lllS4_lllPT8_llli, .Lfunc_end23-_ZL30rocblas_trmm_outofplace_kernelIfLi32ELi2ELb0ELb1ELb1ELb1EfKffEv17rocblas_diagonal_iiT6_lPT7_lllS4_lllPT8_llli
                                        ; -- End function
	.section	.AMDGPU.csdata,"",@progbits
; Kernel info:
; codeLenInByte = 3464
; NumSgprs: 48
; NumVgprs: 96
; ScratchSize: 0
; MemoryBound: 0
; FloatMode: 240
; IeeeMode: 1
; LDSByteSize: 8192 bytes/workgroup (compile time only)
; SGPRBlocks: 5
; VGPRBlocks: 11
; NumSGPRsForWavesPerEU: 48
; NumVGPRsForWavesPerEU: 96
; Occupancy: 16
; WaveLimiterHint : 0
; COMPUTE_PGM_RSRC2:SCRATCH_EN: 0
; COMPUTE_PGM_RSRC2:USER_SGPR: 13
; COMPUTE_PGM_RSRC2:TRAP_HANDLER: 0
; COMPUTE_PGM_RSRC2:TGID_X_EN: 1
; COMPUTE_PGM_RSRC2:TGID_Y_EN: 1
; COMPUTE_PGM_RSRC2:TGID_Z_EN: 1
; COMPUTE_PGM_RSRC2:TIDIG_COMP_CNT: 1
	.section	.text._ZL23rocblas_trmm_lNx_kernelILi32EfPKfS0_fEv13rocblas_fill_17rocblas_diagonal_iiT1_lPT2_llS6_llPT3_lli,"axG",@progbits,_ZL23rocblas_trmm_lNx_kernelILi32EfPKfS0_fEv13rocblas_fill_17rocblas_diagonal_iiT1_lPT2_llS6_llPT3_lli,comdat
	.globl	_ZL23rocblas_trmm_lNx_kernelILi32EfPKfS0_fEv13rocblas_fill_17rocblas_diagonal_iiT1_lPT2_llS6_llPT3_lli ; -- Begin function _ZL23rocblas_trmm_lNx_kernelILi32EfPKfS0_fEv13rocblas_fill_17rocblas_diagonal_iiT1_lPT2_llS6_llPT3_lli
	.p2align	8
	.type	_ZL23rocblas_trmm_lNx_kernelILi32EfPKfS0_fEv13rocblas_fill_17rocblas_diagonal_iiT1_lPT2_llS6_llPT3_lli,@function
_ZL23rocblas_trmm_lNx_kernelILi32EfPKfS0_fEv13rocblas_fill_17rocblas_diagonal_iiT1_lPT2_llS6_llPT3_lli: ; @_ZL23rocblas_trmm_lNx_kernelILi32EfPKfS0_fEv13rocblas_fill_17rocblas_diagonal_iiT1_lPT2_llS6_llPT3_lli
; %bb.0:
	s_load_b512 s[16:31], s[0:1], 0x10
	s_waitcnt lgkmcnt(0)
	s_mul_i32 s2, s15, s19
	s_mul_hi_u32 s3, s15, s18
	s_delay_alu instid0(SALU_CYCLE_1) | instskip(SKIP_1) | instid1(SALU_CYCLE_1)
	s_add_i32 s3, s3, s2
	s_mul_i32 s2, s15, s18
	s_lshl_b64 s[2:3], s[2:3], 2
	s_delay_alu instid0(SALU_CYCLE_1) | instskip(SKIP_4) | instid1(VALU_DEP_1)
	s_add_u32 s2, s16, s2
	s_addc_u32 s3, s17, s3
	s_load_b32 s3, s[2:3], 0x0
	s_waitcnt lgkmcnt(0)
	v_cmp_eq_f32_e64 s2, s3, 0
	s_and_b32 vcc_lo, exec_lo, s2
	s_cbranch_vccnz .LBB24_15
; %bb.1:
	s_load_b128 s[4:7], s[0:1], 0x0
	v_bfe_u32 v1, v0, 10, 10
	v_dual_mov_b32 v5, 0 :: v_dual_and_b32 v4, 0x3ff, v0
	s_delay_alu instid0(VALU_DEP_2) | instskip(NEXT) | instid1(VALU_DEP_2)
	v_lshlrev_b32_e32 v2, 5, v1
	v_lshlrev_b32_e32 v0, 2, v4
	s_delay_alu instid0(VALU_DEP_2) | instskip(SKIP_4) | instid1(VALU_DEP_2)
	v_add_lshl_u32 v3, v2, v4, 2
	ds_store_2addr_stride64_b32 v3, v5, v5 offset1:16
	s_waitcnt lgkmcnt(0)
	v_cmp_gt_i32_e64 s2, s6, v1
	v_cmp_gt_i32_e32 vcc_lo, s6, v4
	s_and_b32 s2, s2, vcc_lo
	s_delay_alu instid0(SALU_CYCLE_1)
	s_and_saveexec_b32 s6, s2
	s_cbranch_execz .LBB24_3
; %bb.2:
	v_mad_u64_u32 v[5:6], null, v1, s22, 0
	s_mul_i32 s2, s15, s25
	s_mul_hi_u32 s9, s15, s24
	s_mul_i32 s8, s15, s24
	s_add_i32 s9, s9, s2
	s_delay_alu instid0(SALU_CYCLE_1) | instskip(NEXT) | instid1(VALU_DEP_1)
	s_lshl_b64 s[8:9], s[8:9], 2
	v_mad_u64_u32 v[7:8], null, v1, s23, v[6:7]
	s_add_u32 s2, s20, s8
	s_addc_u32 s8, s21, s9
	s_delay_alu instid0(VALU_DEP_1) | instskip(NEXT) | instid1(VALU_DEP_1)
	v_mov_b32_e32 v6, v7
	v_lshlrev_b64 v[5:6], 2, v[5:6]
	s_delay_alu instid0(VALU_DEP_1) | instskip(NEXT) | instid1(VALU_DEP_1)
	v_add_co_u32 v5, s2, s2, v5
	v_add_co_ci_u32_e64 v6, s2, s8, v6, s2
	s_delay_alu instid0(VALU_DEP_2) | instskip(NEXT) | instid1(VALU_DEP_1)
	v_add_co_u32 v5, s2, v5, v0
	v_add_co_ci_u32_e64 v6, s2, 0, v6, s2
	global_load_b32 v5, v[5:6], off
	s_waitcnt vmcnt(0)
	ds_store_b32 v3, v5
.LBB24_3:
	s_or_b32 exec_lo, exec_lo, s6
	s_add_i32 s2, s7, -1
	s_delay_alu instid0(SALU_CYCLE_1) | instskip(NEXT) | instid1(SALU_CYCLE_1)
	s_ashr_i32 s6, s2, 31
	s_lshr_b32 s6, s6, 27
	s_delay_alu instid0(SALU_CYCLE_1) | instskip(NEXT) | instid1(SALU_CYCLE_1)
	s_add_i32 s2, s2, s6
	s_and_b32 s6, s2, 0xffffffe0
	s_ashr_i32 s2, s2, 5
	s_sub_i32 s6, s7, s6
	s_cmp_ge_i32 s14, s2
	s_cselect_b32 s2, s6, 32
	s_lshl_b32 s6, s14, 5
	v_cmp_gt_i32_e64 s2, s2, v1
	s_ashr_i32 s7, s6, 31
	s_delay_alu instid0(VALU_DEP_1) | instskip(NEXT) | instid1(SALU_CYCLE_1)
	s_and_b32 s2, vcc_lo, s2
	s_and_saveexec_b32 s8, s2
	s_cbranch_execz .LBB24_5
; %bb.4:
	v_mad_u64_u32 v[5:6], null, v1, s28, 0
	s_mul_i32 s9, s15, s31
	s_mul_hi_u32 s11, s15, s30
	s_mul_i32 s10, s15, s30
	s_add_i32 s11, s11, s9
	s_mul_i32 s12, s6, s29
	s_lshl_b64 s[10:11], s[10:11], 2
	s_delay_alu instid0(VALU_DEP_1)
	v_mad_u64_u32 v[7:8], null, v1, s29, v[6:7]
	s_mul_hi_u32 s9, s6, s28
	s_add_u32 s14, s26, s10
	s_mul_i32 s13, s7, s28
	s_addc_u32 s16, s27, s11
	s_add_i32 s9, s9, s12
	s_mul_i32 s10, s6, s28
	s_delay_alu instid0(VALU_DEP_1) | instskip(SKIP_1) | instid1(SALU_CYCLE_1)
	v_mov_b32_e32 v6, v7
	s_add_i32 s11, s9, s13
	s_lshl_b64 s[10:11], s[10:11], 2
	s_delay_alu instid0(SALU_CYCLE_1) | instskip(NEXT) | instid1(VALU_DEP_1)
	s_add_u32 s9, s14, s10
	v_lshlrev_b64 v[5:6], 2, v[5:6]
	s_addc_u32 s10, s16, s11
	s_delay_alu instid0(VALU_DEP_1) | instskip(NEXT) | instid1(VALU_DEP_2)
	v_add_co_u32 v5, vcc_lo, s9, v5
	v_add_co_ci_u32_e32 v6, vcc_lo, s10, v6, vcc_lo
	s_delay_alu instid0(VALU_DEP_2) | instskip(NEXT) | instid1(VALU_DEP_2)
	v_add_co_u32 v5, vcc_lo, v5, v0
	v_add_co_ci_u32_e32 v6, vcc_lo, 0, v6, vcc_lo
	global_load_b32 v5, v[5:6], off
	v_add_nc_u32_e32 v6, 0x1000, v3
	s_waitcnt vmcnt(0)
	ds_store_b32 v6, v5
.LBB24_5:
	s_or_b32 exec_lo, exec_lo, s8
	v_cmp_eq_u32_e32 vcc_lo, v1, v4
	s_cmpk_eq_i32 s5, 0x84
	s_cselect_b32 s5, -1, 0
	s_delay_alu instid0(SALU_CYCLE_1) | instskip(NEXT) | instid1(SALU_CYCLE_1)
	s_and_b32 s8, vcc_lo, s5
	s_and_saveexec_b32 s5, s8
	s_cbranch_execz .LBB24_7
; %bb.6:
	v_mov_b32_e32 v5, 1.0
	ds_store_b32 v3, v5
.LBB24_7:
	s_or_b32 exec_lo, exec_lo, s5
	s_cmpk_lg_i32 s4, 0x79
	s_cbranch_scc0 .LBB24_9
; %bb.8:
	v_cmp_lt_u32_e32 vcc_lo, v4, v1
	s_and_b32 s4, vcc_lo, exec_lo
	s_cbranch_execz .LBB24_10
	s_branch .LBB24_11
.LBB24_9:
	s_mov_b32 s4, 0
.LBB24_10:
	v_cmp_gt_u32_e32 vcc_lo, v4, v1
	s_and_not1_b32 s4, s4, exec_lo
	s_and_b32 s5, vcc_lo, exec_lo
	s_delay_alu instid0(SALU_CYCLE_1)
	s_or_b32 s4, s4, s5
.LBB24_11:
	s_delay_alu instid0(SALU_CYCLE_1)
	s_and_saveexec_b32 s5, s4
	s_cbranch_execz .LBB24_13
; %bb.12:
	v_mov_b32_e32 v4, 0
	ds_store_b32 v3, v4
.LBB24_13:
	s_or_b32 exec_lo, exec_lo, s5
	s_waitcnt lgkmcnt(0)
	s_barrier
	buffer_gl0_inv
	s_and_saveexec_b32 s4, s2
	s_cbranch_execz .LBB24_15
; %bb.14:
	v_lshlrev_b32_e32 v16, 2, v2
	s_clause 0x1
	s_load_b128 s[8:11], s[0:1], 0x50
	s_load_b64 s[0:1], s[0:1], 0x60
	ds_load_2addr_b32 v[10:11], v0 offset1:32
	ds_load_b128 v[2:5], v16 offset:4096
	ds_load_2addr_b32 v[12:13], v0 offset0:64 offset1:96
	ds_load_2addr_b32 v[14:15], v0 offset0:128 offset1:160
	ds_load_b128 v[6:9], v16 offset:4112
	v_add_nc_u32_e32 v17, 0x400, v0
	v_add_nc_u32_e32 v19, 0xc00, v0
	s_waitcnt lgkmcnt(0)
	v_fma_f32 v18, v10, v2, 0
	s_mul_i32 s1, s15, s1
	s_mul_hi_u32 s2, s15, s0
	s_mul_i32 s0, s15, s0
	s_add_i32 s1, s2, s1
	v_fmac_f32_e32 v18, v11, v3
	ds_load_2addr_b32 v[10:11], v0 offset0:192 offset1:224
	s_lshl_b64 s[0:1], s[0:1], 2
	s_mul_i32 s5, s6, s11
	s_mul_hi_u32 s12, s6, s10
	v_fmac_f32_e32 v18, v12, v4
	s_add_u32 s2, s8, s0
	s_mul_i32 s7, s7, s10
	s_mul_i32 s4, s6, s10
	s_addc_u32 s6, s9, s1
	v_fmac_f32_e32 v18, v13, v5
	ds_load_2addr_b32 v[12:13], v17 offset1:32
	ds_load_b128 v[2:5], v16 offset:4128
	s_add_i32 s0, s12, s5
	v_fmac_f32_e32 v18, v14, v6
	s_add_i32 s5, s0, s7
	s_delay_alu instid0(SALU_CYCLE_1) | instskip(NEXT) | instid1(SALU_CYCLE_1)
	s_lshl_b64 s[0:1], s[4:5], 2
	s_add_u32 s0, s2, s0
	s_delay_alu instid0(VALU_DEP_1) | instskip(SKIP_4) | instid1(VALU_DEP_1)
	v_fmac_f32_e32 v18, v15, v7
	ds_load_2addr_b32 v[14:15], v17 offset0:64 offset1:96
	s_addc_u32 s1, s6, s1
	s_waitcnt lgkmcnt(3)
	v_fmac_f32_e32 v18, v10, v8
	v_fmac_f32_e32 v18, v11, v9
	ds_load_b128 v[6:9], v16 offset:4144
	ds_load_2addr_b32 v[10:11], v17 offset0:128 offset1:160
	s_waitcnt lgkmcnt(3)
	v_fmac_f32_e32 v18, v12, v2
	s_delay_alu instid0(VALU_DEP_1) | instskip(SKIP_4) | instid1(VALU_DEP_1)
	v_fmac_f32_e32 v18, v13, v3
	ds_load_2addr_b32 v[12:13], v17 offset0:192 offset1:224
	v_add_nc_u32_e32 v17, 0x800, v0
	s_waitcnt lgkmcnt(3)
	v_fmac_f32_e32 v18, v14, v4
	v_fmac_f32_e32 v18, v15, v5
	ds_load_2addr_b32 v[14:15], v17 offset1:32
	ds_load_b128 v[2:5], v16 offset:4160
	s_waitcnt lgkmcnt(3)
	v_fmac_f32_e32 v18, v10, v6
	s_delay_alu instid0(VALU_DEP_1) | instskip(SKIP_3) | instid1(VALU_DEP_1)
	v_fmac_f32_e32 v18, v11, v7
	ds_load_2addr_b32 v[10:11], v17 offset0:64 offset1:96
	s_waitcnt lgkmcnt(3)
	v_fmac_f32_e32 v18, v12, v8
	v_fmac_f32_e32 v18, v13, v9
	ds_load_2addr_b32 v[12:13], v17 offset0:128 offset1:160
	ds_load_b128 v[6:9], v16 offset:4176
	s_waitcnt lgkmcnt(3)
	v_fmac_f32_e32 v18, v14, v2
	s_delay_alu instid0(VALU_DEP_1) | instskip(SKIP_3) | instid1(VALU_DEP_1)
	v_fmac_f32_e32 v18, v15, v3
	ds_load_2addr_b32 v[14:15], v17 offset0:192 offset1:224
	s_waitcnt lgkmcnt(3)
	v_fmac_f32_e32 v18, v10, v4
	v_fmac_f32_e32 v18, v11, v5
	ds_load_2addr_b32 v[10:11], v19 offset1:32
	ds_load_b128 v[2:5], v16 offset:4192
	s_waitcnt lgkmcnt(3)
	v_fmac_f32_e32 v18, v12, v6
	s_delay_alu instid0(VALU_DEP_1) | instskip(SKIP_3) | instid1(VALU_DEP_1)
	v_fmac_f32_e32 v18, v13, v7
	ds_load_2addr_b32 v[12:13], v19 offset0:64 offset1:96
	s_waitcnt lgkmcnt(3)
	v_fmac_f32_e32 v18, v14, v8
	v_fmac_f32_e32 v18, v15, v9
	ds_load_2addr_b32 v[14:15], v19 offset0:128 offset1:160
	ds_load_b128 v[6:9], v16 offset:4208
	v_mad_u64_u32 v[16:17], null, v1, s10, 0
	s_waitcnt lgkmcnt(3)
	v_fmac_f32_e32 v18, v10, v2
	s_delay_alu instid0(VALU_DEP_1) | instskip(SKIP_3) | instid1(VALU_DEP_1)
	v_fmac_f32_e32 v18, v11, v3
	ds_load_2addr_b32 v[2:3], v19 offset0:192 offset1:224
	s_waitcnt lgkmcnt(3)
	v_fmac_f32_e32 v18, v12, v4
	v_fmac_f32_e32 v18, v13, v5
	s_waitcnt lgkmcnt(1)
	s_delay_alu instid0(VALU_DEP_1) | instskip(NEXT) | instid1(VALU_DEP_1)
	v_fmac_f32_e32 v18, v14, v6
	v_fmac_f32_e32 v18, v15, v7
	s_waitcnt lgkmcnt(0)
	s_delay_alu instid0(VALU_DEP_1) | instskip(NEXT) | instid1(VALU_DEP_1)
	v_fmac_f32_e32 v18, v2, v8
	v_fmac_f32_e32 v18, v3, v9
	s_delay_alu instid0(VALU_DEP_1) | instskip(NEXT) | instid1(VALU_DEP_1)
	v_dual_mov_b32 v4, v17 :: v_dual_mul_f32 v3, s3, v18
	v_mad_u64_u32 v[10:11], null, v1, s11, v[4:5]
	s_delay_alu instid0(VALU_DEP_1) | instskip(NEXT) | instid1(VALU_DEP_1)
	v_mov_b32_e32 v17, v10
	v_lshlrev_b64 v[1:2], 2, v[16:17]
	s_delay_alu instid0(VALU_DEP_1) | instskip(NEXT) | instid1(VALU_DEP_2)
	v_add_co_u32 v1, vcc_lo, s0, v1
	v_add_co_ci_u32_e32 v2, vcc_lo, s1, v2, vcc_lo
	s_delay_alu instid0(VALU_DEP_2) | instskip(NEXT) | instid1(VALU_DEP_2)
	v_add_co_u32 v0, vcc_lo, v1, v0
	v_add_co_ci_u32_e32 v1, vcc_lo, 0, v2, vcc_lo
	global_store_b32 v[0:1], v3, off
.LBB24_15:
	s_nop 0
	s_sendmsg sendmsg(MSG_DEALLOC_VGPRS)
	s_endpgm
	.section	.rodata,"a",@progbits
	.p2align	6, 0x0
	.amdhsa_kernel _ZL23rocblas_trmm_lNx_kernelILi32EfPKfS0_fEv13rocblas_fill_17rocblas_diagonal_iiT1_lPT2_llS6_llPT3_lli
		.amdhsa_group_segment_fixed_size 8192
		.amdhsa_private_segment_fixed_size 0
		.amdhsa_kernarg_size 108
		.amdhsa_user_sgpr_count 14
		.amdhsa_user_sgpr_dispatch_ptr 0
		.amdhsa_user_sgpr_queue_ptr 0
		.amdhsa_user_sgpr_kernarg_segment_ptr 1
		.amdhsa_user_sgpr_dispatch_id 0
		.amdhsa_user_sgpr_private_segment_size 0
		.amdhsa_wavefront_size32 1
		.amdhsa_uses_dynamic_stack 0
		.amdhsa_enable_private_segment 0
		.amdhsa_system_sgpr_workgroup_id_x 1
		.amdhsa_system_sgpr_workgroup_id_y 0
		.amdhsa_system_sgpr_workgroup_id_z 1
		.amdhsa_system_sgpr_workgroup_info 0
		.amdhsa_system_vgpr_workitem_id 1
		.amdhsa_next_free_vgpr 20
		.amdhsa_next_free_sgpr 32
		.amdhsa_reserve_vcc 1
		.amdhsa_float_round_mode_32 0
		.amdhsa_float_round_mode_16_64 0
		.amdhsa_float_denorm_mode_32 3
		.amdhsa_float_denorm_mode_16_64 3
		.amdhsa_dx10_clamp 1
		.amdhsa_ieee_mode 1
		.amdhsa_fp16_overflow 0
		.amdhsa_workgroup_processor_mode 1
		.amdhsa_memory_ordered 1
		.amdhsa_forward_progress 0
		.amdhsa_shared_vgpr_count 0
		.amdhsa_exception_fp_ieee_invalid_op 0
		.amdhsa_exception_fp_denorm_src 0
		.amdhsa_exception_fp_ieee_div_zero 0
		.amdhsa_exception_fp_ieee_overflow 0
		.amdhsa_exception_fp_ieee_underflow 0
		.amdhsa_exception_fp_ieee_inexact 0
		.amdhsa_exception_int_div_zero 0
	.end_amdhsa_kernel
	.section	.text._ZL23rocblas_trmm_lNx_kernelILi32EfPKfS0_fEv13rocblas_fill_17rocblas_diagonal_iiT1_lPT2_llS6_llPT3_lli,"axG",@progbits,_ZL23rocblas_trmm_lNx_kernelILi32EfPKfS0_fEv13rocblas_fill_17rocblas_diagonal_iiT1_lPT2_llS6_llPT3_lli,comdat
.Lfunc_end24:
	.size	_ZL23rocblas_trmm_lNx_kernelILi32EfPKfS0_fEv13rocblas_fill_17rocblas_diagonal_iiT1_lPT2_llS6_llPT3_lli, .Lfunc_end24-_ZL23rocblas_trmm_lNx_kernelILi32EfPKfS0_fEv13rocblas_fill_17rocblas_diagonal_iiT1_lPT2_llS6_llPT3_lli
                                        ; -- End function
	.section	.AMDGPU.csdata,"",@progbits
; Kernel info:
; codeLenInByte = 1312
; NumSgprs: 34
; NumVgprs: 20
; ScratchSize: 0
; MemoryBound: 0
; FloatMode: 240
; IeeeMode: 1
; LDSByteSize: 8192 bytes/workgroup (compile time only)
; SGPRBlocks: 4
; VGPRBlocks: 2
; NumSGPRsForWavesPerEU: 34
; NumVGPRsForWavesPerEU: 20
; Occupancy: 16
; WaveLimiterHint : 0
; COMPUTE_PGM_RSRC2:SCRATCH_EN: 0
; COMPUTE_PGM_RSRC2:USER_SGPR: 14
; COMPUTE_PGM_RSRC2:TRAP_HANDLER: 0
; COMPUTE_PGM_RSRC2:TGID_X_EN: 1
; COMPUTE_PGM_RSRC2:TGID_Y_EN: 0
; COMPUTE_PGM_RSRC2:TGID_Z_EN: 1
; COMPUTE_PGM_RSRC2:TIDIG_COMP_CNT: 1
	.section	.text._ZL23rocblas_trmm_lNx_kernelILi32EffKffEv13rocblas_fill_17rocblas_diagonal_iiT1_lPT2_llS5_llPT3_lli,"axG",@progbits,_ZL23rocblas_trmm_lNx_kernelILi32EffKffEv13rocblas_fill_17rocblas_diagonal_iiT1_lPT2_llS5_llPT3_lli,comdat
	.globl	_ZL23rocblas_trmm_lNx_kernelILi32EffKffEv13rocblas_fill_17rocblas_diagonal_iiT1_lPT2_llS5_llPT3_lli ; -- Begin function _ZL23rocblas_trmm_lNx_kernelILi32EffKffEv13rocblas_fill_17rocblas_diagonal_iiT1_lPT2_llS5_llPT3_lli
	.p2align	8
	.type	_ZL23rocblas_trmm_lNx_kernelILi32EffKffEv13rocblas_fill_17rocblas_diagonal_iiT1_lPT2_llS5_llPT3_lli,@function
_ZL23rocblas_trmm_lNx_kernelILi32EffKffEv13rocblas_fill_17rocblas_diagonal_iiT1_lPT2_llS5_llPT3_lli: ; @_ZL23rocblas_trmm_lNx_kernelILi32EffKffEv13rocblas_fill_17rocblas_diagonal_iiT1_lPT2_llS5_llPT3_lli
; %bb.0:
	s_load_b32 s3, s[0:1], 0x10
	s_waitcnt lgkmcnt(0)
	v_cmp_eq_f32_e64 s2, s3, 0
	s_delay_alu instid0(VALU_DEP_1)
	s_and_b32 vcc_lo, exec_lo, s2
	s_cbranch_vccnz .LBB25_15
; %bb.1:
	s_clause 0x1
	s_load_b128 s[4:7], s[0:1], 0x0
	s_load_b512 s[16:31], s[0:1], 0x20
	v_bfe_u32 v1, v0, 10, 10
	v_dual_mov_b32 v5, 0 :: v_dual_and_b32 v4, 0x3ff, v0
	s_delay_alu instid0(VALU_DEP_2) | instskip(NEXT) | instid1(VALU_DEP_2)
	v_lshlrev_b32_e32 v2, 5, v1
	v_lshlrev_b32_e32 v0, 2, v4
	s_delay_alu instid0(VALU_DEP_2) | instskip(SKIP_4) | instid1(VALU_DEP_2)
	v_add_lshl_u32 v3, v2, v4, 2
	ds_store_2addr_stride64_b32 v3, v5, v5 offset1:16
	s_waitcnt lgkmcnt(0)
	v_cmp_gt_i32_e64 s2, s6, v1
	v_cmp_gt_i32_e32 vcc_lo, s6, v4
	s_and_b32 s2, s2, vcc_lo
	s_delay_alu instid0(SALU_CYCLE_1)
	s_and_saveexec_b32 s6, s2
	s_cbranch_execz .LBB25_3
; %bb.2:
	v_mad_u64_u32 v[5:6], null, v1, s18, 0
	s_mul_i32 s2, s15, s21
	s_mul_hi_u32 s9, s15, s20
	s_mul_i32 s8, s15, s20
	s_add_i32 s9, s9, s2
	s_delay_alu instid0(SALU_CYCLE_1) | instskip(NEXT) | instid1(VALU_DEP_1)
	s_lshl_b64 s[8:9], s[8:9], 2
	v_mad_u64_u32 v[7:8], null, v1, s19, v[6:7]
	s_add_u32 s2, s16, s8
	s_addc_u32 s8, s17, s9
	s_delay_alu instid0(VALU_DEP_1) | instskip(NEXT) | instid1(VALU_DEP_1)
	v_mov_b32_e32 v6, v7
	v_lshlrev_b64 v[5:6], 2, v[5:6]
	s_delay_alu instid0(VALU_DEP_1) | instskip(NEXT) | instid1(VALU_DEP_1)
	v_add_co_u32 v5, s2, s2, v5
	v_add_co_ci_u32_e64 v6, s2, s8, v6, s2
	s_delay_alu instid0(VALU_DEP_2) | instskip(NEXT) | instid1(VALU_DEP_1)
	v_add_co_u32 v5, s2, v5, v0
	v_add_co_ci_u32_e64 v6, s2, 0, v6, s2
	global_load_b32 v5, v[5:6], off
	s_waitcnt vmcnt(0)
	ds_store_b32 v3, v5
.LBB25_3:
	s_or_b32 exec_lo, exec_lo, s6
	s_add_i32 s2, s7, -1
	s_delay_alu instid0(SALU_CYCLE_1) | instskip(NEXT) | instid1(SALU_CYCLE_1)
	s_ashr_i32 s6, s2, 31
	s_lshr_b32 s6, s6, 27
	s_delay_alu instid0(SALU_CYCLE_1) | instskip(NEXT) | instid1(SALU_CYCLE_1)
	s_add_i32 s2, s2, s6
	s_and_b32 s6, s2, 0xffffffe0
	s_ashr_i32 s2, s2, 5
	s_sub_i32 s6, s7, s6
	s_cmp_ge_i32 s14, s2
	s_cselect_b32 s2, s6, 32
	s_lshl_b32 s6, s14, 5
	v_cmp_gt_i32_e64 s2, s2, v1
	s_ashr_i32 s7, s6, 31
	s_delay_alu instid0(VALU_DEP_1) | instskip(NEXT) | instid1(SALU_CYCLE_1)
	s_and_b32 s2, vcc_lo, s2
	s_and_saveexec_b32 s8, s2
	s_cbranch_execz .LBB25_5
; %bb.4:
	v_mad_u64_u32 v[5:6], null, v1, s24, 0
	s_mul_i32 s9, s15, s27
	s_mul_hi_u32 s11, s15, s26
	s_mul_i32 s10, s15, s26
	s_add_i32 s11, s11, s9
	s_mul_i32 s12, s6, s25
	s_lshl_b64 s[10:11], s[10:11], 2
	s_delay_alu instid0(VALU_DEP_1)
	v_mad_u64_u32 v[7:8], null, v1, s25, v[6:7]
	s_mul_hi_u32 s9, s6, s24
	s_add_u32 s14, s22, s10
	s_mul_i32 s13, s7, s24
	s_addc_u32 s16, s23, s11
	s_add_i32 s9, s9, s12
	s_mul_i32 s10, s6, s24
	s_delay_alu instid0(VALU_DEP_1) | instskip(SKIP_1) | instid1(SALU_CYCLE_1)
	v_mov_b32_e32 v6, v7
	s_add_i32 s11, s9, s13
	s_lshl_b64 s[10:11], s[10:11], 2
	s_delay_alu instid0(SALU_CYCLE_1) | instskip(NEXT) | instid1(VALU_DEP_1)
	s_add_u32 s9, s14, s10
	v_lshlrev_b64 v[5:6], 2, v[5:6]
	s_addc_u32 s10, s16, s11
	s_delay_alu instid0(VALU_DEP_1) | instskip(NEXT) | instid1(VALU_DEP_2)
	v_add_co_u32 v5, vcc_lo, s9, v5
	v_add_co_ci_u32_e32 v6, vcc_lo, s10, v6, vcc_lo
	s_delay_alu instid0(VALU_DEP_2) | instskip(NEXT) | instid1(VALU_DEP_2)
	v_add_co_u32 v5, vcc_lo, v5, v0
	v_add_co_ci_u32_e32 v6, vcc_lo, 0, v6, vcc_lo
	global_load_b32 v5, v[5:6], off
	v_add_nc_u32_e32 v6, 0x1000, v3
	s_waitcnt vmcnt(0)
	ds_store_b32 v6, v5
.LBB25_5:
	s_or_b32 exec_lo, exec_lo, s8
	v_cmp_eq_u32_e32 vcc_lo, v1, v4
	s_cmpk_eq_i32 s5, 0x84
	s_cselect_b32 s5, -1, 0
	s_delay_alu instid0(SALU_CYCLE_1) | instskip(NEXT) | instid1(SALU_CYCLE_1)
	s_and_b32 s8, vcc_lo, s5
	s_and_saveexec_b32 s5, s8
	s_cbranch_execz .LBB25_7
; %bb.6:
	v_mov_b32_e32 v5, 1.0
	ds_store_b32 v3, v5
.LBB25_7:
	s_or_b32 exec_lo, exec_lo, s5
	s_cmpk_lg_i32 s4, 0x79
	s_cbranch_scc0 .LBB25_9
; %bb.8:
	v_cmp_lt_u32_e32 vcc_lo, v4, v1
	s_and_b32 s4, vcc_lo, exec_lo
	s_cbranch_execz .LBB25_10
	s_branch .LBB25_11
.LBB25_9:
	s_mov_b32 s4, 0
.LBB25_10:
	v_cmp_gt_u32_e32 vcc_lo, v4, v1
	s_and_not1_b32 s4, s4, exec_lo
	s_and_b32 s5, vcc_lo, exec_lo
	s_delay_alu instid0(SALU_CYCLE_1)
	s_or_b32 s4, s4, s5
.LBB25_11:
	s_delay_alu instid0(SALU_CYCLE_1)
	s_and_saveexec_b32 s5, s4
	s_cbranch_execz .LBB25_13
; %bb.12:
	v_mov_b32_e32 v4, 0
	ds_store_b32 v3, v4
.LBB25_13:
	s_or_b32 exec_lo, exec_lo, s5
	s_waitcnt lgkmcnt(0)
	s_barrier
	buffer_gl0_inv
	s_and_saveexec_b32 s4, s2
	s_cbranch_execz .LBB25_15
; %bb.14:
	v_lshlrev_b32_e32 v16, 2, v2
	s_load_b64 s[0:1], s[0:1], 0x60
	s_mul_i32 s2, s6, s31
	s_mul_hi_u32 s5, s6, s30
	ds_load_2addr_b32 v[10:11], v0 offset1:32
	ds_load_b128 v[2:5], v16 offset:4096
	ds_load_2addr_b32 v[12:13], v0 offset0:64 offset1:96
	ds_load_2addr_b32 v[14:15], v0 offset0:128 offset1:160
	ds_load_b128 v[6:9], v16 offset:4112
	s_mul_i32 s7, s7, s30
	v_add_nc_u32_e32 v17, 0x400, v0
	v_add_nc_u32_e32 v19, 0xc00, v0
	s_waitcnt lgkmcnt(0)
	v_fma_f32 v18, v10, v2, 0
	s_mul_i32 s1, s15, s1
	s_mul_hi_u32 s4, s15, s0
	s_mul_i32 s0, s15, s0
	s_add_i32 s1, s4, s1
	v_fmac_f32_e32 v18, v11, v3
	ds_load_2addr_b32 v[10:11], v0 offset0:192 offset1:224
	s_lshl_b64 s[0:1], s[0:1], 2
	s_mul_i32 s4, s6, s30
	s_add_u32 s6, s28, s0
	v_fmac_f32_e32 v18, v12, v4
	s_addc_u32 s8, s29, s1
	s_add_i32 s0, s5, s2
	s_delay_alu instid0(SALU_CYCLE_1) | instskip(NEXT) | instid1(VALU_DEP_1)
	s_add_i32 s5, s0, s7
	v_fmac_f32_e32 v18, v13, v5
	ds_load_2addr_b32 v[12:13], v17 offset1:32
	ds_load_b128 v[2:5], v16 offset:4128
	s_lshl_b64 s[0:1], s[4:5], 2
	v_fmac_f32_e32 v18, v14, v6
	s_add_u32 s0, s6, s0
	s_addc_u32 s1, s8, s1
	s_delay_alu instid0(VALU_DEP_1) | instskip(SKIP_3) | instid1(VALU_DEP_1)
	v_fmac_f32_e32 v18, v15, v7
	ds_load_2addr_b32 v[14:15], v17 offset0:64 offset1:96
	s_waitcnt lgkmcnt(3)
	v_fmac_f32_e32 v18, v10, v8
	v_fmac_f32_e32 v18, v11, v9
	ds_load_b128 v[6:9], v16 offset:4144
	ds_load_2addr_b32 v[10:11], v17 offset0:128 offset1:160
	s_waitcnt lgkmcnt(3)
	v_fmac_f32_e32 v18, v12, v2
	s_delay_alu instid0(VALU_DEP_1) | instskip(SKIP_4) | instid1(VALU_DEP_1)
	v_fmac_f32_e32 v18, v13, v3
	ds_load_2addr_b32 v[12:13], v17 offset0:192 offset1:224
	v_add_nc_u32_e32 v17, 0x800, v0
	s_waitcnt lgkmcnt(3)
	v_fmac_f32_e32 v18, v14, v4
	v_fmac_f32_e32 v18, v15, v5
	ds_load_2addr_b32 v[14:15], v17 offset1:32
	ds_load_b128 v[2:5], v16 offset:4160
	s_waitcnt lgkmcnt(3)
	v_fmac_f32_e32 v18, v10, v6
	s_delay_alu instid0(VALU_DEP_1) | instskip(SKIP_3) | instid1(VALU_DEP_1)
	v_fmac_f32_e32 v18, v11, v7
	ds_load_2addr_b32 v[10:11], v17 offset0:64 offset1:96
	s_waitcnt lgkmcnt(3)
	v_fmac_f32_e32 v18, v12, v8
	v_fmac_f32_e32 v18, v13, v9
	ds_load_2addr_b32 v[12:13], v17 offset0:128 offset1:160
	ds_load_b128 v[6:9], v16 offset:4176
	s_waitcnt lgkmcnt(3)
	v_fmac_f32_e32 v18, v14, v2
	s_delay_alu instid0(VALU_DEP_1) | instskip(SKIP_3) | instid1(VALU_DEP_1)
	v_fmac_f32_e32 v18, v15, v3
	ds_load_2addr_b32 v[14:15], v17 offset0:192 offset1:224
	s_waitcnt lgkmcnt(3)
	v_fmac_f32_e32 v18, v10, v4
	v_fmac_f32_e32 v18, v11, v5
	ds_load_2addr_b32 v[10:11], v19 offset1:32
	ds_load_b128 v[2:5], v16 offset:4192
	s_waitcnt lgkmcnt(3)
	v_fmac_f32_e32 v18, v12, v6
	s_delay_alu instid0(VALU_DEP_1) | instskip(SKIP_3) | instid1(VALU_DEP_1)
	v_fmac_f32_e32 v18, v13, v7
	ds_load_2addr_b32 v[12:13], v19 offset0:64 offset1:96
	s_waitcnt lgkmcnt(3)
	v_fmac_f32_e32 v18, v14, v8
	v_fmac_f32_e32 v18, v15, v9
	ds_load_2addr_b32 v[14:15], v19 offset0:128 offset1:160
	ds_load_b128 v[6:9], v16 offset:4208
	v_mad_u64_u32 v[16:17], null, v1, s30, 0
	s_waitcnt lgkmcnt(3)
	v_fmac_f32_e32 v18, v10, v2
	s_delay_alu instid0(VALU_DEP_1) | instskip(SKIP_3) | instid1(VALU_DEP_1)
	v_fmac_f32_e32 v18, v11, v3
	ds_load_2addr_b32 v[2:3], v19 offset0:192 offset1:224
	s_waitcnt lgkmcnt(3)
	v_fmac_f32_e32 v18, v12, v4
	v_fmac_f32_e32 v18, v13, v5
	s_waitcnt lgkmcnt(1)
	s_delay_alu instid0(VALU_DEP_1) | instskip(NEXT) | instid1(VALU_DEP_1)
	v_fmac_f32_e32 v18, v14, v6
	v_fmac_f32_e32 v18, v15, v7
	s_waitcnt lgkmcnt(0)
	s_delay_alu instid0(VALU_DEP_1) | instskip(NEXT) | instid1(VALU_DEP_1)
	v_fmac_f32_e32 v18, v2, v8
	v_fmac_f32_e32 v18, v3, v9
	s_delay_alu instid0(VALU_DEP_1) | instskip(NEXT) | instid1(VALU_DEP_1)
	v_dual_mov_b32 v10, v17 :: v_dual_mul_f32 v3, s3, v18
	v_mad_u64_u32 v[11:12], null, v1, s31, v[10:11]
	s_delay_alu instid0(VALU_DEP_1) | instskip(NEXT) | instid1(VALU_DEP_1)
	v_mov_b32_e32 v17, v11
	v_lshlrev_b64 v[4:5], 2, v[16:17]
	s_delay_alu instid0(VALU_DEP_1) | instskip(NEXT) | instid1(VALU_DEP_2)
	v_add_co_u32 v1, vcc_lo, s0, v4
	v_add_co_ci_u32_e32 v2, vcc_lo, s1, v5, vcc_lo
	s_delay_alu instid0(VALU_DEP_2) | instskip(NEXT) | instid1(VALU_DEP_2)
	v_add_co_u32 v0, vcc_lo, v1, v0
	v_add_co_ci_u32_e32 v1, vcc_lo, 0, v2, vcc_lo
	global_store_b32 v[0:1], v3, off
.LBB25_15:
	s_nop 0
	s_sendmsg sendmsg(MSG_DEALLOC_VGPRS)
	s_endpgm
	.section	.rodata,"a",@progbits
	.p2align	6, 0x0
	.amdhsa_kernel _ZL23rocblas_trmm_lNx_kernelILi32EffKffEv13rocblas_fill_17rocblas_diagonal_iiT1_lPT2_llS5_llPT3_lli
		.amdhsa_group_segment_fixed_size 8192
		.amdhsa_private_segment_fixed_size 0
		.amdhsa_kernarg_size 108
		.amdhsa_user_sgpr_count 14
		.amdhsa_user_sgpr_dispatch_ptr 0
		.amdhsa_user_sgpr_queue_ptr 0
		.amdhsa_user_sgpr_kernarg_segment_ptr 1
		.amdhsa_user_sgpr_dispatch_id 0
		.amdhsa_user_sgpr_private_segment_size 0
		.amdhsa_wavefront_size32 1
		.amdhsa_uses_dynamic_stack 0
		.amdhsa_enable_private_segment 0
		.amdhsa_system_sgpr_workgroup_id_x 1
		.amdhsa_system_sgpr_workgroup_id_y 0
		.amdhsa_system_sgpr_workgroup_id_z 1
		.amdhsa_system_sgpr_workgroup_info 0
		.amdhsa_system_vgpr_workitem_id 1
		.amdhsa_next_free_vgpr 20
		.amdhsa_next_free_sgpr 32
		.amdhsa_reserve_vcc 1
		.amdhsa_float_round_mode_32 0
		.amdhsa_float_round_mode_16_64 0
		.amdhsa_float_denorm_mode_32 3
		.amdhsa_float_denorm_mode_16_64 3
		.amdhsa_dx10_clamp 1
		.amdhsa_ieee_mode 1
		.amdhsa_fp16_overflow 0
		.amdhsa_workgroup_processor_mode 1
		.amdhsa_memory_ordered 1
		.amdhsa_forward_progress 0
		.amdhsa_shared_vgpr_count 0
		.amdhsa_exception_fp_ieee_invalid_op 0
		.amdhsa_exception_fp_denorm_src 0
		.amdhsa_exception_fp_ieee_div_zero 0
		.amdhsa_exception_fp_ieee_overflow 0
		.amdhsa_exception_fp_ieee_underflow 0
		.amdhsa_exception_fp_ieee_inexact 0
		.amdhsa_exception_int_div_zero 0
	.end_amdhsa_kernel
	.section	.text._ZL23rocblas_trmm_lNx_kernelILi32EffKffEv13rocblas_fill_17rocblas_diagonal_iiT1_lPT2_llS5_llPT3_lli,"axG",@progbits,_ZL23rocblas_trmm_lNx_kernelILi32EffKffEv13rocblas_fill_17rocblas_diagonal_iiT1_lPT2_llS5_llPT3_lli,comdat
.Lfunc_end25:
	.size	_ZL23rocblas_trmm_lNx_kernelILi32EffKffEv13rocblas_fill_17rocblas_diagonal_iiT1_lPT2_llS5_llPT3_lli, .Lfunc_end25-_ZL23rocblas_trmm_lNx_kernelILi32EffKffEv13rocblas_fill_17rocblas_diagonal_iiT1_lPT2_llS5_llPT3_lli
                                        ; -- End function
	.section	.AMDGPU.csdata,"",@progbits
; Kernel info:
; codeLenInByte = 1268
; NumSgprs: 34
; NumVgprs: 20
; ScratchSize: 0
; MemoryBound: 0
; FloatMode: 240
; IeeeMode: 1
; LDSByteSize: 8192 bytes/workgroup (compile time only)
; SGPRBlocks: 4
; VGPRBlocks: 2
; NumSGPRsForWavesPerEU: 34
; NumVGPRsForWavesPerEU: 20
; Occupancy: 16
; WaveLimiterHint : 0
; COMPUTE_PGM_RSRC2:SCRATCH_EN: 0
; COMPUTE_PGM_RSRC2:USER_SGPR: 14
; COMPUTE_PGM_RSRC2:TRAP_HANDLER: 0
; COMPUTE_PGM_RSRC2:TGID_X_EN: 1
; COMPUTE_PGM_RSRC2:TGID_Y_EN: 0
; COMPUTE_PGM_RSRC2:TGID_Z_EN: 1
; COMPUTE_PGM_RSRC2:TIDIG_COMP_CNT: 1
	.section	.text._ZL23rocblas_trmm_lTx_kernelILi32ELb0EfPKfS0_fEv13rocblas_fill_17rocblas_diagonal_iiT2_lPT3_llS6_llPT4_lli,"axG",@progbits,_ZL23rocblas_trmm_lTx_kernelILi32ELb0EfPKfS0_fEv13rocblas_fill_17rocblas_diagonal_iiT2_lPT3_llS6_llPT4_lli,comdat
	.globl	_ZL23rocblas_trmm_lTx_kernelILi32ELb0EfPKfS0_fEv13rocblas_fill_17rocblas_diagonal_iiT2_lPT3_llS6_llPT4_lli ; -- Begin function _ZL23rocblas_trmm_lTx_kernelILi32ELb0EfPKfS0_fEv13rocblas_fill_17rocblas_diagonal_iiT2_lPT3_llS6_llPT4_lli
	.p2align	8
	.type	_ZL23rocblas_trmm_lTx_kernelILi32ELb0EfPKfS0_fEv13rocblas_fill_17rocblas_diagonal_iiT2_lPT3_llS6_llPT4_lli,@function
_ZL23rocblas_trmm_lTx_kernelILi32ELb0EfPKfS0_fEv13rocblas_fill_17rocblas_diagonal_iiT2_lPT3_llS6_llPT4_lli: ; @_ZL23rocblas_trmm_lTx_kernelILi32ELb0EfPKfS0_fEv13rocblas_fill_17rocblas_diagonal_iiT2_lPT3_llS6_llPT4_lli
; %bb.0:
	s_load_b512 s[16:31], s[0:1], 0x10
	s_waitcnt lgkmcnt(0)
	s_mul_i32 s2, s15, s19
	s_mul_hi_u32 s3, s15, s18
	s_delay_alu instid0(SALU_CYCLE_1) | instskip(SKIP_1) | instid1(SALU_CYCLE_1)
	s_add_i32 s3, s3, s2
	s_mul_i32 s2, s15, s18
	s_lshl_b64 s[2:3], s[2:3], 2
	s_delay_alu instid0(SALU_CYCLE_1) | instskip(SKIP_4) | instid1(VALU_DEP_1)
	s_add_u32 s2, s16, s2
	s_addc_u32 s3, s17, s3
	s_load_b32 s3, s[2:3], 0x0
	s_waitcnt lgkmcnt(0)
	v_cmp_eq_f32_e64 s2, s3, 0
	s_and_b32 vcc_lo, exec_lo, s2
	s_cbranch_vccnz .LBB26_15
; %bb.1:
	s_load_b128 s[4:7], s[0:1], 0x0
	v_bfe_u32 v1, v0, 10, 10
	v_and_b32_e32 v4, 0x3ff, v0
	v_mov_b32_e32 v0, 0
	s_delay_alu instid0(VALU_DEP_3) | instskip(NEXT) | instid1(VALU_DEP_1)
	v_lshlrev_b32_e32 v2, 5, v1
	v_add_lshl_u32 v3, v2, v4, 2
	ds_store_2addr_stride64_b32 v3, v0, v0 offset1:16
	v_lshlrev_b32_e32 v0, 2, v4
	s_waitcnt lgkmcnt(0)
	s_barrier
	v_cmp_gt_i32_e64 s2, s6, v1
	v_cmp_gt_i32_e32 vcc_lo, s6, v4
	buffer_gl0_inv
	s_and_b32 s2, s2, vcc_lo
	s_delay_alu instid0(SALU_CYCLE_1)
	s_and_saveexec_b32 s6, s2
	s_cbranch_execz .LBB26_3
; %bb.2:
	v_mad_u64_u32 v[5:6], null, v1, s22, 0
	s_mul_i32 s2, s15, s25
	s_mul_hi_u32 s9, s15, s24
	s_mul_i32 s8, s15, s24
	s_add_i32 s9, s9, s2
	s_delay_alu instid0(SALU_CYCLE_1) | instskip(NEXT) | instid1(VALU_DEP_1)
	s_lshl_b64 s[8:9], s[8:9], 2
	v_mad_u64_u32 v[7:8], null, v1, s23, v[6:7]
	s_add_u32 s2, s20, s8
	s_addc_u32 s8, s21, s9
	s_delay_alu instid0(VALU_DEP_1) | instskip(NEXT) | instid1(VALU_DEP_1)
	v_mov_b32_e32 v6, v7
	v_lshlrev_b64 v[5:6], 2, v[5:6]
	s_delay_alu instid0(VALU_DEP_1) | instskip(NEXT) | instid1(VALU_DEP_1)
	v_add_co_u32 v5, s2, s2, v5
	v_add_co_ci_u32_e64 v6, s2, s8, v6, s2
	s_delay_alu instid0(VALU_DEP_2) | instskip(NEXT) | instid1(VALU_DEP_1)
	v_add_co_u32 v5, s2, v5, v0
	v_add_co_ci_u32_e64 v6, s2, 0, v6, s2
	global_load_b32 v5, v[5:6], off
	v_lshlrev_b32_e32 v6, 5, v4
	s_delay_alu instid0(VALU_DEP_1)
	v_add_lshl_u32 v6, v6, v1, 2
	s_waitcnt vmcnt(0)
	ds_store_b32 v6, v5
.LBB26_3:
	s_or_b32 exec_lo, exec_lo, s6
	s_add_i32 s2, s7, -1
	s_delay_alu instid0(SALU_CYCLE_1) | instskip(NEXT) | instid1(SALU_CYCLE_1)
	s_ashr_i32 s6, s2, 31
	s_lshr_b32 s6, s6, 27
	s_delay_alu instid0(SALU_CYCLE_1) | instskip(NEXT) | instid1(SALU_CYCLE_1)
	s_add_i32 s2, s2, s6
	s_and_b32 s6, s2, 0xffffffe0
	s_ashr_i32 s2, s2, 5
	s_sub_i32 s6, s7, s6
	s_cmp_ge_i32 s14, s2
	s_cselect_b32 s2, s6, 32
	s_lshl_b32 s6, s14, 5
	v_cmp_gt_i32_e64 s2, s2, v1
	s_ashr_i32 s7, s6, 31
	s_delay_alu instid0(VALU_DEP_1) | instskip(NEXT) | instid1(SALU_CYCLE_1)
	s_and_b32 s2, vcc_lo, s2
	s_and_saveexec_b32 s8, s2
	s_cbranch_execz .LBB26_5
; %bb.4:
	v_mad_u64_u32 v[5:6], null, v1, s28, 0
	s_mul_i32 s9, s15, s31
	s_mul_hi_u32 s11, s15, s30
	s_mul_i32 s10, s15, s30
	s_add_i32 s11, s11, s9
	s_mul_i32 s12, s6, s29
	s_lshl_b64 s[10:11], s[10:11], 2
	s_delay_alu instid0(VALU_DEP_1)
	v_mad_u64_u32 v[7:8], null, v1, s29, v[6:7]
	s_mul_hi_u32 s9, s6, s28
	s_add_u32 s14, s26, s10
	s_mul_i32 s13, s7, s28
	s_addc_u32 s16, s27, s11
	s_add_i32 s9, s9, s12
	s_mul_i32 s10, s6, s28
	s_delay_alu instid0(VALU_DEP_1) | instskip(SKIP_1) | instid1(SALU_CYCLE_1)
	v_mov_b32_e32 v6, v7
	s_add_i32 s11, s9, s13
	s_lshl_b64 s[10:11], s[10:11], 2
	s_delay_alu instid0(SALU_CYCLE_1) | instskip(NEXT) | instid1(VALU_DEP_1)
	s_add_u32 s9, s14, s10
	v_lshlrev_b64 v[5:6], 2, v[5:6]
	s_addc_u32 s10, s16, s11
	s_delay_alu instid0(VALU_DEP_1) | instskip(NEXT) | instid1(VALU_DEP_2)
	v_add_co_u32 v5, vcc_lo, s9, v5
	v_add_co_ci_u32_e32 v6, vcc_lo, s10, v6, vcc_lo
	s_delay_alu instid0(VALU_DEP_2) | instskip(NEXT) | instid1(VALU_DEP_2)
	v_add_co_u32 v5, vcc_lo, v5, v0
	v_add_co_ci_u32_e32 v6, vcc_lo, 0, v6, vcc_lo
	global_load_b32 v5, v[5:6], off
	v_add_nc_u32_e32 v6, 0x1000, v3
	s_waitcnt vmcnt(0)
	ds_store_b32 v6, v5
.LBB26_5:
	s_or_b32 exec_lo, exec_lo, s8
	v_cmp_eq_u32_e32 vcc_lo, v1, v4
	s_cmpk_eq_i32 s5, 0x84
	s_cselect_b32 s5, -1, 0
	s_delay_alu instid0(SALU_CYCLE_1) | instskip(NEXT) | instid1(SALU_CYCLE_1)
	s_and_b32 s8, vcc_lo, s5
	s_and_saveexec_b32 s5, s8
	s_cbranch_execz .LBB26_7
; %bb.6:
	v_mov_b32_e32 v5, 1.0
	ds_store_b32 v3, v5
.LBB26_7:
	s_or_b32 exec_lo, exec_lo, s5
	s_cmpk_lg_i32 s4, 0x7a
	s_waitcnt lgkmcnt(0)
	s_barrier
	buffer_gl0_inv
	s_cbranch_scc0 .LBB26_9
; %bb.8:
	v_cmp_lt_u32_e32 vcc_lo, v4, v1
	s_and_b32 s4, vcc_lo, exec_lo
	s_cbranch_execz .LBB26_10
	s_branch .LBB26_11
.LBB26_9:
	s_mov_b32 s4, 0
.LBB26_10:
	v_cmp_gt_u32_e32 vcc_lo, v4, v1
	s_and_not1_b32 s4, s4, exec_lo
	s_and_b32 s5, vcc_lo, exec_lo
	s_delay_alu instid0(SALU_CYCLE_1)
	s_or_b32 s4, s4, s5
.LBB26_11:
	s_delay_alu instid0(SALU_CYCLE_1)
	s_and_saveexec_b32 s5, s4
	s_cbranch_execz .LBB26_13
; %bb.12:
	v_mov_b32_e32 v4, 0
	ds_store_b32 v3, v4
.LBB26_13:
	s_or_b32 exec_lo, exec_lo, s5
	s_waitcnt lgkmcnt(0)
	s_barrier
	buffer_gl0_inv
	s_and_saveexec_b32 s4, s2
	s_cbranch_execz .LBB26_15
; %bb.14:
	v_lshlrev_b32_e32 v16, 2, v2
	s_clause 0x1
	s_load_b128 s[8:11], s[0:1], 0x50
	s_load_b64 s[0:1], s[0:1], 0x60
	ds_load_2addr_b32 v[10:11], v0 offset1:32
	ds_load_b128 v[2:5], v16 offset:4096
	ds_load_2addr_b32 v[12:13], v0 offset0:64 offset1:96
	ds_load_2addr_b32 v[14:15], v0 offset0:128 offset1:160
	ds_load_b128 v[6:9], v16 offset:4112
	v_add_nc_u32_e32 v17, 0x400, v0
	v_add_nc_u32_e32 v19, 0xc00, v0
	s_waitcnt lgkmcnt(0)
	v_fma_f32 v18, v10, v2, 0
	s_mul_i32 s1, s15, s1
	s_mul_hi_u32 s2, s15, s0
	s_mul_i32 s0, s15, s0
	s_add_i32 s1, s2, s1
	v_fmac_f32_e32 v18, v11, v3
	ds_load_2addr_b32 v[10:11], v0 offset0:192 offset1:224
	s_lshl_b64 s[0:1], s[0:1], 2
	s_mul_i32 s5, s6, s11
	s_mul_hi_u32 s12, s6, s10
	v_fmac_f32_e32 v18, v12, v4
	s_add_u32 s2, s8, s0
	s_mul_i32 s7, s7, s10
	s_mul_i32 s4, s6, s10
	s_addc_u32 s6, s9, s1
	v_fmac_f32_e32 v18, v13, v5
	ds_load_2addr_b32 v[12:13], v17 offset1:32
	ds_load_b128 v[2:5], v16 offset:4128
	s_add_i32 s0, s12, s5
	v_fmac_f32_e32 v18, v14, v6
	s_add_i32 s5, s0, s7
	s_delay_alu instid0(SALU_CYCLE_1) | instskip(NEXT) | instid1(SALU_CYCLE_1)
	s_lshl_b64 s[0:1], s[4:5], 2
	s_add_u32 s0, s2, s0
	s_delay_alu instid0(VALU_DEP_1) | instskip(SKIP_4) | instid1(VALU_DEP_1)
	v_fmac_f32_e32 v18, v15, v7
	ds_load_2addr_b32 v[14:15], v17 offset0:64 offset1:96
	s_addc_u32 s1, s6, s1
	s_waitcnt lgkmcnt(3)
	v_fmac_f32_e32 v18, v10, v8
	v_fmac_f32_e32 v18, v11, v9
	ds_load_b128 v[6:9], v16 offset:4144
	ds_load_2addr_b32 v[10:11], v17 offset0:128 offset1:160
	s_waitcnt lgkmcnt(3)
	v_fmac_f32_e32 v18, v12, v2
	s_delay_alu instid0(VALU_DEP_1) | instskip(SKIP_4) | instid1(VALU_DEP_1)
	v_fmac_f32_e32 v18, v13, v3
	ds_load_2addr_b32 v[12:13], v17 offset0:192 offset1:224
	v_add_nc_u32_e32 v17, 0x800, v0
	s_waitcnt lgkmcnt(3)
	v_fmac_f32_e32 v18, v14, v4
	v_fmac_f32_e32 v18, v15, v5
	ds_load_2addr_b32 v[14:15], v17 offset1:32
	ds_load_b128 v[2:5], v16 offset:4160
	s_waitcnt lgkmcnt(3)
	v_fmac_f32_e32 v18, v10, v6
	s_delay_alu instid0(VALU_DEP_1) | instskip(SKIP_3) | instid1(VALU_DEP_1)
	v_fmac_f32_e32 v18, v11, v7
	ds_load_2addr_b32 v[10:11], v17 offset0:64 offset1:96
	s_waitcnt lgkmcnt(3)
	v_fmac_f32_e32 v18, v12, v8
	v_fmac_f32_e32 v18, v13, v9
	ds_load_2addr_b32 v[12:13], v17 offset0:128 offset1:160
	ds_load_b128 v[6:9], v16 offset:4176
	s_waitcnt lgkmcnt(3)
	v_fmac_f32_e32 v18, v14, v2
	s_delay_alu instid0(VALU_DEP_1) | instskip(SKIP_3) | instid1(VALU_DEP_1)
	v_fmac_f32_e32 v18, v15, v3
	ds_load_2addr_b32 v[14:15], v17 offset0:192 offset1:224
	s_waitcnt lgkmcnt(3)
	v_fmac_f32_e32 v18, v10, v4
	v_fmac_f32_e32 v18, v11, v5
	ds_load_2addr_b32 v[10:11], v19 offset1:32
	ds_load_b128 v[2:5], v16 offset:4192
	s_waitcnt lgkmcnt(3)
	v_fmac_f32_e32 v18, v12, v6
	s_delay_alu instid0(VALU_DEP_1) | instskip(SKIP_3) | instid1(VALU_DEP_1)
	v_fmac_f32_e32 v18, v13, v7
	ds_load_2addr_b32 v[12:13], v19 offset0:64 offset1:96
	s_waitcnt lgkmcnt(3)
	v_fmac_f32_e32 v18, v14, v8
	v_fmac_f32_e32 v18, v15, v9
	ds_load_2addr_b32 v[14:15], v19 offset0:128 offset1:160
	ds_load_b128 v[6:9], v16 offset:4208
	v_mad_u64_u32 v[16:17], null, v1, s10, 0
	s_waitcnt lgkmcnt(3)
	v_fmac_f32_e32 v18, v10, v2
	s_delay_alu instid0(VALU_DEP_1) | instskip(SKIP_3) | instid1(VALU_DEP_1)
	v_fmac_f32_e32 v18, v11, v3
	ds_load_2addr_b32 v[2:3], v19 offset0:192 offset1:224
	s_waitcnt lgkmcnt(3)
	v_fmac_f32_e32 v18, v12, v4
	v_fmac_f32_e32 v18, v13, v5
	s_waitcnt lgkmcnt(1)
	s_delay_alu instid0(VALU_DEP_1) | instskip(NEXT) | instid1(VALU_DEP_1)
	v_fmac_f32_e32 v18, v14, v6
	v_fmac_f32_e32 v18, v15, v7
	s_waitcnt lgkmcnt(0)
	s_delay_alu instid0(VALU_DEP_1) | instskip(NEXT) | instid1(VALU_DEP_1)
	v_fmac_f32_e32 v18, v2, v8
	v_fmac_f32_e32 v18, v3, v9
	s_delay_alu instid0(VALU_DEP_1) | instskip(NEXT) | instid1(VALU_DEP_1)
	v_dual_mov_b32 v4, v17 :: v_dual_mul_f32 v3, s3, v18
	v_mad_u64_u32 v[10:11], null, v1, s11, v[4:5]
	s_delay_alu instid0(VALU_DEP_1) | instskip(NEXT) | instid1(VALU_DEP_1)
	v_mov_b32_e32 v17, v10
	v_lshlrev_b64 v[1:2], 2, v[16:17]
	s_delay_alu instid0(VALU_DEP_1) | instskip(NEXT) | instid1(VALU_DEP_2)
	v_add_co_u32 v1, vcc_lo, s0, v1
	v_add_co_ci_u32_e32 v2, vcc_lo, s1, v2, vcc_lo
	s_delay_alu instid0(VALU_DEP_2) | instskip(NEXT) | instid1(VALU_DEP_2)
	v_add_co_u32 v0, vcc_lo, v1, v0
	v_add_co_ci_u32_e32 v1, vcc_lo, 0, v2, vcc_lo
	global_store_b32 v[0:1], v3, off
.LBB26_15:
	s_nop 0
	s_sendmsg sendmsg(MSG_DEALLOC_VGPRS)
	s_endpgm
	.section	.rodata,"a",@progbits
	.p2align	6, 0x0
	.amdhsa_kernel _ZL23rocblas_trmm_lTx_kernelILi32ELb0EfPKfS0_fEv13rocblas_fill_17rocblas_diagonal_iiT2_lPT3_llS6_llPT4_lli
		.amdhsa_group_segment_fixed_size 8192
		.amdhsa_private_segment_fixed_size 0
		.amdhsa_kernarg_size 108
		.amdhsa_user_sgpr_count 14
		.amdhsa_user_sgpr_dispatch_ptr 0
		.amdhsa_user_sgpr_queue_ptr 0
		.amdhsa_user_sgpr_kernarg_segment_ptr 1
		.amdhsa_user_sgpr_dispatch_id 0
		.amdhsa_user_sgpr_private_segment_size 0
		.amdhsa_wavefront_size32 1
		.amdhsa_uses_dynamic_stack 0
		.amdhsa_enable_private_segment 0
		.amdhsa_system_sgpr_workgroup_id_x 1
		.amdhsa_system_sgpr_workgroup_id_y 0
		.amdhsa_system_sgpr_workgroup_id_z 1
		.amdhsa_system_sgpr_workgroup_info 0
		.amdhsa_system_vgpr_workitem_id 1
		.amdhsa_next_free_vgpr 20
		.amdhsa_next_free_sgpr 32
		.amdhsa_reserve_vcc 1
		.amdhsa_float_round_mode_32 0
		.amdhsa_float_round_mode_16_64 0
		.amdhsa_float_denorm_mode_32 3
		.amdhsa_float_denorm_mode_16_64 3
		.amdhsa_dx10_clamp 1
		.amdhsa_ieee_mode 1
		.amdhsa_fp16_overflow 0
		.amdhsa_workgroup_processor_mode 1
		.amdhsa_memory_ordered 1
		.amdhsa_forward_progress 0
		.amdhsa_shared_vgpr_count 0
		.amdhsa_exception_fp_ieee_invalid_op 0
		.amdhsa_exception_fp_denorm_src 0
		.amdhsa_exception_fp_ieee_div_zero 0
		.amdhsa_exception_fp_ieee_overflow 0
		.amdhsa_exception_fp_ieee_underflow 0
		.amdhsa_exception_fp_ieee_inexact 0
		.amdhsa_exception_int_div_zero 0
	.end_amdhsa_kernel
	.section	.text._ZL23rocblas_trmm_lTx_kernelILi32ELb0EfPKfS0_fEv13rocblas_fill_17rocblas_diagonal_iiT2_lPT3_llS6_llPT4_lli,"axG",@progbits,_ZL23rocblas_trmm_lTx_kernelILi32ELb0EfPKfS0_fEv13rocblas_fill_17rocblas_diagonal_iiT2_lPT3_llS6_llPT4_lli,comdat
.Lfunc_end26:
	.size	_ZL23rocblas_trmm_lTx_kernelILi32ELb0EfPKfS0_fEv13rocblas_fill_17rocblas_diagonal_iiT2_lPT3_llS6_llPT4_lli, .Lfunc_end26-_ZL23rocblas_trmm_lTx_kernelILi32ELb0EfPKfS0_fEv13rocblas_fill_17rocblas_diagonal_iiT2_lPT3_llS6_llPT4_lli
                                        ; -- End function
	.section	.AMDGPU.csdata,"",@progbits
; Kernel info:
; codeLenInByte = 1352
; NumSgprs: 34
; NumVgprs: 20
; ScratchSize: 0
; MemoryBound: 0
; FloatMode: 240
; IeeeMode: 1
; LDSByteSize: 8192 bytes/workgroup (compile time only)
; SGPRBlocks: 4
; VGPRBlocks: 2
; NumSGPRsForWavesPerEU: 34
; NumVGPRsForWavesPerEU: 20
; Occupancy: 16
; WaveLimiterHint : 0
; COMPUTE_PGM_RSRC2:SCRATCH_EN: 0
; COMPUTE_PGM_RSRC2:USER_SGPR: 14
; COMPUTE_PGM_RSRC2:TRAP_HANDLER: 0
; COMPUTE_PGM_RSRC2:TGID_X_EN: 1
; COMPUTE_PGM_RSRC2:TGID_Y_EN: 0
; COMPUTE_PGM_RSRC2:TGID_Z_EN: 1
; COMPUTE_PGM_RSRC2:TIDIG_COMP_CNT: 1
	.section	.text._ZL23rocblas_trmm_lTx_kernelILi32ELb0EffKffEv13rocblas_fill_17rocblas_diagonal_iiT2_lPT3_llS5_llPT4_lli,"axG",@progbits,_ZL23rocblas_trmm_lTx_kernelILi32ELb0EffKffEv13rocblas_fill_17rocblas_diagonal_iiT2_lPT3_llS5_llPT4_lli,comdat
	.globl	_ZL23rocblas_trmm_lTx_kernelILi32ELb0EffKffEv13rocblas_fill_17rocblas_diagonal_iiT2_lPT3_llS5_llPT4_lli ; -- Begin function _ZL23rocblas_trmm_lTx_kernelILi32ELb0EffKffEv13rocblas_fill_17rocblas_diagonal_iiT2_lPT3_llS5_llPT4_lli
	.p2align	8
	.type	_ZL23rocblas_trmm_lTx_kernelILi32ELb0EffKffEv13rocblas_fill_17rocblas_diagonal_iiT2_lPT3_llS5_llPT4_lli,@function
_ZL23rocblas_trmm_lTx_kernelILi32ELb0EffKffEv13rocblas_fill_17rocblas_diagonal_iiT2_lPT3_llS5_llPT4_lli: ; @_ZL23rocblas_trmm_lTx_kernelILi32ELb0EffKffEv13rocblas_fill_17rocblas_diagonal_iiT2_lPT3_llS5_llPT4_lli
; %bb.0:
	s_load_b32 s3, s[0:1], 0x10
	s_waitcnt lgkmcnt(0)
	v_cmp_eq_f32_e64 s2, s3, 0
	s_delay_alu instid0(VALU_DEP_1)
	s_and_b32 vcc_lo, exec_lo, s2
	s_cbranch_vccnz .LBB27_15
; %bb.1:
	s_load_b128 s[4:7], s[0:1], 0x0
	v_bfe_u32 v1, v0, 10, 10
	s_load_b512 s[16:31], s[0:1], 0x20
	v_and_b32_e32 v4, 0x3ff, v0
	v_mov_b32_e32 v0, 0
	s_delay_alu instid0(VALU_DEP_3) | instskip(NEXT) | instid1(VALU_DEP_1)
	v_lshlrev_b32_e32 v2, 5, v1
	v_add_lshl_u32 v3, v2, v4, 2
	ds_store_2addr_stride64_b32 v3, v0, v0 offset1:16
	v_lshlrev_b32_e32 v0, 2, v4
	s_waitcnt lgkmcnt(0)
	s_barrier
	v_cmp_gt_i32_e64 s2, s6, v1
	v_cmp_gt_i32_e32 vcc_lo, s6, v4
	buffer_gl0_inv
	s_and_b32 s2, s2, vcc_lo
	s_delay_alu instid0(SALU_CYCLE_1)
	s_and_saveexec_b32 s6, s2
	s_cbranch_execz .LBB27_3
; %bb.2:
	v_mad_u64_u32 v[5:6], null, v1, s18, 0
	s_mul_i32 s2, s15, s21
	s_mul_hi_u32 s9, s15, s20
	s_mul_i32 s8, s15, s20
	s_add_i32 s9, s9, s2
	s_delay_alu instid0(SALU_CYCLE_1) | instskip(NEXT) | instid1(VALU_DEP_1)
	s_lshl_b64 s[8:9], s[8:9], 2
	v_mad_u64_u32 v[7:8], null, v1, s19, v[6:7]
	s_add_u32 s2, s16, s8
	s_addc_u32 s8, s17, s9
	s_delay_alu instid0(VALU_DEP_1) | instskip(NEXT) | instid1(VALU_DEP_1)
	v_mov_b32_e32 v6, v7
	v_lshlrev_b64 v[5:6], 2, v[5:6]
	s_delay_alu instid0(VALU_DEP_1) | instskip(NEXT) | instid1(VALU_DEP_1)
	v_add_co_u32 v5, s2, s2, v5
	v_add_co_ci_u32_e64 v6, s2, s8, v6, s2
	s_delay_alu instid0(VALU_DEP_2) | instskip(NEXT) | instid1(VALU_DEP_1)
	v_add_co_u32 v5, s2, v5, v0
	v_add_co_ci_u32_e64 v6, s2, 0, v6, s2
	global_load_b32 v5, v[5:6], off
	v_lshlrev_b32_e32 v6, 5, v4
	s_delay_alu instid0(VALU_DEP_1)
	v_add_lshl_u32 v6, v6, v1, 2
	s_waitcnt vmcnt(0)
	ds_store_b32 v6, v5
.LBB27_3:
	s_or_b32 exec_lo, exec_lo, s6
	s_add_i32 s2, s7, -1
	s_delay_alu instid0(SALU_CYCLE_1) | instskip(NEXT) | instid1(SALU_CYCLE_1)
	s_ashr_i32 s6, s2, 31
	s_lshr_b32 s6, s6, 27
	s_delay_alu instid0(SALU_CYCLE_1) | instskip(NEXT) | instid1(SALU_CYCLE_1)
	s_add_i32 s2, s2, s6
	s_and_b32 s6, s2, 0xffffffe0
	s_ashr_i32 s2, s2, 5
	s_sub_i32 s6, s7, s6
	s_cmp_ge_i32 s14, s2
	s_cselect_b32 s2, s6, 32
	s_lshl_b32 s6, s14, 5
	v_cmp_gt_i32_e64 s2, s2, v1
	s_ashr_i32 s7, s6, 31
	s_delay_alu instid0(VALU_DEP_1) | instskip(NEXT) | instid1(SALU_CYCLE_1)
	s_and_b32 s2, vcc_lo, s2
	s_and_saveexec_b32 s8, s2
	s_cbranch_execz .LBB27_5
; %bb.4:
	v_mad_u64_u32 v[5:6], null, v1, s24, 0
	s_mul_i32 s9, s15, s27
	s_mul_hi_u32 s11, s15, s26
	s_mul_i32 s10, s15, s26
	s_add_i32 s11, s11, s9
	s_mul_i32 s12, s6, s25
	s_lshl_b64 s[10:11], s[10:11], 2
	s_delay_alu instid0(VALU_DEP_1)
	v_mad_u64_u32 v[7:8], null, v1, s25, v[6:7]
	s_mul_hi_u32 s9, s6, s24
	s_add_u32 s14, s22, s10
	s_mul_i32 s13, s7, s24
	s_addc_u32 s16, s23, s11
	s_add_i32 s9, s9, s12
	s_mul_i32 s10, s6, s24
	s_delay_alu instid0(VALU_DEP_1) | instskip(SKIP_1) | instid1(SALU_CYCLE_1)
	v_mov_b32_e32 v6, v7
	s_add_i32 s11, s9, s13
	s_lshl_b64 s[10:11], s[10:11], 2
	s_delay_alu instid0(SALU_CYCLE_1) | instskip(NEXT) | instid1(VALU_DEP_1)
	s_add_u32 s9, s14, s10
	v_lshlrev_b64 v[5:6], 2, v[5:6]
	s_addc_u32 s10, s16, s11
	s_delay_alu instid0(VALU_DEP_1) | instskip(NEXT) | instid1(VALU_DEP_2)
	v_add_co_u32 v5, vcc_lo, s9, v5
	v_add_co_ci_u32_e32 v6, vcc_lo, s10, v6, vcc_lo
	s_delay_alu instid0(VALU_DEP_2) | instskip(NEXT) | instid1(VALU_DEP_2)
	v_add_co_u32 v5, vcc_lo, v5, v0
	v_add_co_ci_u32_e32 v6, vcc_lo, 0, v6, vcc_lo
	global_load_b32 v5, v[5:6], off
	v_add_nc_u32_e32 v6, 0x1000, v3
	s_waitcnt vmcnt(0)
	ds_store_b32 v6, v5
.LBB27_5:
	s_or_b32 exec_lo, exec_lo, s8
	v_cmp_eq_u32_e32 vcc_lo, v1, v4
	s_cmpk_eq_i32 s5, 0x84
	s_cselect_b32 s5, -1, 0
	s_delay_alu instid0(SALU_CYCLE_1) | instskip(NEXT) | instid1(SALU_CYCLE_1)
	s_and_b32 s8, vcc_lo, s5
	s_and_saveexec_b32 s5, s8
	s_cbranch_execz .LBB27_7
; %bb.6:
	v_mov_b32_e32 v5, 1.0
	ds_store_b32 v3, v5
.LBB27_7:
	s_or_b32 exec_lo, exec_lo, s5
	s_cmpk_lg_i32 s4, 0x7a
	s_waitcnt lgkmcnt(0)
	s_barrier
	buffer_gl0_inv
	s_cbranch_scc0 .LBB27_9
; %bb.8:
	v_cmp_lt_u32_e32 vcc_lo, v4, v1
	s_and_b32 s4, vcc_lo, exec_lo
	s_cbranch_execz .LBB27_10
	s_branch .LBB27_11
.LBB27_9:
	s_mov_b32 s4, 0
.LBB27_10:
	v_cmp_gt_u32_e32 vcc_lo, v4, v1
	s_and_not1_b32 s4, s4, exec_lo
	s_and_b32 s5, vcc_lo, exec_lo
	s_delay_alu instid0(SALU_CYCLE_1)
	s_or_b32 s4, s4, s5
.LBB27_11:
	s_delay_alu instid0(SALU_CYCLE_1)
	s_and_saveexec_b32 s5, s4
	s_cbranch_execz .LBB27_13
; %bb.12:
	v_mov_b32_e32 v4, 0
	ds_store_b32 v3, v4
.LBB27_13:
	s_or_b32 exec_lo, exec_lo, s5
	s_waitcnt lgkmcnt(0)
	s_barrier
	buffer_gl0_inv
	s_and_saveexec_b32 s4, s2
	s_cbranch_execz .LBB27_15
; %bb.14:
	v_lshlrev_b32_e32 v16, 2, v2
	s_load_b64 s[0:1], s[0:1], 0x60
	s_mul_i32 s2, s6, s31
	s_mul_hi_u32 s5, s6, s30
	ds_load_2addr_b32 v[10:11], v0 offset1:32
	ds_load_b128 v[2:5], v16 offset:4096
	ds_load_2addr_b32 v[12:13], v0 offset0:64 offset1:96
	ds_load_2addr_b32 v[14:15], v0 offset0:128 offset1:160
	ds_load_b128 v[6:9], v16 offset:4112
	s_mul_i32 s7, s7, s30
	v_add_nc_u32_e32 v17, 0x400, v0
	v_add_nc_u32_e32 v19, 0xc00, v0
	s_waitcnt lgkmcnt(0)
	v_fma_f32 v18, v10, v2, 0
	s_mul_i32 s1, s15, s1
	s_mul_hi_u32 s4, s15, s0
	s_mul_i32 s0, s15, s0
	s_add_i32 s1, s4, s1
	v_fmac_f32_e32 v18, v11, v3
	ds_load_2addr_b32 v[10:11], v0 offset0:192 offset1:224
	s_lshl_b64 s[0:1], s[0:1], 2
	s_mul_i32 s4, s6, s30
	s_add_u32 s6, s28, s0
	v_fmac_f32_e32 v18, v12, v4
	s_addc_u32 s8, s29, s1
	s_add_i32 s0, s5, s2
	s_delay_alu instid0(SALU_CYCLE_1) | instskip(NEXT) | instid1(VALU_DEP_1)
	s_add_i32 s5, s0, s7
	v_fmac_f32_e32 v18, v13, v5
	ds_load_2addr_b32 v[12:13], v17 offset1:32
	ds_load_b128 v[2:5], v16 offset:4128
	s_lshl_b64 s[0:1], s[4:5], 2
	v_fmac_f32_e32 v18, v14, v6
	s_add_u32 s0, s6, s0
	s_addc_u32 s1, s8, s1
	s_delay_alu instid0(VALU_DEP_1) | instskip(SKIP_3) | instid1(VALU_DEP_1)
	v_fmac_f32_e32 v18, v15, v7
	ds_load_2addr_b32 v[14:15], v17 offset0:64 offset1:96
	s_waitcnt lgkmcnt(3)
	v_fmac_f32_e32 v18, v10, v8
	v_fmac_f32_e32 v18, v11, v9
	ds_load_b128 v[6:9], v16 offset:4144
	ds_load_2addr_b32 v[10:11], v17 offset0:128 offset1:160
	s_waitcnt lgkmcnt(3)
	v_fmac_f32_e32 v18, v12, v2
	s_delay_alu instid0(VALU_DEP_1) | instskip(SKIP_4) | instid1(VALU_DEP_1)
	v_fmac_f32_e32 v18, v13, v3
	ds_load_2addr_b32 v[12:13], v17 offset0:192 offset1:224
	v_add_nc_u32_e32 v17, 0x800, v0
	s_waitcnt lgkmcnt(3)
	v_fmac_f32_e32 v18, v14, v4
	v_fmac_f32_e32 v18, v15, v5
	ds_load_2addr_b32 v[14:15], v17 offset1:32
	ds_load_b128 v[2:5], v16 offset:4160
	s_waitcnt lgkmcnt(3)
	v_fmac_f32_e32 v18, v10, v6
	s_delay_alu instid0(VALU_DEP_1) | instskip(SKIP_3) | instid1(VALU_DEP_1)
	v_fmac_f32_e32 v18, v11, v7
	ds_load_2addr_b32 v[10:11], v17 offset0:64 offset1:96
	s_waitcnt lgkmcnt(3)
	v_fmac_f32_e32 v18, v12, v8
	v_fmac_f32_e32 v18, v13, v9
	ds_load_2addr_b32 v[12:13], v17 offset0:128 offset1:160
	ds_load_b128 v[6:9], v16 offset:4176
	s_waitcnt lgkmcnt(3)
	v_fmac_f32_e32 v18, v14, v2
	s_delay_alu instid0(VALU_DEP_1) | instskip(SKIP_3) | instid1(VALU_DEP_1)
	v_fmac_f32_e32 v18, v15, v3
	ds_load_2addr_b32 v[14:15], v17 offset0:192 offset1:224
	s_waitcnt lgkmcnt(3)
	v_fmac_f32_e32 v18, v10, v4
	v_fmac_f32_e32 v18, v11, v5
	ds_load_2addr_b32 v[10:11], v19 offset1:32
	ds_load_b128 v[2:5], v16 offset:4192
	s_waitcnt lgkmcnt(3)
	v_fmac_f32_e32 v18, v12, v6
	s_delay_alu instid0(VALU_DEP_1) | instskip(SKIP_3) | instid1(VALU_DEP_1)
	v_fmac_f32_e32 v18, v13, v7
	ds_load_2addr_b32 v[12:13], v19 offset0:64 offset1:96
	s_waitcnt lgkmcnt(3)
	v_fmac_f32_e32 v18, v14, v8
	v_fmac_f32_e32 v18, v15, v9
	ds_load_2addr_b32 v[14:15], v19 offset0:128 offset1:160
	ds_load_b128 v[6:9], v16 offset:4208
	v_mad_u64_u32 v[16:17], null, v1, s30, 0
	s_waitcnt lgkmcnt(3)
	v_fmac_f32_e32 v18, v10, v2
	s_delay_alu instid0(VALU_DEP_1) | instskip(SKIP_3) | instid1(VALU_DEP_1)
	v_fmac_f32_e32 v18, v11, v3
	ds_load_2addr_b32 v[2:3], v19 offset0:192 offset1:224
	s_waitcnt lgkmcnt(3)
	v_fmac_f32_e32 v18, v12, v4
	v_fmac_f32_e32 v18, v13, v5
	s_waitcnt lgkmcnt(1)
	s_delay_alu instid0(VALU_DEP_1) | instskip(NEXT) | instid1(VALU_DEP_1)
	v_fmac_f32_e32 v18, v14, v6
	v_fmac_f32_e32 v18, v15, v7
	s_waitcnt lgkmcnt(0)
	s_delay_alu instid0(VALU_DEP_1) | instskip(NEXT) | instid1(VALU_DEP_1)
	v_fmac_f32_e32 v18, v2, v8
	v_fmac_f32_e32 v18, v3, v9
	s_delay_alu instid0(VALU_DEP_1) | instskip(NEXT) | instid1(VALU_DEP_1)
	v_dual_mov_b32 v10, v17 :: v_dual_mul_f32 v3, s3, v18
	v_mad_u64_u32 v[11:12], null, v1, s31, v[10:11]
	s_delay_alu instid0(VALU_DEP_1) | instskip(NEXT) | instid1(VALU_DEP_1)
	v_mov_b32_e32 v17, v11
	v_lshlrev_b64 v[4:5], 2, v[16:17]
	s_delay_alu instid0(VALU_DEP_1) | instskip(NEXT) | instid1(VALU_DEP_2)
	v_add_co_u32 v1, vcc_lo, s0, v4
	v_add_co_ci_u32_e32 v2, vcc_lo, s1, v5, vcc_lo
	s_delay_alu instid0(VALU_DEP_2) | instskip(NEXT) | instid1(VALU_DEP_2)
	v_add_co_u32 v0, vcc_lo, v1, v0
	v_add_co_ci_u32_e32 v1, vcc_lo, 0, v2, vcc_lo
	global_store_b32 v[0:1], v3, off
.LBB27_15:
	s_nop 0
	s_sendmsg sendmsg(MSG_DEALLOC_VGPRS)
	s_endpgm
	.section	.rodata,"a",@progbits
	.p2align	6, 0x0
	.amdhsa_kernel _ZL23rocblas_trmm_lTx_kernelILi32ELb0EffKffEv13rocblas_fill_17rocblas_diagonal_iiT2_lPT3_llS5_llPT4_lli
		.amdhsa_group_segment_fixed_size 8192
		.amdhsa_private_segment_fixed_size 0
		.amdhsa_kernarg_size 108
		.amdhsa_user_sgpr_count 14
		.amdhsa_user_sgpr_dispatch_ptr 0
		.amdhsa_user_sgpr_queue_ptr 0
		.amdhsa_user_sgpr_kernarg_segment_ptr 1
		.amdhsa_user_sgpr_dispatch_id 0
		.amdhsa_user_sgpr_private_segment_size 0
		.amdhsa_wavefront_size32 1
		.amdhsa_uses_dynamic_stack 0
		.amdhsa_enable_private_segment 0
		.amdhsa_system_sgpr_workgroup_id_x 1
		.amdhsa_system_sgpr_workgroup_id_y 0
		.amdhsa_system_sgpr_workgroup_id_z 1
		.amdhsa_system_sgpr_workgroup_info 0
		.amdhsa_system_vgpr_workitem_id 1
		.amdhsa_next_free_vgpr 20
		.amdhsa_next_free_sgpr 32
		.amdhsa_reserve_vcc 1
		.amdhsa_float_round_mode_32 0
		.amdhsa_float_round_mode_16_64 0
		.amdhsa_float_denorm_mode_32 3
		.amdhsa_float_denorm_mode_16_64 3
		.amdhsa_dx10_clamp 1
		.amdhsa_ieee_mode 1
		.amdhsa_fp16_overflow 0
		.amdhsa_workgroup_processor_mode 1
		.amdhsa_memory_ordered 1
		.amdhsa_forward_progress 0
		.amdhsa_shared_vgpr_count 0
		.amdhsa_exception_fp_ieee_invalid_op 0
		.amdhsa_exception_fp_denorm_src 0
		.amdhsa_exception_fp_ieee_div_zero 0
		.amdhsa_exception_fp_ieee_overflow 0
		.amdhsa_exception_fp_ieee_underflow 0
		.amdhsa_exception_fp_ieee_inexact 0
		.amdhsa_exception_int_div_zero 0
	.end_amdhsa_kernel
	.section	.text._ZL23rocblas_trmm_lTx_kernelILi32ELb0EffKffEv13rocblas_fill_17rocblas_diagonal_iiT2_lPT3_llS5_llPT4_lli,"axG",@progbits,_ZL23rocblas_trmm_lTx_kernelILi32ELb0EffKffEv13rocblas_fill_17rocblas_diagonal_iiT2_lPT3_llS5_llPT4_lli,comdat
.Lfunc_end27:
	.size	_ZL23rocblas_trmm_lTx_kernelILi32ELb0EffKffEv13rocblas_fill_17rocblas_diagonal_iiT2_lPT3_llS5_llPT4_lli, .Lfunc_end27-_ZL23rocblas_trmm_lTx_kernelILi32ELb0EffKffEv13rocblas_fill_17rocblas_diagonal_iiT2_lPT3_llS5_llPT4_lli
                                        ; -- End function
	.section	.AMDGPU.csdata,"",@progbits
; Kernel info:
; codeLenInByte = 1304
; NumSgprs: 34
; NumVgprs: 20
; ScratchSize: 0
; MemoryBound: 0
; FloatMode: 240
; IeeeMode: 1
; LDSByteSize: 8192 bytes/workgroup (compile time only)
; SGPRBlocks: 4
; VGPRBlocks: 2
; NumSGPRsForWavesPerEU: 34
; NumVGPRsForWavesPerEU: 20
; Occupancy: 16
; WaveLimiterHint : 0
; COMPUTE_PGM_RSRC2:SCRATCH_EN: 0
; COMPUTE_PGM_RSRC2:USER_SGPR: 14
; COMPUTE_PGM_RSRC2:TRAP_HANDLER: 0
; COMPUTE_PGM_RSRC2:TGID_X_EN: 1
; COMPUTE_PGM_RSRC2:TGID_Y_EN: 0
; COMPUTE_PGM_RSRC2:TGID_Z_EN: 1
; COMPUTE_PGM_RSRC2:TIDIG_COMP_CNT: 1
	.section	.text._ZL23rocblas_trmm_lTx_kernelILi32ELb1EfPKfS0_fEv13rocblas_fill_17rocblas_diagonal_iiT2_lPT3_llS6_llPT4_lli,"axG",@progbits,_ZL23rocblas_trmm_lTx_kernelILi32ELb1EfPKfS0_fEv13rocblas_fill_17rocblas_diagonal_iiT2_lPT3_llS6_llPT4_lli,comdat
	.globl	_ZL23rocblas_trmm_lTx_kernelILi32ELb1EfPKfS0_fEv13rocblas_fill_17rocblas_diagonal_iiT2_lPT3_llS6_llPT4_lli ; -- Begin function _ZL23rocblas_trmm_lTx_kernelILi32ELb1EfPKfS0_fEv13rocblas_fill_17rocblas_diagonal_iiT2_lPT3_llS6_llPT4_lli
	.p2align	8
	.type	_ZL23rocblas_trmm_lTx_kernelILi32ELb1EfPKfS0_fEv13rocblas_fill_17rocblas_diagonal_iiT2_lPT3_llS6_llPT4_lli,@function
_ZL23rocblas_trmm_lTx_kernelILi32ELb1EfPKfS0_fEv13rocblas_fill_17rocblas_diagonal_iiT2_lPT3_llS6_llPT4_lli: ; @_ZL23rocblas_trmm_lTx_kernelILi32ELb1EfPKfS0_fEv13rocblas_fill_17rocblas_diagonal_iiT2_lPT3_llS6_llPT4_lli
; %bb.0:
	s_load_b512 s[16:31], s[0:1], 0x10
	s_waitcnt lgkmcnt(0)
	s_mul_i32 s2, s15, s19
	s_mul_hi_u32 s3, s15, s18
	s_delay_alu instid0(SALU_CYCLE_1) | instskip(SKIP_1) | instid1(SALU_CYCLE_1)
	s_add_i32 s3, s3, s2
	s_mul_i32 s2, s15, s18
	s_lshl_b64 s[2:3], s[2:3], 2
	s_delay_alu instid0(SALU_CYCLE_1) | instskip(SKIP_4) | instid1(VALU_DEP_1)
	s_add_u32 s2, s16, s2
	s_addc_u32 s3, s17, s3
	s_load_b32 s3, s[2:3], 0x0
	s_waitcnt lgkmcnt(0)
	v_cmp_eq_f32_e64 s2, s3, 0
	s_and_b32 vcc_lo, exec_lo, s2
	s_cbranch_vccnz .LBB28_15
; %bb.1:
	s_load_b128 s[4:7], s[0:1], 0x0
	v_bfe_u32 v1, v0, 10, 10
	v_and_b32_e32 v4, 0x3ff, v0
	v_mov_b32_e32 v0, 0
	s_delay_alu instid0(VALU_DEP_3) | instskip(NEXT) | instid1(VALU_DEP_1)
	v_lshlrev_b32_e32 v2, 5, v1
	v_add_lshl_u32 v3, v2, v4, 2
	ds_store_2addr_stride64_b32 v3, v0, v0 offset1:16
	v_lshlrev_b32_e32 v0, 2, v4
	s_waitcnt lgkmcnt(0)
	s_barrier
	v_cmp_gt_i32_e64 s2, s6, v1
	v_cmp_gt_i32_e32 vcc_lo, s6, v4
	buffer_gl0_inv
	s_and_b32 s2, s2, vcc_lo
	s_delay_alu instid0(SALU_CYCLE_1)
	s_and_saveexec_b32 s6, s2
	s_cbranch_execz .LBB28_3
; %bb.2:
	v_mad_u64_u32 v[5:6], null, v1, s22, 0
	s_mul_i32 s2, s15, s25
	s_mul_hi_u32 s9, s15, s24
	s_mul_i32 s8, s15, s24
	s_add_i32 s9, s9, s2
	s_delay_alu instid0(SALU_CYCLE_1) | instskip(NEXT) | instid1(VALU_DEP_1)
	s_lshl_b64 s[8:9], s[8:9], 2
	v_mad_u64_u32 v[7:8], null, v1, s23, v[6:7]
	s_add_u32 s2, s20, s8
	s_addc_u32 s8, s21, s9
	s_delay_alu instid0(VALU_DEP_1) | instskip(NEXT) | instid1(VALU_DEP_1)
	v_mov_b32_e32 v6, v7
	v_lshlrev_b64 v[5:6], 2, v[5:6]
	s_delay_alu instid0(VALU_DEP_1) | instskip(NEXT) | instid1(VALU_DEP_1)
	v_add_co_u32 v5, s2, s2, v5
	v_add_co_ci_u32_e64 v6, s2, s8, v6, s2
	s_delay_alu instid0(VALU_DEP_2) | instskip(NEXT) | instid1(VALU_DEP_1)
	v_add_co_u32 v5, s2, v5, v0
	v_add_co_ci_u32_e64 v6, s2, 0, v6, s2
	global_load_b32 v5, v[5:6], off
	v_lshlrev_b32_e32 v6, 5, v4
	s_delay_alu instid0(VALU_DEP_1)
	v_add_lshl_u32 v6, v6, v1, 2
	s_waitcnt vmcnt(0)
	ds_store_b32 v6, v5
.LBB28_3:
	s_or_b32 exec_lo, exec_lo, s6
	s_add_i32 s2, s7, -1
	s_delay_alu instid0(SALU_CYCLE_1) | instskip(NEXT) | instid1(SALU_CYCLE_1)
	s_ashr_i32 s6, s2, 31
	s_lshr_b32 s6, s6, 27
	s_delay_alu instid0(SALU_CYCLE_1) | instskip(NEXT) | instid1(SALU_CYCLE_1)
	s_add_i32 s2, s2, s6
	s_and_b32 s6, s2, 0xffffffe0
	s_ashr_i32 s2, s2, 5
	s_sub_i32 s6, s7, s6
	s_cmp_ge_i32 s14, s2
	s_cselect_b32 s2, s6, 32
	s_lshl_b32 s6, s14, 5
	v_cmp_gt_i32_e64 s2, s2, v1
	s_ashr_i32 s7, s6, 31
	s_delay_alu instid0(VALU_DEP_1) | instskip(NEXT) | instid1(SALU_CYCLE_1)
	s_and_b32 s2, vcc_lo, s2
	s_and_saveexec_b32 s8, s2
	s_cbranch_execz .LBB28_5
; %bb.4:
	v_mad_u64_u32 v[5:6], null, v1, s28, 0
	s_mul_i32 s9, s15, s31
	s_mul_hi_u32 s11, s15, s30
	s_mul_i32 s10, s15, s30
	s_add_i32 s11, s11, s9
	s_mul_i32 s12, s6, s29
	s_lshl_b64 s[10:11], s[10:11], 2
	s_delay_alu instid0(VALU_DEP_1)
	v_mad_u64_u32 v[7:8], null, v1, s29, v[6:7]
	s_mul_hi_u32 s9, s6, s28
	s_add_u32 s14, s26, s10
	s_mul_i32 s13, s7, s28
	s_addc_u32 s16, s27, s11
	s_add_i32 s9, s9, s12
	s_mul_i32 s10, s6, s28
	s_delay_alu instid0(VALU_DEP_1) | instskip(SKIP_1) | instid1(SALU_CYCLE_1)
	v_mov_b32_e32 v6, v7
	s_add_i32 s11, s9, s13
	s_lshl_b64 s[10:11], s[10:11], 2
	s_delay_alu instid0(SALU_CYCLE_1) | instskip(NEXT) | instid1(VALU_DEP_1)
	s_add_u32 s9, s14, s10
	v_lshlrev_b64 v[5:6], 2, v[5:6]
	s_addc_u32 s10, s16, s11
	s_delay_alu instid0(VALU_DEP_1) | instskip(NEXT) | instid1(VALU_DEP_2)
	v_add_co_u32 v5, vcc_lo, s9, v5
	v_add_co_ci_u32_e32 v6, vcc_lo, s10, v6, vcc_lo
	s_delay_alu instid0(VALU_DEP_2) | instskip(NEXT) | instid1(VALU_DEP_2)
	v_add_co_u32 v5, vcc_lo, v5, v0
	v_add_co_ci_u32_e32 v6, vcc_lo, 0, v6, vcc_lo
	global_load_b32 v5, v[5:6], off
	v_add_nc_u32_e32 v6, 0x1000, v3
	s_waitcnt vmcnt(0)
	ds_store_b32 v6, v5
.LBB28_5:
	s_or_b32 exec_lo, exec_lo, s8
	v_cmp_eq_u32_e32 vcc_lo, v1, v4
	s_cmpk_eq_i32 s5, 0x84
	s_cselect_b32 s5, -1, 0
	s_delay_alu instid0(SALU_CYCLE_1) | instskip(NEXT) | instid1(SALU_CYCLE_1)
	s_and_b32 s8, vcc_lo, s5
	s_and_saveexec_b32 s5, s8
	s_cbranch_execz .LBB28_7
; %bb.6:
	v_mov_b32_e32 v5, 1.0
	ds_store_b32 v3, v5
.LBB28_7:
	s_or_b32 exec_lo, exec_lo, s5
	s_cmpk_lg_i32 s4, 0x7a
	s_waitcnt lgkmcnt(0)
	s_barrier
	buffer_gl0_inv
	s_cbranch_scc0 .LBB28_9
; %bb.8:
	v_cmp_lt_u32_e32 vcc_lo, v4, v1
	s_and_b32 s4, vcc_lo, exec_lo
	s_cbranch_execz .LBB28_10
	s_branch .LBB28_11
.LBB28_9:
	s_mov_b32 s4, 0
.LBB28_10:
	v_cmp_gt_u32_e32 vcc_lo, v4, v1
	s_and_not1_b32 s4, s4, exec_lo
	s_and_b32 s5, vcc_lo, exec_lo
	s_delay_alu instid0(SALU_CYCLE_1)
	s_or_b32 s4, s4, s5
.LBB28_11:
	s_delay_alu instid0(SALU_CYCLE_1)
	s_and_saveexec_b32 s5, s4
	s_cbranch_execz .LBB28_13
; %bb.12:
	v_mov_b32_e32 v4, 0
	ds_store_b32 v3, v4
.LBB28_13:
	s_or_b32 exec_lo, exec_lo, s5
	s_waitcnt lgkmcnt(0)
	s_barrier
	buffer_gl0_inv
	s_and_saveexec_b32 s4, s2
	s_cbranch_execz .LBB28_15
; %bb.14:
	v_lshlrev_b32_e32 v16, 2, v2
	s_clause 0x1
	s_load_b128 s[8:11], s[0:1], 0x50
	s_load_b64 s[0:1], s[0:1], 0x60
	ds_load_2addr_b32 v[10:11], v0 offset1:32
	ds_load_b128 v[2:5], v16 offset:4096
	ds_load_2addr_b32 v[12:13], v0 offset0:64 offset1:96
	ds_load_2addr_b32 v[14:15], v0 offset0:128 offset1:160
	ds_load_b128 v[6:9], v16 offset:4112
	v_add_nc_u32_e32 v17, 0x400, v0
	v_add_nc_u32_e32 v19, 0xc00, v0
	s_waitcnt lgkmcnt(0)
	v_fma_f32 v18, v10, v2, 0
	s_mul_i32 s1, s15, s1
	s_mul_hi_u32 s2, s15, s0
	s_mul_i32 s0, s15, s0
	s_add_i32 s1, s2, s1
	v_fmac_f32_e32 v18, v11, v3
	ds_load_2addr_b32 v[10:11], v0 offset0:192 offset1:224
	s_lshl_b64 s[0:1], s[0:1], 2
	s_mul_i32 s5, s6, s11
	s_mul_hi_u32 s12, s6, s10
	v_fmac_f32_e32 v18, v12, v4
	s_add_u32 s2, s8, s0
	s_mul_i32 s7, s7, s10
	s_mul_i32 s4, s6, s10
	s_addc_u32 s6, s9, s1
	v_fmac_f32_e32 v18, v13, v5
	ds_load_2addr_b32 v[12:13], v17 offset1:32
	ds_load_b128 v[2:5], v16 offset:4128
	s_add_i32 s0, s12, s5
	v_fmac_f32_e32 v18, v14, v6
	s_add_i32 s5, s0, s7
	s_delay_alu instid0(SALU_CYCLE_1) | instskip(NEXT) | instid1(SALU_CYCLE_1)
	s_lshl_b64 s[0:1], s[4:5], 2
	s_add_u32 s0, s2, s0
	s_delay_alu instid0(VALU_DEP_1) | instskip(SKIP_4) | instid1(VALU_DEP_1)
	v_fmac_f32_e32 v18, v15, v7
	ds_load_2addr_b32 v[14:15], v17 offset0:64 offset1:96
	s_addc_u32 s1, s6, s1
	s_waitcnt lgkmcnt(3)
	v_fmac_f32_e32 v18, v10, v8
	v_fmac_f32_e32 v18, v11, v9
	ds_load_b128 v[6:9], v16 offset:4144
	ds_load_2addr_b32 v[10:11], v17 offset0:128 offset1:160
	s_waitcnt lgkmcnt(3)
	v_fmac_f32_e32 v18, v12, v2
	s_delay_alu instid0(VALU_DEP_1) | instskip(SKIP_4) | instid1(VALU_DEP_1)
	v_fmac_f32_e32 v18, v13, v3
	ds_load_2addr_b32 v[12:13], v17 offset0:192 offset1:224
	v_add_nc_u32_e32 v17, 0x800, v0
	s_waitcnt lgkmcnt(3)
	v_fmac_f32_e32 v18, v14, v4
	v_fmac_f32_e32 v18, v15, v5
	ds_load_2addr_b32 v[14:15], v17 offset1:32
	ds_load_b128 v[2:5], v16 offset:4160
	s_waitcnt lgkmcnt(3)
	v_fmac_f32_e32 v18, v10, v6
	s_delay_alu instid0(VALU_DEP_1) | instskip(SKIP_3) | instid1(VALU_DEP_1)
	v_fmac_f32_e32 v18, v11, v7
	ds_load_2addr_b32 v[10:11], v17 offset0:64 offset1:96
	s_waitcnt lgkmcnt(3)
	v_fmac_f32_e32 v18, v12, v8
	v_fmac_f32_e32 v18, v13, v9
	ds_load_2addr_b32 v[12:13], v17 offset0:128 offset1:160
	ds_load_b128 v[6:9], v16 offset:4176
	s_waitcnt lgkmcnt(3)
	v_fmac_f32_e32 v18, v14, v2
	s_delay_alu instid0(VALU_DEP_1) | instskip(SKIP_3) | instid1(VALU_DEP_1)
	v_fmac_f32_e32 v18, v15, v3
	ds_load_2addr_b32 v[14:15], v17 offset0:192 offset1:224
	s_waitcnt lgkmcnt(3)
	v_fmac_f32_e32 v18, v10, v4
	v_fmac_f32_e32 v18, v11, v5
	ds_load_2addr_b32 v[10:11], v19 offset1:32
	ds_load_b128 v[2:5], v16 offset:4192
	s_waitcnt lgkmcnt(3)
	v_fmac_f32_e32 v18, v12, v6
	s_delay_alu instid0(VALU_DEP_1) | instskip(SKIP_3) | instid1(VALU_DEP_1)
	v_fmac_f32_e32 v18, v13, v7
	ds_load_2addr_b32 v[12:13], v19 offset0:64 offset1:96
	s_waitcnt lgkmcnt(3)
	v_fmac_f32_e32 v18, v14, v8
	v_fmac_f32_e32 v18, v15, v9
	ds_load_2addr_b32 v[14:15], v19 offset0:128 offset1:160
	ds_load_b128 v[6:9], v16 offset:4208
	v_mad_u64_u32 v[16:17], null, v1, s10, 0
	s_waitcnt lgkmcnt(3)
	v_fmac_f32_e32 v18, v10, v2
	s_delay_alu instid0(VALU_DEP_1) | instskip(SKIP_3) | instid1(VALU_DEP_1)
	v_fmac_f32_e32 v18, v11, v3
	ds_load_2addr_b32 v[2:3], v19 offset0:192 offset1:224
	s_waitcnt lgkmcnt(3)
	v_fmac_f32_e32 v18, v12, v4
	v_fmac_f32_e32 v18, v13, v5
	s_waitcnt lgkmcnt(1)
	s_delay_alu instid0(VALU_DEP_1) | instskip(NEXT) | instid1(VALU_DEP_1)
	v_fmac_f32_e32 v18, v14, v6
	v_fmac_f32_e32 v18, v15, v7
	s_waitcnt lgkmcnt(0)
	s_delay_alu instid0(VALU_DEP_1) | instskip(NEXT) | instid1(VALU_DEP_1)
	v_fmac_f32_e32 v18, v2, v8
	v_fmac_f32_e32 v18, v3, v9
	s_delay_alu instid0(VALU_DEP_1) | instskip(NEXT) | instid1(VALU_DEP_1)
	v_dual_mov_b32 v4, v17 :: v_dual_mul_f32 v3, s3, v18
	v_mad_u64_u32 v[10:11], null, v1, s11, v[4:5]
	s_delay_alu instid0(VALU_DEP_1) | instskip(NEXT) | instid1(VALU_DEP_1)
	v_mov_b32_e32 v17, v10
	v_lshlrev_b64 v[1:2], 2, v[16:17]
	s_delay_alu instid0(VALU_DEP_1) | instskip(NEXT) | instid1(VALU_DEP_2)
	v_add_co_u32 v1, vcc_lo, s0, v1
	v_add_co_ci_u32_e32 v2, vcc_lo, s1, v2, vcc_lo
	s_delay_alu instid0(VALU_DEP_2) | instskip(NEXT) | instid1(VALU_DEP_2)
	v_add_co_u32 v0, vcc_lo, v1, v0
	v_add_co_ci_u32_e32 v1, vcc_lo, 0, v2, vcc_lo
	global_store_b32 v[0:1], v3, off
.LBB28_15:
	s_nop 0
	s_sendmsg sendmsg(MSG_DEALLOC_VGPRS)
	s_endpgm
	.section	.rodata,"a",@progbits
	.p2align	6, 0x0
	.amdhsa_kernel _ZL23rocblas_trmm_lTx_kernelILi32ELb1EfPKfS0_fEv13rocblas_fill_17rocblas_diagonal_iiT2_lPT3_llS6_llPT4_lli
		.amdhsa_group_segment_fixed_size 8192
		.amdhsa_private_segment_fixed_size 0
		.amdhsa_kernarg_size 108
		.amdhsa_user_sgpr_count 14
		.amdhsa_user_sgpr_dispatch_ptr 0
		.amdhsa_user_sgpr_queue_ptr 0
		.amdhsa_user_sgpr_kernarg_segment_ptr 1
		.amdhsa_user_sgpr_dispatch_id 0
		.amdhsa_user_sgpr_private_segment_size 0
		.amdhsa_wavefront_size32 1
		.amdhsa_uses_dynamic_stack 0
		.amdhsa_enable_private_segment 0
		.amdhsa_system_sgpr_workgroup_id_x 1
		.amdhsa_system_sgpr_workgroup_id_y 0
		.amdhsa_system_sgpr_workgroup_id_z 1
		.amdhsa_system_sgpr_workgroup_info 0
		.amdhsa_system_vgpr_workitem_id 1
		.amdhsa_next_free_vgpr 20
		.amdhsa_next_free_sgpr 32
		.amdhsa_reserve_vcc 1
		.amdhsa_float_round_mode_32 0
		.amdhsa_float_round_mode_16_64 0
		.amdhsa_float_denorm_mode_32 3
		.amdhsa_float_denorm_mode_16_64 3
		.amdhsa_dx10_clamp 1
		.amdhsa_ieee_mode 1
		.amdhsa_fp16_overflow 0
		.amdhsa_workgroup_processor_mode 1
		.amdhsa_memory_ordered 1
		.amdhsa_forward_progress 0
		.amdhsa_shared_vgpr_count 0
		.amdhsa_exception_fp_ieee_invalid_op 0
		.amdhsa_exception_fp_denorm_src 0
		.amdhsa_exception_fp_ieee_div_zero 0
		.amdhsa_exception_fp_ieee_overflow 0
		.amdhsa_exception_fp_ieee_underflow 0
		.amdhsa_exception_fp_ieee_inexact 0
		.amdhsa_exception_int_div_zero 0
	.end_amdhsa_kernel
	.section	.text._ZL23rocblas_trmm_lTx_kernelILi32ELb1EfPKfS0_fEv13rocblas_fill_17rocblas_diagonal_iiT2_lPT3_llS6_llPT4_lli,"axG",@progbits,_ZL23rocblas_trmm_lTx_kernelILi32ELb1EfPKfS0_fEv13rocblas_fill_17rocblas_diagonal_iiT2_lPT3_llS6_llPT4_lli,comdat
.Lfunc_end28:
	.size	_ZL23rocblas_trmm_lTx_kernelILi32ELb1EfPKfS0_fEv13rocblas_fill_17rocblas_diagonal_iiT2_lPT3_llS6_llPT4_lli, .Lfunc_end28-_ZL23rocblas_trmm_lTx_kernelILi32ELb1EfPKfS0_fEv13rocblas_fill_17rocblas_diagonal_iiT2_lPT3_llS6_llPT4_lli
                                        ; -- End function
	.section	.AMDGPU.csdata,"",@progbits
; Kernel info:
; codeLenInByte = 1352
; NumSgprs: 34
; NumVgprs: 20
; ScratchSize: 0
; MemoryBound: 0
; FloatMode: 240
; IeeeMode: 1
; LDSByteSize: 8192 bytes/workgroup (compile time only)
; SGPRBlocks: 4
; VGPRBlocks: 2
; NumSGPRsForWavesPerEU: 34
; NumVGPRsForWavesPerEU: 20
; Occupancy: 16
; WaveLimiterHint : 0
; COMPUTE_PGM_RSRC2:SCRATCH_EN: 0
; COMPUTE_PGM_RSRC2:USER_SGPR: 14
; COMPUTE_PGM_RSRC2:TRAP_HANDLER: 0
; COMPUTE_PGM_RSRC2:TGID_X_EN: 1
; COMPUTE_PGM_RSRC2:TGID_Y_EN: 0
; COMPUTE_PGM_RSRC2:TGID_Z_EN: 1
; COMPUTE_PGM_RSRC2:TIDIG_COMP_CNT: 1
	.section	.text._ZL23rocblas_trmm_lTx_kernelILi32ELb1EffKffEv13rocblas_fill_17rocblas_diagonal_iiT2_lPT3_llS5_llPT4_lli,"axG",@progbits,_ZL23rocblas_trmm_lTx_kernelILi32ELb1EffKffEv13rocblas_fill_17rocblas_diagonal_iiT2_lPT3_llS5_llPT4_lli,comdat
	.globl	_ZL23rocblas_trmm_lTx_kernelILi32ELb1EffKffEv13rocblas_fill_17rocblas_diagonal_iiT2_lPT3_llS5_llPT4_lli ; -- Begin function _ZL23rocblas_trmm_lTx_kernelILi32ELb1EffKffEv13rocblas_fill_17rocblas_diagonal_iiT2_lPT3_llS5_llPT4_lli
	.p2align	8
	.type	_ZL23rocblas_trmm_lTx_kernelILi32ELb1EffKffEv13rocblas_fill_17rocblas_diagonal_iiT2_lPT3_llS5_llPT4_lli,@function
_ZL23rocblas_trmm_lTx_kernelILi32ELb1EffKffEv13rocblas_fill_17rocblas_diagonal_iiT2_lPT3_llS5_llPT4_lli: ; @_ZL23rocblas_trmm_lTx_kernelILi32ELb1EffKffEv13rocblas_fill_17rocblas_diagonal_iiT2_lPT3_llS5_llPT4_lli
; %bb.0:
	s_load_b32 s3, s[0:1], 0x10
	s_waitcnt lgkmcnt(0)
	v_cmp_eq_f32_e64 s2, s3, 0
	s_delay_alu instid0(VALU_DEP_1)
	s_and_b32 vcc_lo, exec_lo, s2
	s_cbranch_vccnz .LBB29_15
; %bb.1:
	s_load_b128 s[4:7], s[0:1], 0x0
	v_bfe_u32 v1, v0, 10, 10
	s_load_b512 s[16:31], s[0:1], 0x20
	v_and_b32_e32 v4, 0x3ff, v0
	v_mov_b32_e32 v0, 0
	s_delay_alu instid0(VALU_DEP_3) | instskip(NEXT) | instid1(VALU_DEP_1)
	v_lshlrev_b32_e32 v2, 5, v1
	v_add_lshl_u32 v3, v2, v4, 2
	ds_store_2addr_stride64_b32 v3, v0, v0 offset1:16
	v_lshlrev_b32_e32 v0, 2, v4
	s_waitcnt lgkmcnt(0)
	s_barrier
	v_cmp_gt_i32_e64 s2, s6, v1
	v_cmp_gt_i32_e32 vcc_lo, s6, v4
	buffer_gl0_inv
	s_and_b32 s2, s2, vcc_lo
	s_delay_alu instid0(SALU_CYCLE_1)
	s_and_saveexec_b32 s6, s2
	s_cbranch_execz .LBB29_3
; %bb.2:
	v_mad_u64_u32 v[5:6], null, v1, s18, 0
	s_mul_i32 s2, s15, s21
	s_mul_hi_u32 s9, s15, s20
	s_mul_i32 s8, s15, s20
	s_add_i32 s9, s9, s2
	s_delay_alu instid0(SALU_CYCLE_1) | instskip(NEXT) | instid1(VALU_DEP_1)
	s_lshl_b64 s[8:9], s[8:9], 2
	v_mad_u64_u32 v[7:8], null, v1, s19, v[6:7]
	s_add_u32 s2, s16, s8
	s_addc_u32 s8, s17, s9
	s_delay_alu instid0(VALU_DEP_1) | instskip(NEXT) | instid1(VALU_DEP_1)
	v_mov_b32_e32 v6, v7
	v_lshlrev_b64 v[5:6], 2, v[5:6]
	s_delay_alu instid0(VALU_DEP_1) | instskip(NEXT) | instid1(VALU_DEP_1)
	v_add_co_u32 v5, s2, s2, v5
	v_add_co_ci_u32_e64 v6, s2, s8, v6, s2
	s_delay_alu instid0(VALU_DEP_2) | instskip(NEXT) | instid1(VALU_DEP_1)
	v_add_co_u32 v5, s2, v5, v0
	v_add_co_ci_u32_e64 v6, s2, 0, v6, s2
	global_load_b32 v5, v[5:6], off
	v_lshlrev_b32_e32 v6, 5, v4
	s_delay_alu instid0(VALU_DEP_1)
	v_add_lshl_u32 v6, v6, v1, 2
	s_waitcnt vmcnt(0)
	ds_store_b32 v6, v5
.LBB29_3:
	s_or_b32 exec_lo, exec_lo, s6
	s_add_i32 s2, s7, -1
	s_delay_alu instid0(SALU_CYCLE_1) | instskip(NEXT) | instid1(SALU_CYCLE_1)
	s_ashr_i32 s6, s2, 31
	s_lshr_b32 s6, s6, 27
	s_delay_alu instid0(SALU_CYCLE_1) | instskip(NEXT) | instid1(SALU_CYCLE_1)
	s_add_i32 s2, s2, s6
	s_and_b32 s6, s2, 0xffffffe0
	s_ashr_i32 s2, s2, 5
	s_sub_i32 s6, s7, s6
	s_cmp_ge_i32 s14, s2
	s_cselect_b32 s2, s6, 32
	s_lshl_b32 s6, s14, 5
	v_cmp_gt_i32_e64 s2, s2, v1
	s_ashr_i32 s7, s6, 31
	s_delay_alu instid0(VALU_DEP_1) | instskip(NEXT) | instid1(SALU_CYCLE_1)
	s_and_b32 s2, vcc_lo, s2
	s_and_saveexec_b32 s8, s2
	s_cbranch_execz .LBB29_5
; %bb.4:
	v_mad_u64_u32 v[5:6], null, v1, s24, 0
	s_mul_i32 s9, s15, s27
	s_mul_hi_u32 s11, s15, s26
	s_mul_i32 s10, s15, s26
	s_add_i32 s11, s11, s9
	s_mul_i32 s12, s6, s25
	s_lshl_b64 s[10:11], s[10:11], 2
	s_delay_alu instid0(VALU_DEP_1)
	v_mad_u64_u32 v[7:8], null, v1, s25, v[6:7]
	s_mul_hi_u32 s9, s6, s24
	s_add_u32 s14, s22, s10
	s_mul_i32 s13, s7, s24
	s_addc_u32 s16, s23, s11
	s_add_i32 s9, s9, s12
	s_mul_i32 s10, s6, s24
	s_delay_alu instid0(VALU_DEP_1) | instskip(SKIP_1) | instid1(SALU_CYCLE_1)
	v_mov_b32_e32 v6, v7
	s_add_i32 s11, s9, s13
	s_lshl_b64 s[10:11], s[10:11], 2
	s_delay_alu instid0(SALU_CYCLE_1) | instskip(NEXT) | instid1(VALU_DEP_1)
	s_add_u32 s9, s14, s10
	v_lshlrev_b64 v[5:6], 2, v[5:6]
	s_addc_u32 s10, s16, s11
	s_delay_alu instid0(VALU_DEP_1) | instskip(NEXT) | instid1(VALU_DEP_2)
	v_add_co_u32 v5, vcc_lo, s9, v5
	v_add_co_ci_u32_e32 v6, vcc_lo, s10, v6, vcc_lo
	s_delay_alu instid0(VALU_DEP_2) | instskip(NEXT) | instid1(VALU_DEP_2)
	v_add_co_u32 v5, vcc_lo, v5, v0
	v_add_co_ci_u32_e32 v6, vcc_lo, 0, v6, vcc_lo
	global_load_b32 v5, v[5:6], off
	v_add_nc_u32_e32 v6, 0x1000, v3
	s_waitcnt vmcnt(0)
	ds_store_b32 v6, v5
.LBB29_5:
	s_or_b32 exec_lo, exec_lo, s8
	v_cmp_eq_u32_e32 vcc_lo, v1, v4
	s_cmpk_eq_i32 s5, 0x84
	s_cselect_b32 s5, -1, 0
	s_delay_alu instid0(SALU_CYCLE_1) | instskip(NEXT) | instid1(SALU_CYCLE_1)
	s_and_b32 s8, vcc_lo, s5
	s_and_saveexec_b32 s5, s8
	s_cbranch_execz .LBB29_7
; %bb.6:
	v_mov_b32_e32 v5, 1.0
	ds_store_b32 v3, v5
.LBB29_7:
	s_or_b32 exec_lo, exec_lo, s5
	s_cmpk_lg_i32 s4, 0x7a
	s_waitcnt lgkmcnt(0)
	s_barrier
	buffer_gl0_inv
	s_cbranch_scc0 .LBB29_9
; %bb.8:
	v_cmp_lt_u32_e32 vcc_lo, v4, v1
	s_and_b32 s4, vcc_lo, exec_lo
	s_cbranch_execz .LBB29_10
	s_branch .LBB29_11
.LBB29_9:
	s_mov_b32 s4, 0
.LBB29_10:
	v_cmp_gt_u32_e32 vcc_lo, v4, v1
	s_and_not1_b32 s4, s4, exec_lo
	s_and_b32 s5, vcc_lo, exec_lo
	s_delay_alu instid0(SALU_CYCLE_1)
	s_or_b32 s4, s4, s5
.LBB29_11:
	s_delay_alu instid0(SALU_CYCLE_1)
	s_and_saveexec_b32 s5, s4
	s_cbranch_execz .LBB29_13
; %bb.12:
	v_mov_b32_e32 v4, 0
	ds_store_b32 v3, v4
.LBB29_13:
	s_or_b32 exec_lo, exec_lo, s5
	s_waitcnt lgkmcnt(0)
	s_barrier
	buffer_gl0_inv
	s_and_saveexec_b32 s4, s2
	s_cbranch_execz .LBB29_15
; %bb.14:
	v_lshlrev_b32_e32 v16, 2, v2
	s_load_b64 s[0:1], s[0:1], 0x60
	s_mul_i32 s2, s6, s31
	s_mul_hi_u32 s5, s6, s30
	ds_load_2addr_b32 v[10:11], v0 offset1:32
	ds_load_b128 v[2:5], v16 offset:4096
	ds_load_2addr_b32 v[12:13], v0 offset0:64 offset1:96
	ds_load_2addr_b32 v[14:15], v0 offset0:128 offset1:160
	ds_load_b128 v[6:9], v16 offset:4112
	s_mul_i32 s7, s7, s30
	v_add_nc_u32_e32 v17, 0x400, v0
	v_add_nc_u32_e32 v19, 0xc00, v0
	s_waitcnt lgkmcnt(0)
	v_fma_f32 v18, v10, v2, 0
	s_mul_i32 s1, s15, s1
	s_mul_hi_u32 s4, s15, s0
	s_mul_i32 s0, s15, s0
	s_add_i32 s1, s4, s1
	v_fmac_f32_e32 v18, v11, v3
	ds_load_2addr_b32 v[10:11], v0 offset0:192 offset1:224
	s_lshl_b64 s[0:1], s[0:1], 2
	s_mul_i32 s4, s6, s30
	s_add_u32 s6, s28, s0
	v_fmac_f32_e32 v18, v12, v4
	s_addc_u32 s8, s29, s1
	s_add_i32 s0, s5, s2
	s_delay_alu instid0(SALU_CYCLE_1) | instskip(NEXT) | instid1(VALU_DEP_1)
	s_add_i32 s5, s0, s7
	v_fmac_f32_e32 v18, v13, v5
	ds_load_2addr_b32 v[12:13], v17 offset1:32
	ds_load_b128 v[2:5], v16 offset:4128
	s_lshl_b64 s[0:1], s[4:5], 2
	v_fmac_f32_e32 v18, v14, v6
	s_add_u32 s0, s6, s0
	s_addc_u32 s1, s8, s1
	s_delay_alu instid0(VALU_DEP_1) | instskip(SKIP_3) | instid1(VALU_DEP_1)
	v_fmac_f32_e32 v18, v15, v7
	ds_load_2addr_b32 v[14:15], v17 offset0:64 offset1:96
	s_waitcnt lgkmcnt(3)
	v_fmac_f32_e32 v18, v10, v8
	v_fmac_f32_e32 v18, v11, v9
	ds_load_b128 v[6:9], v16 offset:4144
	ds_load_2addr_b32 v[10:11], v17 offset0:128 offset1:160
	s_waitcnt lgkmcnt(3)
	v_fmac_f32_e32 v18, v12, v2
	s_delay_alu instid0(VALU_DEP_1) | instskip(SKIP_4) | instid1(VALU_DEP_1)
	v_fmac_f32_e32 v18, v13, v3
	ds_load_2addr_b32 v[12:13], v17 offset0:192 offset1:224
	v_add_nc_u32_e32 v17, 0x800, v0
	s_waitcnt lgkmcnt(3)
	v_fmac_f32_e32 v18, v14, v4
	v_fmac_f32_e32 v18, v15, v5
	ds_load_2addr_b32 v[14:15], v17 offset1:32
	ds_load_b128 v[2:5], v16 offset:4160
	s_waitcnt lgkmcnt(3)
	v_fmac_f32_e32 v18, v10, v6
	s_delay_alu instid0(VALU_DEP_1) | instskip(SKIP_3) | instid1(VALU_DEP_1)
	v_fmac_f32_e32 v18, v11, v7
	ds_load_2addr_b32 v[10:11], v17 offset0:64 offset1:96
	s_waitcnt lgkmcnt(3)
	v_fmac_f32_e32 v18, v12, v8
	v_fmac_f32_e32 v18, v13, v9
	ds_load_2addr_b32 v[12:13], v17 offset0:128 offset1:160
	ds_load_b128 v[6:9], v16 offset:4176
	s_waitcnt lgkmcnt(3)
	v_fmac_f32_e32 v18, v14, v2
	s_delay_alu instid0(VALU_DEP_1) | instskip(SKIP_3) | instid1(VALU_DEP_1)
	v_fmac_f32_e32 v18, v15, v3
	ds_load_2addr_b32 v[14:15], v17 offset0:192 offset1:224
	s_waitcnt lgkmcnt(3)
	v_fmac_f32_e32 v18, v10, v4
	v_fmac_f32_e32 v18, v11, v5
	ds_load_2addr_b32 v[10:11], v19 offset1:32
	ds_load_b128 v[2:5], v16 offset:4192
	s_waitcnt lgkmcnt(3)
	v_fmac_f32_e32 v18, v12, v6
	s_delay_alu instid0(VALU_DEP_1) | instskip(SKIP_3) | instid1(VALU_DEP_1)
	v_fmac_f32_e32 v18, v13, v7
	ds_load_2addr_b32 v[12:13], v19 offset0:64 offset1:96
	s_waitcnt lgkmcnt(3)
	v_fmac_f32_e32 v18, v14, v8
	v_fmac_f32_e32 v18, v15, v9
	ds_load_2addr_b32 v[14:15], v19 offset0:128 offset1:160
	ds_load_b128 v[6:9], v16 offset:4208
	v_mad_u64_u32 v[16:17], null, v1, s30, 0
	s_waitcnt lgkmcnt(3)
	v_fmac_f32_e32 v18, v10, v2
	s_delay_alu instid0(VALU_DEP_1) | instskip(SKIP_3) | instid1(VALU_DEP_1)
	v_fmac_f32_e32 v18, v11, v3
	ds_load_2addr_b32 v[2:3], v19 offset0:192 offset1:224
	s_waitcnt lgkmcnt(3)
	v_fmac_f32_e32 v18, v12, v4
	v_fmac_f32_e32 v18, v13, v5
	s_waitcnt lgkmcnt(1)
	s_delay_alu instid0(VALU_DEP_1) | instskip(NEXT) | instid1(VALU_DEP_1)
	v_fmac_f32_e32 v18, v14, v6
	v_fmac_f32_e32 v18, v15, v7
	s_waitcnt lgkmcnt(0)
	s_delay_alu instid0(VALU_DEP_1) | instskip(NEXT) | instid1(VALU_DEP_1)
	v_fmac_f32_e32 v18, v2, v8
	v_fmac_f32_e32 v18, v3, v9
	s_delay_alu instid0(VALU_DEP_1) | instskip(NEXT) | instid1(VALU_DEP_1)
	v_dual_mov_b32 v10, v17 :: v_dual_mul_f32 v3, s3, v18
	v_mad_u64_u32 v[11:12], null, v1, s31, v[10:11]
	s_delay_alu instid0(VALU_DEP_1) | instskip(NEXT) | instid1(VALU_DEP_1)
	v_mov_b32_e32 v17, v11
	v_lshlrev_b64 v[4:5], 2, v[16:17]
	s_delay_alu instid0(VALU_DEP_1) | instskip(NEXT) | instid1(VALU_DEP_2)
	v_add_co_u32 v1, vcc_lo, s0, v4
	v_add_co_ci_u32_e32 v2, vcc_lo, s1, v5, vcc_lo
	s_delay_alu instid0(VALU_DEP_2) | instskip(NEXT) | instid1(VALU_DEP_2)
	v_add_co_u32 v0, vcc_lo, v1, v0
	v_add_co_ci_u32_e32 v1, vcc_lo, 0, v2, vcc_lo
	global_store_b32 v[0:1], v3, off
.LBB29_15:
	s_nop 0
	s_sendmsg sendmsg(MSG_DEALLOC_VGPRS)
	s_endpgm
	.section	.rodata,"a",@progbits
	.p2align	6, 0x0
	.amdhsa_kernel _ZL23rocblas_trmm_lTx_kernelILi32ELb1EffKffEv13rocblas_fill_17rocblas_diagonal_iiT2_lPT3_llS5_llPT4_lli
		.amdhsa_group_segment_fixed_size 8192
		.amdhsa_private_segment_fixed_size 0
		.amdhsa_kernarg_size 108
		.amdhsa_user_sgpr_count 14
		.amdhsa_user_sgpr_dispatch_ptr 0
		.amdhsa_user_sgpr_queue_ptr 0
		.amdhsa_user_sgpr_kernarg_segment_ptr 1
		.amdhsa_user_sgpr_dispatch_id 0
		.amdhsa_user_sgpr_private_segment_size 0
		.amdhsa_wavefront_size32 1
		.amdhsa_uses_dynamic_stack 0
		.amdhsa_enable_private_segment 0
		.amdhsa_system_sgpr_workgroup_id_x 1
		.amdhsa_system_sgpr_workgroup_id_y 0
		.amdhsa_system_sgpr_workgroup_id_z 1
		.amdhsa_system_sgpr_workgroup_info 0
		.amdhsa_system_vgpr_workitem_id 1
		.amdhsa_next_free_vgpr 20
		.amdhsa_next_free_sgpr 32
		.amdhsa_reserve_vcc 1
		.amdhsa_float_round_mode_32 0
		.amdhsa_float_round_mode_16_64 0
		.amdhsa_float_denorm_mode_32 3
		.amdhsa_float_denorm_mode_16_64 3
		.amdhsa_dx10_clamp 1
		.amdhsa_ieee_mode 1
		.amdhsa_fp16_overflow 0
		.amdhsa_workgroup_processor_mode 1
		.amdhsa_memory_ordered 1
		.amdhsa_forward_progress 0
		.amdhsa_shared_vgpr_count 0
		.amdhsa_exception_fp_ieee_invalid_op 0
		.amdhsa_exception_fp_denorm_src 0
		.amdhsa_exception_fp_ieee_div_zero 0
		.amdhsa_exception_fp_ieee_overflow 0
		.amdhsa_exception_fp_ieee_underflow 0
		.amdhsa_exception_fp_ieee_inexact 0
		.amdhsa_exception_int_div_zero 0
	.end_amdhsa_kernel
	.section	.text._ZL23rocblas_trmm_lTx_kernelILi32ELb1EffKffEv13rocblas_fill_17rocblas_diagonal_iiT2_lPT3_llS5_llPT4_lli,"axG",@progbits,_ZL23rocblas_trmm_lTx_kernelILi32ELb1EffKffEv13rocblas_fill_17rocblas_diagonal_iiT2_lPT3_llS5_llPT4_lli,comdat
.Lfunc_end29:
	.size	_ZL23rocblas_trmm_lTx_kernelILi32ELb1EffKffEv13rocblas_fill_17rocblas_diagonal_iiT2_lPT3_llS5_llPT4_lli, .Lfunc_end29-_ZL23rocblas_trmm_lTx_kernelILi32ELb1EffKffEv13rocblas_fill_17rocblas_diagonal_iiT2_lPT3_llS5_llPT4_lli
                                        ; -- End function
	.section	.AMDGPU.csdata,"",@progbits
; Kernel info:
; codeLenInByte = 1304
; NumSgprs: 34
; NumVgprs: 20
; ScratchSize: 0
; MemoryBound: 0
; FloatMode: 240
; IeeeMode: 1
; LDSByteSize: 8192 bytes/workgroup (compile time only)
; SGPRBlocks: 4
; VGPRBlocks: 2
; NumSGPRsForWavesPerEU: 34
; NumVGPRsForWavesPerEU: 20
; Occupancy: 16
; WaveLimiterHint : 0
; COMPUTE_PGM_RSRC2:SCRATCH_EN: 0
; COMPUTE_PGM_RSRC2:USER_SGPR: 14
; COMPUTE_PGM_RSRC2:TRAP_HANDLER: 0
; COMPUTE_PGM_RSRC2:TGID_X_EN: 1
; COMPUTE_PGM_RSRC2:TGID_Y_EN: 0
; COMPUTE_PGM_RSRC2:TGID_Z_EN: 1
; COMPUTE_PGM_RSRC2:TIDIG_COMP_CNT: 1
	.section	.text._ZL23rocblas_trmm_rNx_kernelILi32EfPKfS0_fEv13rocblas_fill_17rocblas_diagonal_iiT1_lPT2_llS6_llPT3_lli,"axG",@progbits,_ZL23rocblas_trmm_rNx_kernelILi32EfPKfS0_fEv13rocblas_fill_17rocblas_diagonal_iiT1_lPT2_llS6_llPT3_lli,comdat
	.globl	_ZL23rocblas_trmm_rNx_kernelILi32EfPKfS0_fEv13rocblas_fill_17rocblas_diagonal_iiT1_lPT2_llS6_llPT3_lli ; -- Begin function _ZL23rocblas_trmm_rNx_kernelILi32EfPKfS0_fEv13rocblas_fill_17rocblas_diagonal_iiT1_lPT2_llS6_llPT3_lli
	.p2align	8
	.type	_ZL23rocblas_trmm_rNx_kernelILi32EfPKfS0_fEv13rocblas_fill_17rocblas_diagonal_iiT1_lPT2_llS6_llPT3_lli,@function
_ZL23rocblas_trmm_rNx_kernelILi32EfPKfS0_fEv13rocblas_fill_17rocblas_diagonal_iiT1_lPT2_llS6_llPT3_lli: ; @_ZL23rocblas_trmm_rNx_kernelILi32EfPKfS0_fEv13rocblas_fill_17rocblas_diagonal_iiT1_lPT2_llS6_llPT3_lli
; %bb.0:
	s_load_b512 s[16:31], s[0:1], 0x10
	s_waitcnt lgkmcnt(0)
	s_mul_i32 s2, s15, s19
	s_mul_hi_u32 s3, s15, s18
	s_delay_alu instid0(SALU_CYCLE_1) | instskip(SKIP_1) | instid1(SALU_CYCLE_1)
	s_add_i32 s3, s3, s2
	s_mul_i32 s2, s15, s18
	s_lshl_b64 s[2:3], s[2:3], 2
	s_delay_alu instid0(SALU_CYCLE_1) | instskip(SKIP_4) | instid1(VALU_DEP_1)
	s_add_u32 s2, s16, s2
	s_addc_u32 s3, s17, s3
	s_load_b32 s3, s[2:3], 0x0
	s_waitcnt lgkmcnt(0)
	v_cmp_eq_f32_e64 s2, s3, 0
	s_and_b32 vcc_lo, exec_lo, s2
	s_cbranch_vccnz .LBB30_15
; %bb.1:
	s_load_b128 s[4:7], s[0:1], 0x0
	v_bfe_u32 v1, v0, 10, 10
	v_dual_mov_b32 v5, 0 :: v_dual_and_b32 v4, 0x3ff, v0
	s_delay_alu instid0(VALU_DEP_2) | instskip(NEXT) | instid1(VALU_DEP_2)
	v_lshlrev_b32_e32 v2, 5, v1
	v_lshlrev_b32_e32 v0, 2, v4
	s_delay_alu instid0(VALU_DEP_2) | instskip(SKIP_4) | instid1(VALU_DEP_1)
	v_add_lshl_u32 v3, v2, v4, 2
	ds_store_2addr_stride64_b32 v3, v5, v5 offset1:16
	s_waitcnt lgkmcnt(0)
	v_cmp_gt_i32_e32 vcc_lo, s7, v1
	v_cmp_gt_i32_e64 s2, s7, v4
	s_and_b32 s2, vcc_lo, s2
	s_delay_alu instid0(SALU_CYCLE_1)
	s_and_saveexec_b32 s7, s2
	s_cbranch_execz .LBB30_3
; %bb.2:
	v_mad_u64_u32 v[5:6], null, v1, s22, 0
	s_mul_i32 s2, s15, s25
	s_mul_hi_u32 s9, s15, s24
	s_mul_i32 s8, s15, s24
	s_add_i32 s9, s9, s2
	s_delay_alu instid0(SALU_CYCLE_1) | instskip(NEXT) | instid1(VALU_DEP_1)
	s_lshl_b64 s[8:9], s[8:9], 2
	v_mad_u64_u32 v[7:8], null, v1, s23, v[6:7]
	s_add_u32 s2, s20, s8
	s_addc_u32 s8, s21, s9
	s_delay_alu instid0(VALU_DEP_1) | instskip(NEXT) | instid1(VALU_DEP_1)
	v_mov_b32_e32 v6, v7
	v_lshlrev_b64 v[5:6], 2, v[5:6]
	s_delay_alu instid0(VALU_DEP_1) | instskip(NEXT) | instid1(VALU_DEP_1)
	v_add_co_u32 v5, s2, s2, v5
	v_add_co_ci_u32_e64 v6, s2, s8, v6, s2
	s_delay_alu instid0(VALU_DEP_2) | instskip(NEXT) | instid1(VALU_DEP_1)
	v_add_co_u32 v5, s2, v5, v0
	v_add_co_ci_u32_e64 v6, s2, 0, v6, s2
	global_load_b32 v5, v[5:6], off
	s_waitcnt vmcnt(0)
	ds_store_b32 v3, v5
.LBB30_3:
	s_or_b32 exec_lo, exec_lo, s7
	s_add_i32 s2, s6, -1
	s_delay_alu instid0(SALU_CYCLE_1) | instskip(NEXT) | instid1(SALU_CYCLE_1)
	s_ashr_i32 s7, s2, 31
	s_lshr_b32 s7, s7, 27
	s_delay_alu instid0(SALU_CYCLE_1) | instskip(NEXT) | instid1(SALU_CYCLE_1)
	s_add_i32 s2, s2, s7
	s_and_b32 s7, s2, 0xffffffe0
	s_ashr_i32 s2, s2, 5
	s_sub_i32 s6, s6, s7
	s_cmp_ge_i32 s14, s2
	s_cselect_b32 s2, s6, 32
	s_lshl_b32 s6, s14, 5
	v_cmp_gt_i32_e64 s2, s2, v4
	s_ashr_i32 s7, s6, 31
	s_delay_alu instid0(VALU_DEP_1) | instskip(NEXT) | instid1(SALU_CYCLE_1)
	s_and_b32 s2, vcc_lo, s2
	s_and_saveexec_b32 s8, s2
	s_cbranch_execz .LBB30_5
; %bb.4:
	v_mad_u64_u32 v[5:6], null, v1, s28, 0
	s_mul_i32 s9, s15, s31
	s_mul_hi_u32 s11, s15, s30
	s_mul_i32 s10, s15, s30
	s_add_i32 s11, s11, s9
	s_delay_alu instid0(SALU_CYCLE_1) | instskip(NEXT) | instid1(VALU_DEP_1)
	s_lshl_b64 s[10:11], s[10:11], 2
	v_mad_u64_u32 v[7:8], null, v1, s29, v[6:7]
	s_add_u32 s9, s26, s10
	s_addc_u32 s12, s27, s11
	s_lshl_b64 s[10:11], s[6:7], 2
	s_delay_alu instid0(SALU_CYCLE_1) | instskip(SKIP_1) | instid1(VALU_DEP_1)
	s_add_u32 s9, s9, s10
	s_addc_u32 s10, s12, s11
	v_mov_b32_e32 v6, v7
	s_delay_alu instid0(VALU_DEP_1) | instskip(NEXT) | instid1(VALU_DEP_1)
	v_lshlrev_b64 v[5:6], 2, v[5:6]
	v_add_co_u32 v5, vcc_lo, s9, v5
	s_delay_alu instid0(VALU_DEP_2) | instskip(NEXT) | instid1(VALU_DEP_2)
	v_add_co_ci_u32_e32 v6, vcc_lo, s10, v6, vcc_lo
	v_add_co_u32 v5, vcc_lo, v5, v0
	s_delay_alu instid0(VALU_DEP_2)
	v_add_co_ci_u32_e32 v6, vcc_lo, 0, v6, vcc_lo
	global_load_b32 v5, v[5:6], off
	v_add_nc_u32_e32 v6, 0x1000, v3
	s_waitcnt vmcnt(0)
	ds_store_b32 v6, v5
.LBB30_5:
	s_or_b32 exec_lo, exec_lo, s8
	v_cmp_eq_u32_e32 vcc_lo, v1, v4
	s_cmpk_eq_i32 s5, 0x84
	s_cselect_b32 s5, -1, 0
	s_delay_alu instid0(SALU_CYCLE_1) | instskip(NEXT) | instid1(SALU_CYCLE_1)
	s_and_b32 s8, vcc_lo, s5
	s_and_saveexec_b32 s5, s8
	s_cbranch_execz .LBB30_7
; %bb.6:
	v_mov_b32_e32 v5, 1.0
	ds_store_b32 v3, v5
.LBB30_7:
	s_or_b32 exec_lo, exec_lo, s5
	s_cmpk_lg_i32 s4, 0x79
	s_cbranch_scc0 .LBB30_9
; %bb.8:
	v_cmp_lt_u32_e32 vcc_lo, v4, v1
	s_and_b32 s4, vcc_lo, exec_lo
	s_cbranch_execz .LBB30_10
	s_branch .LBB30_11
.LBB30_9:
	s_mov_b32 s4, 0
.LBB30_10:
	v_cmp_gt_u32_e32 vcc_lo, v4, v1
	s_and_not1_b32 s4, s4, exec_lo
	s_and_b32 s5, vcc_lo, exec_lo
	s_delay_alu instid0(SALU_CYCLE_1)
	s_or_b32 s4, s4, s5
.LBB30_11:
	s_delay_alu instid0(SALU_CYCLE_1)
	s_and_saveexec_b32 s5, s4
	s_cbranch_execz .LBB30_13
; %bb.12:
	v_mov_b32_e32 v4, 0
	ds_store_b32 v3, v4
.LBB30_13:
	s_or_b32 exec_lo, exec_lo, s5
	s_waitcnt lgkmcnt(0)
	s_barrier
	buffer_gl0_inv
	s_and_saveexec_b32 s4, s2
	s_cbranch_execz .LBB30_15
; %bb.14:
	v_add_nc_u32_e32 v16, 0x1000, v0
	v_lshlrev_b32_e32 v17, 2, v2
	s_clause 0x1
	s_load_b128 s[8:11], s[0:1], 0x50
	s_load_b64 s[0:1], s[0:1], 0x60
	ds_load_2addr_b32 v[10:11], v16 offset1:32
	ds_load_b128 v[2:5], v17
	ds_load_2addr_b32 v[12:13], v16 offset0:64 offset1:96
	ds_load_b128 v[6:9], v17 offset:16
	ds_load_2addr_b32 v[14:15], v16 offset0:128 offset1:160
	v_add_nc_u32_e32 v19, 0x1c00, v0
	s_waitcnt lgkmcnt(0)
	v_fma_f32 v18, v10, v2, 0
	s_mul_i32 s1, s15, s1
	s_mul_hi_u32 s2, s15, s0
	s_mul_i32 s0, s15, s0
	s_add_i32 s1, s2, s1
	v_fmac_f32_e32 v18, v11, v3
	ds_load_2addr_b32 v[10:11], v16 offset0:192 offset1:224
	v_add_nc_u32_e32 v16, 0x1400, v0
	s_lshl_b64 s[0:1], s[0:1], 2
	v_fmac_f32_e32 v18, v12, v4
	s_add_u32 s2, s8, s0
	s_addc_u32 s4, s9, s1
	s_lshl_b64 s[0:1], s[6:7], 2
	s_delay_alu instid0(VALU_DEP_1)
	v_fmac_f32_e32 v18, v13, v5
	ds_load_2addr_b32 v[12:13], v16 offset1:32
	ds_load_b128 v[2:5], v17 offset:32
	s_add_u32 s0, s2, s0
	s_addc_u32 s1, s4, s1
	v_fmac_f32_e32 v18, v14, v6
	s_delay_alu instid0(VALU_DEP_1) | instskip(SKIP_3) | instid1(VALU_DEP_1)
	v_fmac_f32_e32 v18, v15, v7
	ds_load_2addr_b32 v[14:15], v16 offset0:64 offset1:96
	s_waitcnt lgkmcnt(3)
	v_fmac_f32_e32 v18, v10, v8
	v_fmac_f32_e32 v18, v11, v9
	ds_load_b128 v[6:9], v17 offset:48
	ds_load_2addr_b32 v[10:11], v16 offset0:128 offset1:160
	s_waitcnt lgkmcnt(3)
	v_fmac_f32_e32 v18, v12, v2
	s_delay_alu instid0(VALU_DEP_1) | instskip(SKIP_4) | instid1(VALU_DEP_1)
	v_fmac_f32_e32 v18, v13, v3
	ds_load_2addr_b32 v[12:13], v16 offset0:192 offset1:224
	v_add_nc_u32_e32 v16, 0x1800, v0
	s_waitcnt lgkmcnt(3)
	v_fmac_f32_e32 v18, v14, v4
	v_fmac_f32_e32 v18, v15, v5
	ds_load_2addr_b32 v[14:15], v16 offset1:32
	ds_load_b128 v[2:5], v17 offset:64
	s_waitcnt lgkmcnt(3)
	v_fmac_f32_e32 v18, v10, v6
	s_delay_alu instid0(VALU_DEP_1) | instskip(SKIP_3) | instid1(VALU_DEP_1)
	v_fmac_f32_e32 v18, v11, v7
	ds_load_2addr_b32 v[10:11], v16 offset0:64 offset1:96
	s_waitcnt lgkmcnt(3)
	v_fmac_f32_e32 v18, v12, v8
	v_fmac_f32_e32 v18, v13, v9
	ds_load_2addr_b32 v[12:13], v16 offset0:128 offset1:160
	ds_load_b128 v[6:9], v17 offset:80
	s_waitcnt lgkmcnt(3)
	v_fmac_f32_e32 v18, v14, v2
	s_delay_alu instid0(VALU_DEP_1) | instskip(SKIP_3) | instid1(VALU_DEP_1)
	v_fmac_f32_e32 v18, v15, v3
	ds_load_2addr_b32 v[14:15], v16 offset0:192 offset1:224
	s_waitcnt lgkmcnt(3)
	v_fmac_f32_e32 v18, v10, v4
	v_fmac_f32_e32 v18, v11, v5
	ds_load_2addr_b32 v[10:11], v19 offset1:32
	ds_load_b128 v[2:5], v17 offset:96
	s_waitcnt lgkmcnt(3)
	v_fmac_f32_e32 v18, v12, v6
	s_delay_alu instid0(VALU_DEP_1) | instskip(SKIP_3) | instid1(VALU_DEP_1)
	v_fmac_f32_e32 v18, v13, v7
	ds_load_2addr_b32 v[12:13], v19 offset0:64 offset1:96
	s_waitcnt lgkmcnt(3)
	v_fmac_f32_e32 v18, v14, v8
	v_fmac_f32_e32 v18, v15, v9
	ds_load_2addr_b32 v[14:15], v19 offset0:128 offset1:160
	ds_load_b128 v[6:9], v17 offset:112
	v_mad_u64_u32 v[16:17], null, v1, s10, 0
	s_waitcnt lgkmcnt(3)
	v_fmac_f32_e32 v18, v10, v2
	s_delay_alu instid0(VALU_DEP_1) | instskip(SKIP_4) | instid1(VALU_DEP_2)
	v_fmac_f32_e32 v18, v11, v3
	ds_load_2addr_b32 v[2:3], v19 offset0:192 offset1:224
	s_waitcnt lgkmcnt(3)
	v_fmac_f32_e32 v18, v12, v4
	v_mov_b32_e32 v4, v17
	v_fmac_f32_e32 v18, v13, v5
	s_delay_alu instid0(VALU_DEP_2) | instskip(SKIP_1) | instid1(VALU_DEP_2)
	v_mad_u64_u32 v[10:11], null, v1, s11, v[4:5]
	s_waitcnt lgkmcnt(1)
	v_fmac_f32_e32 v18, v14, v6
	s_delay_alu instid0(VALU_DEP_1) | instskip(SKIP_1) | instid1(VALU_DEP_1)
	v_dual_mov_b32 v17, v10 :: v_dual_fmac_f32 v18, v15, v7
	s_waitcnt lgkmcnt(0)
	v_fmac_f32_e32 v18, v2, v8
	s_delay_alu instid0(VALU_DEP_2) | instskip(NEXT) | instid1(VALU_DEP_2)
	v_lshlrev_b64 v[1:2], 2, v[16:17]
	v_fmac_f32_e32 v18, v3, v9
	s_delay_alu instid0(VALU_DEP_2) | instskip(NEXT) | instid1(VALU_DEP_3)
	v_add_co_u32 v1, vcc_lo, s0, v1
	v_add_co_ci_u32_e32 v2, vcc_lo, s1, v2, vcc_lo
	s_delay_alu instid0(VALU_DEP_3) | instskip(NEXT) | instid1(VALU_DEP_3)
	v_mul_f32_e32 v3, s3, v18
	v_add_co_u32 v0, vcc_lo, v1, v0
	s_delay_alu instid0(VALU_DEP_3)
	v_add_co_ci_u32_e32 v1, vcc_lo, 0, v2, vcc_lo
	global_store_b32 v[0:1], v3, off
.LBB30_15:
	s_nop 0
	s_sendmsg sendmsg(MSG_DEALLOC_VGPRS)
	s_endpgm
	.section	.rodata,"a",@progbits
	.p2align	6, 0x0
	.amdhsa_kernel _ZL23rocblas_trmm_rNx_kernelILi32EfPKfS0_fEv13rocblas_fill_17rocblas_diagonal_iiT1_lPT2_llS6_llPT3_lli
		.amdhsa_group_segment_fixed_size 8192
		.amdhsa_private_segment_fixed_size 0
		.amdhsa_kernarg_size 108
		.amdhsa_user_sgpr_count 14
		.amdhsa_user_sgpr_dispatch_ptr 0
		.amdhsa_user_sgpr_queue_ptr 0
		.amdhsa_user_sgpr_kernarg_segment_ptr 1
		.amdhsa_user_sgpr_dispatch_id 0
		.amdhsa_user_sgpr_private_segment_size 0
		.amdhsa_wavefront_size32 1
		.amdhsa_uses_dynamic_stack 0
		.amdhsa_enable_private_segment 0
		.amdhsa_system_sgpr_workgroup_id_x 1
		.amdhsa_system_sgpr_workgroup_id_y 0
		.amdhsa_system_sgpr_workgroup_id_z 1
		.amdhsa_system_sgpr_workgroup_info 0
		.amdhsa_system_vgpr_workitem_id 1
		.amdhsa_next_free_vgpr 20
		.amdhsa_next_free_sgpr 32
		.amdhsa_reserve_vcc 1
		.amdhsa_float_round_mode_32 0
		.amdhsa_float_round_mode_16_64 0
		.amdhsa_float_denorm_mode_32 3
		.amdhsa_float_denorm_mode_16_64 3
		.amdhsa_dx10_clamp 1
		.amdhsa_ieee_mode 1
		.amdhsa_fp16_overflow 0
		.amdhsa_workgroup_processor_mode 1
		.amdhsa_memory_ordered 1
		.amdhsa_forward_progress 0
		.amdhsa_shared_vgpr_count 0
		.amdhsa_exception_fp_ieee_invalid_op 0
		.amdhsa_exception_fp_denorm_src 0
		.amdhsa_exception_fp_ieee_div_zero 0
		.amdhsa_exception_fp_ieee_overflow 0
		.amdhsa_exception_fp_ieee_underflow 0
		.amdhsa_exception_fp_ieee_inexact 0
		.amdhsa_exception_int_div_zero 0
	.end_amdhsa_kernel
	.section	.text._ZL23rocblas_trmm_rNx_kernelILi32EfPKfS0_fEv13rocblas_fill_17rocblas_diagonal_iiT1_lPT2_llS6_llPT3_lli,"axG",@progbits,_ZL23rocblas_trmm_rNx_kernelILi32EfPKfS0_fEv13rocblas_fill_17rocblas_diagonal_iiT1_lPT2_llS6_llPT3_lli,comdat
.Lfunc_end30:
	.size	_ZL23rocblas_trmm_rNx_kernelILi32EfPKfS0_fEv13rocblas_fill_17rocblas_diagonal_iiT1_lPT2_llS6_llPT3_lli, .Lfunc_end30-_ZL23rocblas_trmm_rNx_kernelILi32EfPKfS0_fEv13rocblas_fill_17rocblas_diagonal_iiT1_lPT2_llS6_llPT3_lli
                                        ; -- End function
	.section	.AMDGPU.csdata,"",@progbits
; Kernel info:
; codeLenInByte = 1272
; NumSgprs: 34
; NumVgprs: 20
; ScratchSize: 0
; MemoryBound: 0
; FloatMode: 240
; IeeeMode: 1
; LDSByteSize: 8192 bytes/workgroup (compile time only)
; SGPRBlocks: 4
; VGPRBlocks: 2
; NumSGPRsForWavesPerEU: 34
; NumVGPRsForWavesPerEU: 20
; Occupancy: 16
; WaveLimiterHint : 0
; COMPUTE_PGM_RSRC2:SCRATCH_EN: 0
; COMPUTE_PGM_RSRC2:USER_SGPR: 14
; COMPUTE_PGM_RSRC2:TRAP_HANDLER: 0
; COMPUTE_PGM_RSRC2:TGID_X_EN: 1
; COMPUTE_PGM_RSRC2:TGID_Y_EN: 0
; COMPUTE_PGM_RSRC2:TGID_Z_EN: 1
; COMPUTE_PGM_RSRC2:TIDIG_COMP_CNT: 1
	.section	.text._ZL23rocblas_trmm_rNx_kernelILi32EffKffEv13rocblas_fill_17rocblas_diagonal_iiT1_lPT2_llS5_llPT3_lli,"axG",@progbits,_ZL23rocblas_trmm_rNx_kernelILi32EffKffEv13rocblas_fill_17rocblas_diagonal_iiT1_lPT2_llS5_llPT3_lli,comdat
	.globl	_ZL23rocblas_trmm_rNx_kernelILi32EffKffEv13rocblas_fill_17rocblas_diagonal_iiT1_lPT2_llS5_llPT3_lli ; -- Begin function _ZL23rocblas_trmm_rNx_kernelILi32EffKffEv13rocblas_fill_17rocblas_diagonal_iiT1_lPT2_llS5_llPT3_lli
	.p2align	8
	.type	_ZL23rocblas_trmm_rNx_kernelILi32EffKffEv13rocblas_fill_17rocblas_diagonal_iiT1_lPT2_llS5_llPT3_lli,@function
_ZL23rocblas_trmm_rNx_kernelILi32EffKffEv13rocblas_fill_17rocblas_diagonal_iiT1_lPT2_llS5_llPT3_lli: ; @_ZL23rocblas_trmm_rNx_kernelILi32EffKffEv13rocblas_fill_17rocblas_diagonal_iiT1_lPT2_llS5_llPT3_lli
; %bb.0:
	s_load_b32 s3, s[0:1], 0x10
	s_waitcnt lgkmcnt(0)
	v_cmp_eq_f32_e64 s2, s3, 0
	s_delay_alu instid0(VALU_DEP_1)
	s_and_b32 vcc_lo, exec_lo, s2
	s_cbranch_vccnz .LBB31_15
; %bb.1:
	s_clause 0x1
	s_load_b128 s[4:7], s[0:1], 0x0
	s_load_b512 s[16:31], s[0:1], 0x20
	v_bfe_u32 v1, v0, 10, 10
	v_dual_mov_b32 v5, 0 :: v_dual_and_b32 v4, 0x3ff, v0
	s_delay_alu instid0(VALU_DEP_2) | instskip(NEXT) | instid1(VALU_DEP_2)
	v_lshlrev_b32_e32 v2, 5, v1
	v_lshlrev_b32_e32 v0, 2, v4
	s_delay_alu instid0(VALU_DEP_2) | instskip(SKIP_4) | instid1(VALU_DEP_1)
	v_add_lshl_u32 v3, v2, v4, 2
	ds_store_2addr_stride64_b32 v3, v5, v5 offset1:16
	s_waitcnt lgkmcnt(0)
	v_cmp_gt_i32_e32 vcc_lo, s7, v1
	v_cmp_gt_i32_e64 s2, s7, v4
	s_and_b32 s2, vcc_lo, s2
	s_delay_alu instid0(SALU_CYCLE_1)
	s_and_saveexec_b32 s7, s2
	s_cbranch_execz .LBB31_3
; %bb.2:
	v_mad_u64_u32 v[5:6], null, v1, s18, 0
	s_mul_i32 s2, s15, s21
	s_mul_hi_u32 s9, s15, s20
	s_mul_i32 s8, s15, s20
	s_add_i32 s9, s9, s2
	s_delay_alu instid0(SALU_CYCLE_1) | instskip(NEXT) | instid1(VALU_DEP_1)
	s_lshl_b64 s[8:9], s[8:9], 2
	v_mad_u64_u32 v[7:8], null, v1, s19, v[6:7]
	s_add_u32 s2, s16, s8
	s_addc_u32 s8, s17, s9
	s_delay_alu instid0(VALU_DEP_1) | instskip(NEXT) | instid1(VALU_DEP_1)
	v_mov_b32_e32 v6, v7
	v_lshlrev_b64 v[5:6], 2, v[5:6]
	s_delay_alu instid0(VALU_DEP_1) | instskip(NEXT) | instid1(VALU_DEP_1)
	v_add_co_u32 v5, s2, s2, v5
	v_add_co_ci_u32_e64 v6, s2, s8, v6, s2
	s_delay_alu instid0(VALU_DEP_2) | instskip(NEXT) | instid1(VALU_DEP_1)
	v_add_co_u32 v5, s2, v5, v0
	v_add_co_ci_u32_e64 v6, s2, 0, v6, s2
	global_load_b32 v5, v[5:6], off
	s_waitcnt vmcnt(0)
	ds_store_b32 v3, v5
.LBB31_3:
	s_or_b32 exec_lo, exec_lo, s7
	s_add_i32 s2, s6, -1
	s_delay_alu instid0(SALU_CYCLE_1) | instskip(NEXT) | instid1(SALU_CYCLE_1)
	s_ashr_i32 s7, s2, 31
	s_lshr_b32 s7, s7, 27
	s_delay_alu instid0(SALU_CYCLE_1) | instskip(NEXT) | instid1(SALU_CYCLE_1)
	s_add_i32 s2, s2, s7
	s_and_b32 s7, s2, 0xffffffe0
	s_ashr_i32 s2, s2, 5
	s_sub_i32 s6, s6, s7
	s_cmp_ge_i32 s14, s2
	s_cselect_b32 s2, s6, 32
	s_lshl_b32 s6, s14, 5
	v_cmp_gt_i32_e64 s2, s2, v4
	s_ashr_i32 s7, s6, 31
	s_delay_alu instid0(VALU_DEP_1) | instskip(NEXT) | instid1(SALU_CYCLE_1)
	s_and_b32 s2, vcc_lo, s2
	s_and_saveexec_b32 s8, s2
	s_cbranch_execz .LBB31_5
; %bb.4:
	v_mad_u64_u32 v[5:6], null, v1, s24, 0
	s_mul_i32 s9, s15, s27
	s_mul_hi_u32 s11, s15, s26
	s_mul_i32 s10, s15, s26
	s_add_i32 s11, s11, s9
	s_delay_alu instid0(SALU_CYCLE_1) | instskip(NEXT) | instid1(VALU_DEP_1)
	s_lshl_b64 s[10:11], s[10:11], 2
	v_mad_u64_u32 v[7:8], null, v1, s25, v[6:7]
	s_add_u32 s9, s22, s10
	s_addc_u32 s12, s23, s11
	s_lshl_b64 s[10:11], s[6:7], 2
	s_delay_alu instid0(SALU_CYCLE_1) | instskip(SKIP_1) | instid1(VALU_DEP_1)
	s_add_u32 s9, s9, s10
	s_addc_u32 s10, s12, s11
	v_mov_b32_e32 v6, v7
	s_delay_alu instid0(VALU_DEP_1) | instskip(NEXT) | instid1(VALU_DEP_1)
	v_lshlrev_b64 v[5:6], 2, v[5:6]
	v_add_co_u32 v5, vcc_lo, s9, v5
	s_delay_alu instid0(VALU_DEP_2) | instskip(NEXT) | instid1(VALU_DEP_2)
	v_add_co_ci_u32_e32 v6, vcc_lo, s10, v6, vcc_lo
	v_add_co_u32 v5, vcc_lo, v5, v0
	s_delay_alu instid0(VALU_DEP_2)
	v_add_co_ci_u32_e32 v6, vcc_lo, 0, v6, vcc_lo
	global_load_b32 v5, v[5:6], off
	v_add_nc_u32_e32 v6, 0x1000, v3
	s_waitcnt vmcnt(0)
	ds_store_b32 v6, v5
.LBB31_5:
	s_or_b32 exec_lo, exec_lo, s8
	v_cmp_eq_u32_e32 vcc_lo, v1, v4
	s_cmpk_eq_i32 s5, 0x84
	s_cselect_b32 s5, -1, 0
	s_delay_alu instid0(SALU_CYCLE_1) | instskip(NEXT) | instid1(SALU_CYCLE_1)
	s_and_b32 s8, vcc_lo, s5
	s_and_saveexec_b32 s5, s8
	s_cbranch_execz .LBB31_7
; %bb.6:
	v_mov_b32_e32 v5, 1.0
	ds_store_b32 v3, v5
.LBB31_7:
	s_or_b32 exec_lo, exec_lo, s5
	s_cmpk_lg_i32 s4, 0x79
	s_cbranch_scc0 .LBB31_9
; %bb.8:
	v_cmp_lt_u32_e32 vcc_lo, v4, v1
	s_and_b32 s4, vcc_lo, exec_lo
	s_cbranch_execz .LBB31_10
	s_branch .LBB31_11
.LBB31_9:
	s_mov_b32 s4, 0
.LBB31_10:
	v_cmp_gt_u32_e32 vcc_lo, v4, v1
	s_and_not1_b32 s4, s4, exec_lo
	s_and_b32 s5, vcc_lo, exec_lo
	s_delay_alu instid0(SALU_CYCLE_1)
	s_or_b32 s4, s4, s5
.LBB31_11:
	s_delay_alu instid0(SALU_CYCLE_1)
	s_and_saveexec_b32 s5, s4
	s_cbranch_execz .LBB31_13
; %bb.12:
	v_mov_b32_e32 v4, 0
	ds_store_b32 v3, v4
.LBB31_13:
	s_or_b32 exec_lo, exec_lo, s5
	s_waitcnt lgkmcnt(0)
	s_barrier
	buffer_gl0_inv
	s_and_saveexec_b32 s4, s2
	s_cbranch_execz .LBB31_15
; %bb.14:
	v_add_nc_u32_e32 v16, 0x1000, v0
	v_lshlrev_b32_e32 v17, 2, v2
	s_load_b64 s[0:1], s[0:1], 0x60
	ds_load_2addr_b32 v[10:11], v16 offset1:32
	ds_load_b128 v[2:5], v17
	ds_load_2addr_b32 v[12:13], v16 offset0:64 offset1:96
	ds_load_b128 v[6:9], v17 offset:16
	ds_load_2addr_b32 v[14:15], v16 offset0:128 offset1:160
	v_add_nc_u32_e32 v19, 0x1c00, v0
	s_waitcnt lgkmcnt(0)
	v_fma_f32 v18, v10, v2, 0
	s_mul_i32 s1, s15, s1
	s_mul_hi_u32 s2, s15, s0
	s_mul_i32 s0, s15, s0
	s_add_i32 s1, s2, s1
	v_fmac_f32_e32 v18, v11, v3
	ds_load_2addr_b32 v[10:11], v16 offset0:192 offset1:224
	v_add_nc_u32_e32 v16, 0x1400, v0
	s_lshl_b64 s[0:1], s[0:1], 2
	v_fmac_f32_e32 v18, v12, v4
	s_add_u32 s2, s28, s0
	s_addc_u32 s4, s29, s1
	s_lshl_b64 s[0:1], s[6:7], 2
	s_delay_alu instid0(VALU_DEP_1)
	v_fmac_f32_e32 v18, v13, v5
	ds_load_2addr_b32 v[12:13], v16 offset1:32
	ds_load_b128 v[2:5], v17 offset:32
	s_add_u32 s0, s2, s0
	s_addc_u32 s1, s4, s1
	v_fmac_f32_e32 v18, v14, v6
	s_delay_alu instid0(VALU_DEP_1) | instskip(SKIP_3) | instid1(VALU_DEP_1)
	v_fmac_f32_e32 v18, v15, v7
	ds_load_2addr_b32 v[14:15], v16 offset0:64 offset1:96
	s_waitcnt lgkmcnt(3)
	v_fmac_f32_e32 v18, v10, v8
	v_fmac_f32_e32 v18, v11, v9
	ds_load_b128 v[6:9], v17 offset:48
	ds_load_2addr_b32 v[10:11], v16 offset0:128 offset1:160
	s_waitcnt lgkmcnt(3)
	v_fmac_f32_e32 v18, v12, v2
	s_delay_alu instid0(VALU_DEP_1) | instskip(SKIP_4) | instid1(VALU_DEP_1)
	v_fmac_f32_e32 v18, v13, v3
	ds_load_2addr_b32 v[12:13], v16 offset0:192 offset1:224
	v_add_nc_u32_e32 v16, 0x1800, v0
	s_waitcnt lgkmcnt(3)
	v_fmac_f32_e32 v18, v14, v4
	v_fmac_f32_e32 v18, v15, v5
	ds_load_2addr_b32 v[14:15], v16 offset1:32
	ds_load_b128 v[2:5], v17 offset:64
	s_waitcnt lgkmcnt(3)
	v_fmac_f32_e32 v18, v10, v6
	s_delay_alu instid0(VALU_DEP_1) | instskip(SKIP_3) | instid1(VALU_DEP_1)
	v_fmac_f32_e32 v18, v11, v7
	ds_load_2addr_b32 v[10:11], v16 offset0:64 offset1:96
	s_waitcnt lgkmcnt(3)
	v_fmac_f32_e32 v18, v12, v8
	v_fmac_f32_e32 v18, v13, v9
	ds_load_2addr_b32 v[12:13], v16 offset0:128 offset1:160
	ds_load_b128 v[6:9], v17 offset:80
	s_waitcnt lgkmcnt(3)
	v_fmac_f32_e32 v18, v14, v2
	s_delay_alu instid0(VALU_DEP_1) | instskip(SKIP_3) | instid1(VALU_DEP_1)
	v_fmac_f32_e32 v18, v15, v3
	ds_load_2addr_b32 v[14:15], v16 offset0:192 offset1:224
	s_waitcnt lgkmcnt(3)
	v_fmac_f32_e32 v18, v10, v4
	v_fmac_f32_e32 v18, v11, v5
	ds_load_2addr_b32 v[10:11], v19 offset1:32
	ds_load_b128 v[2:5], v17 offset:96
	s_waitcnt lgkmcnt(3)
	v_fmac_f32_e32 v18, v12, v6
	s_delay_alu instid0(VALU_DEP_1) | instskip(SKIP_3) | instid1(VALU_DEP_1)
	v_fmac_f32_e32 v18, v13, v7
	ds_load_2addr_b32 v[12:13], v19 offset0:64 offset1:96
	s_waitcnt lgkmcnt(3)
	v_fmac_f32_e32 v18, v14, v8
	v_fmac_f32_e32 v18, v15, v9
	ds_load_2addr_b32 v[14:15], v19 offset0:128 offset1:160
	ds_load_b128 v[6:9], v17 offset:112
	v_mad_u64_u32 v[16:17], null, v1, s30, 0
	s_waitcnt lgkmcnt(3)
	v_fmac_f32_e32 v18, v10, v2
	s_delay_alu instid0(VALU_DEP_2) | instskip(NEXT) | instid1(VALU_DEP_2)
	v_mov_b32_e32 v10, v17
	v_fmac_f32_e32 v18, v11, v3
	ds_load_2addr_b32 v[2:3], v19 offset0:192 offset1:224
	s_waitcnt lgkmcnt(3)
	v_fmac_f32_e32 v18, v12, v4
	v_mad_u64_u32 v[11:12], null, v1, s31, v[10:11]
	s_delay_alu instid0(VALU_DEP_1) | instskip(SKIP_1) | instid1(VALU_DEP_1)
	v_dual_fmac_f32 v18, v13, v5 :: v_dual_mov_b32 v17, v11
	s_waitcnt lgkmcnt(1)
	v_fmac_f32_e32 v18, v14, v6
	s_delay_alu instid0(VALU_DEP_2) | instskip(NEXT) | instid1(VALU_DEP_2)
	v_lshlrev_b64 v[4:5], 2, v[16:17]
	v_fmac_f32_e32 v18, v15, v7
	s_delay_alu instid0(VALU_DEP_2) | instskip(SKIP_1) | instid1(VALU_DEP_2)
	v_add_co_u32 v1, vcc_lo, s0, v4
	s_waitcnt lgkmcnt(0)
	v_fmac_f32_e32 v18, v2, v8
	s_delay_alu instid0(VALU_DEP_4) | instskip(NEXT) | instid1(VALU_DEP_3)
	v_add_co_ci_u32_e32 v2, vcc_lo, s1, v5, vcc_lo
	v_add_co_u32 v0, vcc_lo, v1, v0
	s_delay_alu instid0(VALU_DEP_3) | instskip(NEXT) | instid1(VALU_DEP_3)
	v_fmac_f32_e32 v18, v3, v9
	v_add_co_ci_u32_e32 v1, vcc_lo, 0, v2, vcc_lo
	s_delay_alu instid0(VALU_DEP_2)
	v_mul_f32_e32 v3, s3, v18
	global_store_b32 v[0:1], v3, off
.LBB31_15:
	s_nop 0
	s_sendmsg sendmsg(MSG_DEALLOC_VGPRS)
	s_endpgm
	.section	.rodata,"a",@progbits
	.p2align	6, 0x0
	.amdhsa_kernel _ZL23rocblas_trmm_rNx_kernelILi32EffKffEv13rocblas_fill_17rocblas_diagonal_iiT1_lPT2_llS5_llPT3_lli
		.amdhsa_group_segment_fixed_size 8192
		.amdhsa_private_segment_fixed_size 0
		.amdhsa_kernarg_size 108
		.amdhsa_user_sgpr_count 14
		.amdhsa_user_sgpr_dispatch_ptr 0
		.amdhsa_user_sgpr_queue_ptr 0
		.amdhsa_user_sgpr_kernarg_segment_ptr 1
		.amdhsa_user_sgpr_dispatch_id 0
		.amdhsa_user_sgpr_private_segment_size 0
		.amdhsa_wavefront_size32 1
		.amdhsa_uses_dynamic_stack 0
		.amdhsa_enable_private_segment 0
		.amdhsa_system_sgpr_workgroup_id_x 1
		.amdhsa_system_sgpr_workgroup_id_y 0
		.amdhsa_system_sgpr_workgroup_id_z 1
		.amdhsa_system_sgpr_workgroup_info 0
		.amdhsa_system_vgpr_workitem_id 1
		.amdhsa_next_free_vgpr 20
		.amdhsa_next_free_sgpr 32
		.amdhsa_reserve_vcc 1
		.amdhsa_float_round_mode_32 0
		.amdhsa_float_round_mode_16_64 0
		.amdhsa_float_denorm_mode_32 3
		.amdhsa_float_denorm_mode_16_64 3
		.amdhsa_dx10_clamp 1
		.amdhsa_ieee_mode 1
		.amdhsa_fp16_overflow 0
		.amdhsa_workgroup_processor_mode 1
		.amdhsa_memory_ordered 1
		.amdhsa_forward_progress 0
		.amdhsa_shared_vgpr_count 0
		.amdhsa_exception_fp_ieee_invalid_op 0
		.amdhsa_exception_fp_denorm_src 0
		.amdhsa_exception_fp_ieee_div_zero 0
		.amdhsa_exception_fp_ieee_overflow 0
		.amdhsa_exception_fp_ieee_underflow 0
		.amdhsa_exception_fp_ieee_inexact 0
		.amdhsa_exception_int_div_zero 0
	.end_amdhsa_kernel
	.section	.text._ZL23rocblas_trmm_rNx_kernelILi32EffKffEv13rocblas_fill_17rocblas_diagonal_iiT1_lPT2_llS5_llPT3_lli,"axG",@progbits,_ZL23rocblas_trmm_rNx_kernelILi32EffKffEv13rocblas_fill_17rocblas_diagonal_iiT1_lPT2_llS5_llPT3_lli,comdat
.Lfunc_end31:
	.size	_ZL23rocblas_trmm_rNx_kernelILi32EffKffEv13rocblas_fill_17rocblas_diagonal_iiT1_lPT2_llS5_llPT3_lli, .Lfunc_end31-_ZL23rocblas_trmm_rNx_kernelILi32EffKffEv13rocblas_fill_17rocblas_diagonal_iiT1_lPT2_llS5_llPT3_lli
                                        ; -- End function
	.section	.AMDGPU.csdata,"",@progbits
; Kernel info:
; codeLenInByte = 1228
; NumSgprs: 34
; NumVgprs: 20
; ScratchSize: 0
; MemoryBound: 0
; FloatMode: 240
; IeeeMode: 1
; LDSByteSize: 8192 bytes/workgroup (compile time only)
; SGPRBlocks: 4
; VGPRBlocks: 2
; NumSGPRsForWavesPerEU: 34
; NumVGPRsForWavesPerEU: 20
; Occupancy: 16
; WaveLimiterHint : 0
; COMPUTE_PGM_RSRC2:SCRATCH_EN: 0
; COMPUTE_PGM_RSRC2:USER_SGPR: 14
; COMPUTE_PGM_RSRC2:TRAP_HANDLER: 0
; COMPUTE_PGM_RSRC2:TGID_X_EN: 1
; COMPUTE_PGM_RSRC2:TGID_Y_EN: 0
; COMPUTE_PGM_RSRC2:TGID_Z_EN: 1
; COMPUTE_PGM_RSRC2:TIDIG_COMP_CNT: 1
	.section	.text._ZL23rocblas_trmm_rTx_kernelILi32ELb0EfPKfS0_fEv13rocblas_fill_17rocblas_diagonal_iiT2_lPT3_llS6_llPT4_lli,"axG",@progbits,_ZL23rocblas_trmm_rTx_kernelILi32ELb0EfPKfS0_fEv13rocblas_fill_17rocblas_diagonal_iiT2_lPT3_llS6_llPT4_lli,comdat
	.globl	_ZL23rocblas_trmm_rTx_kernelILi32ELb0EfPKfS0_fEv13rocblas_fill_17rocblas_diagonal_iiT2_lPT3_llS6_llPT4_lli ; -- Begin function _ZL23rocblas_trmm_rTx_kernelILi32ELb0EfPKfS0_fEv13rocblas_fill_17rocblas_diagonal_iiT2_lPT3_llS6_llPT4_lli
	.p2align	8
	.type	_ZL23rocblas_trmm_rTx_kernelILi32ELb0EfPKfS0_fEv13rocblas_fill_17rocblas_diagonal_iiT2_lPT3_llS6_llPT4_lli,@function
_ZL23rocblas_trmm_rTx_kernelILi32ELb0EfPKfS0_fEv13rocblas_fill_17rocblas_diagonal_iiT2_lPT3_llS6_llPT4_lli: ; @_ZL23rocblas_trmm_rTx_kernelILi32ELb0EfPKfS0_fEv13rocblas_fill_17rocblas_diagonal_iiT2_lPT3_llS6_llPT4_lli
; %bb.0:
	s_load_b512 s[16:31], s[0:1], 0x10
	s_waitcnt lgkmcnt(0)
	s_mul_i32 s2, s15, s19
	s_mul_hi_u32 s3, s15, s18
	s_delay_alu instid0(SALU_CYCLE_1) | instskip(SKIP_1) | instid1(SALU_CYCLE_1)
	s_add_i32 s3, s3, s2
	s_mul_i32 s2, s15, s18
	s_lshl_b64 s[2:3], s[2:3], 2
	s_delay_alu instid0(SALU_CYCLE_1) | instskip(SKIP_4) | instid1(VALU_DEP_1)
	s_add_u32 s2, s16, s2
	s_addc_u32 s3, s17, s3
	s_load_b32 s3, s[2:3], 0x0
	s_waitcnt lgkmcnt(0)
	v_cmp_eq_f32_e64 s2, s3, 0
	s_and_b32 vcc_lo, exec_lo, s2
	s_cbranch_vccnz .LBB32_15
; %bb.1:
	s_load_b128 s[4:7], s[0:1], 0x0
	v_bfe_u32 v1, v0, 10, 10
	v_dual_mov_b32 v4, 0 :: v_dual_and_b32 v3, 0x3ff, v0
	s_delay_alu instid0(VALU_DEP_2) | instskip(NEXT) | instid1(VALU_DEP_1)
	v_lshlrev_b32_e32 v0, 5, v1
	v_add_lshl_u32 v2, v0, v3, 2
	v_lshlrev_b32_e32 v0, 2, v3
	ds_store_2addr_stride64_b32 v2, v4, v4 offset1:16
	s_waitcnt lgkmcnt(0)
	v_cmp_gt_i32_e32 vcc_lo, s7, v1
	v_cmp_gt_i32_e64 s2, s7, v3
	s_delay_alu instid0(VALU_DEP_1) | instskip(NEXT) | instid1(SALU_CYCLE_1)
	s_and_b32 s2, vcc_lo, s2
	s_and_saveexec_b32 s7, s2
	s_cbranch_execz .LBB32_3
; %bb.2:
	v_mad_u64_u32 v[4:5], null, v1, s22, 0
	s_mul_i32 s2, s15, s25
	s_mul_hi_u32 s9, s15, s24
	s_mul_i32 s8, s15, s24
	s_add_i32 s9, s9, s2
	s_delay_alu instid0(SALU_CYCLE_1) | instskip(NEXT) | instid1(VALU_DEP_1)
	s_lshl_b64 s[8:9], s[8:9], 2
	v_mad_u64_u32 v[6:7], null, v1, s23, v[5:6]
	s_add_u32 s2, s20, s8
	s_addc_u32 s8, s21, s9
	s_delay_alu instid0(VALU_DEP_1) | instskip(NEXT) | instid1(VALU_DEP_1)
	v_mov_b32_e32 v5, v6
	v_lshlrev_b64 v[4:5], 2, v[4:5]
	s_delay_alu instid0(VALU_DEP_1) | instskip(NEXT) | instid1(VALU_DEP_1)
	v_add_co_u32 v4, s2, s2, v4
	v_add_co_ci_u32_e64 v5, s2, s8, v5, s2
	s_delay_alu instid0(VALU_DEP_2) | instskip(NEXT) | instid1(VALU_DEP_1)
	v_add_co_u32 v4, s2, v4, v0
	v_add_co_ci_u32_e64 v5, s2, 0, v5, s2
	global_load_b32 v4, v[4:5], off
	s_waitcnt vmcnt(0)
	ds_store_b32 v2, v4
.LBB32_3:
	s_or_b32 exec_lo, exec_lo, s7
	s_add_i32 s2, s6, -1
	s_delay_alu instid0(SALU_CYCLE_1) | instskip(NEXT) | instid1(SALU_CYCLE_1)
	s_ashr_i32 s7, s2, 31
	s_lshr_b32 s7, s7, 27
	s_delay_alu instid0(SALU_CYCLE_1) | instskip(NEXT) | instid1(SALU_CYCLE_1)
	s_add_i32 s2, s2, s7
	s_and_b32 s7, s2, 0xffffffe0
	s_ashr_i32 s2, s2, 5
	s_sub_i32 s6, s6, s7
	s_cmp_ge_i32 s14, s2
	s_cselect_b32 s2, s6, 32
	s_lshl_b32 s6, s14, 5
	v_cmp_gt_i32_e64 s2, s2, v3
	s_ashr_i32 s7, s6, 31
	s_delay_alu instid0(VALU_DEP_1) | instskip(NEXT) | instid1(SALU_CYCLE_1)
	s_and_b32 s2, vcc_lo, s2
	s_and_saveexec_b32 s8, s2
	s_cbranch_execz .LBB32_5
; %bb.4:
	v_mad_u64_u32 v[4:5], null, v1, s28, 0
	s_mul_i32 s9, s15, s31
	s_mul_hi_u32 s11, s15, s30
	s_mul_i32 s10, s15, s30
	s_add_i32 s11, s11, s9
	s_delay_alu instid0(SALU_CYCLE_1) | instskip(NEXT) | instid1(VALU_DEP_1)
	s_lshl_b64 s[10:11], s[10:11], 2
	v_mad_u64_u32 v[6:7], null, v1, s29, v[5:6]
	s_add_u32 s9, s26, s10
	s_addc_u32 s12, s27, s11
	s_lshl_b64 s[10:11], s[6:7], 2
	s_delay_alu instid0(SALU_CYCLE_1) | instskip(SKIP_1) | instid1(VALU_DEP_1)
	s_add_u32 s9, s9, s10
	s_addc_u32 s10, s12, s11
	v_mov_b32_e32 v5, v6
	s_delay_alu instid0(VALU_DEP_1) | instskip(NEXT) | instid1(VALU_DEP_1)
	v_lshlrev_b64 v[4:5], 2, v[4:5]
	v_add_co_u32 v4, vcc_lo, s9, v4
	s_delay_alu instid0(VALU_DEP_2) | instskip(NEXT) | instid1(VALU_DEP_2)
	v_add_co_ci_u32_e32 v5, vcc_lo, s10, v5, vcc_lo
	v_add_co_u32 v4, vcc_lo, v4, v0
	s_delay_alu instid0(VALU_DEP_2)
	v_add_co_ci_u32_e32 v5, vcc_lo, 0, v5, vcc_lo
	global_load_b32 v4, v[4:5], off
	v_add_nc_u32_e32 v5, 0x1000, v2
	s_waitcnt vmcnt(0)
	ds_store_b32 v5, v4
.LBB32_5:
	s_or_b32 exec_lo, exec_lo, s8
	v_cmp_eq_u32_e32 vcc_lo, v1, v3
	s_cmpk_eq_i32 s5, 0x84
	s_cselect_b32 s5, -1, 0
	s_delay_alu instid0(SALU_CYCLE_1) | instskip(NEXT) | instid1(SALU_CYCLE_1)
	s_and_b32 s8, vcc_lo, s5
	s_and_saveexec_b32 s5, s8
	s_cbranch_execz .LBB32_7
; %bb.6:
	v_mov_b32_e32 v4, 1.0
	ds_store_b32 v2, v4
.LBB32_7:
	s_or_b32 exec_lo, exec_lo, s5
	s_cmpk_lg_i32 s4, 0x79
	s_cbranch_scc0 .LBB32_9
; %bb.8:
	v_cmp_lt_u32_e32 vcc_lo, v3, v1
	s_and_b32 s4, vcc_lo, exec_lo
	s_cbranch_execz .LBB32_10
	s_branch .LBB32_11
.LBB32_9:
	s_mov_b32 s4, 0
.LBB32_10:
	v_cmp_gt_u32_e32 vcc_lo, v3, v1
	s_and_not1_b32 s4, s4, exec_lo
	s_and_b32 s5, vcc_lo, exec_lo
	s_delay_alu instid0(SALU_CYCLE_1)
	s_or_b32 s4, s4, s5
.LBB32_11:
	s_delay_alu instid0(SALU_CYCLE_1)
	s_and_saveexec_b32 s5, s4
	s_cbranch_execz .LBB32_13
; %bb.12:
	v_mov_b32_e32 v3, 0
	ds_store_b32 v2, v3
.LBB32_13:
	s_or_b32 exec_lo, exec_lo, s5
	s_waitcnt lgkmcnt(0)
	s_barrier
	buffer_gl0_inv
	s_and_saveexec_b32 s4, s2
	s_cbranch_execz .LBB32_15
; %bb.14:
	v_add_nc_u32_e32 v14, 0x1000, v0
	v_lshlrev_b32_e32 v15, 2, v1
	s_clause 0x1
	s_load_b128 s[8:11], s[0:1], 0x50
	s_load_b64 s[0:1], s[0:1], 0x60
	ds_load_2addr_b32 v[2:3], v14 offset1:32
	ds_load_2addr_b32 v[4:5], v15 offset1:32
	ds_load_2addr_b32 v[6:7], v14 offset0:64 offset1:96
	ds_load_2addr_b32 v[8:9], v15 offset0:64 offset1:96
	;; [unrolled: 1-line block ×4, first 2 shown]
	s_waitcnt lgkmcnt(0)
	v_fma_f32 v16, v2, v4, 0
	s_mul_i32 s1, s15, s1
	s_mul_hi_u32 s2, s15, s0
	s_mul_i32 s0, s15, s0
	s_delay_alu instid0(VALU_DEP_1) | instskip(SKIP_1) | instid1(SALU_CYCLE_1)
	v_fmac_f32_e32 v16, v3, v5
	s_add_i32 s1, s2, s1
	s_lshl_b64 s[0:1], s[0:1], 2
	s_delay_alu instid0(SALU_CYCLE_1) | instskip(NEXT) | instid1(VALU_DEP_1)
	s_add_u32 s2, s8, s0
	v_dual_fmac_f32 v16, v6, v8 :: v_dual_add_nc_u32 v17, 0x400, v15
	ds_load_2addr_b32 v[2:3], v14 offset0:192 offset1:224
	ds_load_2addr_b32 v[4:5], v15 offset0:192 offset1:224
	v_add_nc_u32_e32 v14, 0x1400, v0
	v_add_nc_u32_e32 v18, 0xc00, v15
	v_fmac_f32_e32 v16, v7, v9
	ds_load_2addr_b32 v[6:7], v14 offset1:32
	ds_load_2addr_b32 v[8:9], v17 offset1:32
	s_addc_u32 s4, s9, s1
	v_fmac_f32_e32 v16, v10, v12
	s_lshl_b64 s[0:1], s[6:7], 2
	s_delay_alu instid0(SALU_CYCLE_1) | instskip(SKIP_1) | instid1(VALU_DEP_1)
	s_add_u32 s0, s2, s0
	s_addc_u32 s1, s4, s1
	v_fmac_f32_e32 v16, v11, v13
	ds_load_2addr_b32 v[10:11], v14 offset0:64 offset1:96
	ds_load_2addr_b32 v[12:13], v17 offset0:64 offset1:96
	s_waitcnt lgkmcnt(4)
	v_fmac_f32_e32 v16, v2, v4
	s_delay_alu instid0(VALU_DEP_1) | instskip(SKIP_4) | instid1(VALU_DEP_1)
	v_fmac_f32_e32 v16, v3, v5
	ds_load_2addr_b32 v[2:3], v14 offset0:128 offset1:160
	ds_load_2addr_b32 v[4:5], v17 offset0:128 offset1:160
	s_waitcnt lgkmcnt(4)
	v_fmac_f32_e32 v16, v6, v8
	v_fmac_f32_e32 v16, v7, v9
	ds_load_2addr_b32 v[6:7], v14 offset0:192 offset1:224
	ds_load_2addr_b32 v[8:9], v17 offset0:192 offset1:224
	v_add_nc_u32_e32 v14, 0x1800, v0
	s_waitcnt lgkmcnt(4)
	v_dual_fmac_f32 v16, v10, v12 :: v_dual_add_nc_u32 v17, 0x800, v15
	s_delay_alu instid0(VALU_DEP_1) | instskip(SKIP_4) | instid1(VALU_DEP_1)
	v_fmac_f32_e32 v16, v11, v13
	ds_load_2addr_b32 v[10:11], v14 offset1:32
	ds_load_2addr_b32 v[12:13], v17 offset1:32
	s_waitcnt lgkmcnt(4)
	v_fmac_f32_e32 v16, v2, v4
	v_fmac_f32_e32 v16, v3, v5
	ds_load_2addr_b32 v[2:3], v14 offset0:64 offset1:96
	ds_load_2addr_b32 v[4:5], v17 offset0:64 offset1:96
	s_waitcnt lgkmcnt(4)
	v_fmac_f32_e32 v16, v6, v8
	s_delay_alu instid0(VALU_DEP_1) | instskip(SKIP_4) | instid1(VALU_DEP_1)
	v_fmac_f32_e32 v16, v7, v9
	ds_load_2addr_b32 v[6:7], v14 offset0:128 offset1:160
	ds_load_2addr_b32 v[8:9], v17 offset0:128 offset1:160
	s_waitcnt lgkmcnt(4)
	v_fmac_f32_e32 v16, v10, v12
	v_fmac_f32_e32 v16, v11, v13
	ds_load_2addr_b32 v[10:11], v14 offset0:192 offset1:224
	ds_load_2addr_b32 v[12:13], v17 offset0:192 offset1:224
	v_add_nc_u32_e32 v17, 0x1c00, v0
	v_mad_u64_u32 v[14:15], null, v1, s10, 0
	s_waitcnt lgkmcnt(4)
	v_fmac_f32_e32 v16, v2, v4
	s_delay_alu instid0(VALU_DEP_1) | instskip(SKIP_4) | instid1(VALU_DEP_1)
	v_fmac_f32_e32 v16, v3, v5
	ds_load_2addr_b32 v[2:3], v17 offset1:32
	ds_load_2addr_b32 v[4:5], v18 offset1:32
	s_waitcnt lgkmcnt(4)
	v_fmac_f32_e32 v16, v6, v8
	v_fmac_f32_e32 v16, v7, v9
	ds_load_2addr_b32 v[6:7], v17 offset0:64 offset1:96
	ds_load_2addr_b32 v[8:9], v18 offset0:64 offset1:96
	s_waitcnt lgkmcnt(4)
	v_fmac_f32_e32 v16, v10, v12
	s_delay_alu instid0(VALU_DEP_1) | instskip(SKIP_4) | instid1(VALU_DEP_1)
	v_fmac_f32_e32 v16, v11, v13
	ds_load_2addr_b32 v[10:11], v17 offset0:128 offset1:160
	ds_load_2addr_b32 v[12:13], v18 offset0:128 offset1:160
	s_waitcnt lgkmcnt(4)
	v_fmac_f32_e32 v16, v2, v4
	v_fmac_f32_e32 v16, v3, v5
	ds_load_2addr_b32 v[2:3], v17 offset0:192 offset1:224
	ds_load_2addr_b32 v[4:5], v18 offset0:192 offset1:224
	s_waitcnt lgkmcnt(4)
	v_fmac_f32_e32 v16, v6, v8
	v_mov_b32_e32 v6, v15
	s_delay_alu instid0(VALU_DEP_2) | instskip(NEXT) | instid1(VALU_DEP_2)
	v_fmac_f32_e32 v16, v7, v9
	v_mad_u64_u32 v[7:8], null, v1, s11, v[6:7]
	s_waitcnt lgkmcnt(2)
	s_delay_alu instid0(VALU_DEP_1) | instskip(NEXT) | instid1(VALU_DEP_1)
	v_dual_fmac_f32 v16, v10, v12 :: v_dual_mov_b32 v15, v7
	v_fmac_f32_e32 v16, v11, v13
	s_waitcnt lgkmcnt(0)
	s_delay_alu instid0(VALU_DEP_1) | instskip(NEXT) | instid1(VALU_DEP_3)
	v_fmac_f32_e32 v16, v2, v4
	v_lshlrev_b64 v[1:2], 2, v[14:15]
	s_delay_alu instid0(VALU_DEP_2) | instskip(NEXT) | instid1(VALU_DEP_2)
	v_fmac_f32_e32 v16, v3, v5
	v_add_co_u32 v1, vcc_lo, s0, v1
	s_delay_alu instid0(VALU_DEP_3) | instskip(NEXT) | instid1(VALU_DEP_3)
	v_add_co_ci_u32_e32 v2, vcc_lo, s1, v2, vcc_lo
	v_mul_f32_e32 v3, s3, v16
	s_delay_alu instid0(VALU_DEP_3) | instskip(NEXT) | instid1(VALU_DEP_3)
	v_add_co_u32 v0, vcc_lo, v1, v0
	v_add_co_ci_u32_e32 v1, vcc_lo, 0, v2, vcc_lo
	global_store_b32 v[0:1], v3, off
.LBB32_15:
	s_nop 0
	s_sendmsg sendmsg(MSG_DEALLOC_VGPRS)
	s_endpgm
	.section	.rodata,"a",@progbits
	.p2align	6, 0x0
	.amdhsa_kernel _ZL23rocblas_trmm_rTx_kernelILi32ELb0EfPKfS0_fEv13rocblas_fill_17rocblas_diagonal_iiT2_lPT3_llS6_llPT4_lli
		.amdhsa_group_segment_fixed_size 8192
		.amdhsa_private_segment_fixed_size 0
		.amdhsa_kernarg_size 108
		.amdhsa_user_sgpr_count 14
		.amdhsa_user_sgpr_dispatch_ptr 0
		.amdhsa_user_sgpr_queue_ptr 0
		.amdhsa_user_sgpr_kernarg_segment_ptr 1
		.amdhsa_user_sgpr_dispatch_id 0
		.amdhsa_user_sgpr_private_segment_size 0
		.amdhsa_wavefront_size32 1
		.amdhsa_uses_dynamic_stack 0
		.amdhsa_enable_private_segment 0
		.amdhsa_system_sgpr_workgroup_id_x 1
		.amdhsa_system_sgpr_workgroup_id_y 0
		.amdhsa_system_sgpr_workgroup_id_z 1
		.amdhsa_system_sgpr_workgroup_info 0
		.amdhsa_system_vgpr_workitem_id 1
		.amdhsa_next_free_vgpr 19
		.amdhsa_next_free_sgpr 32
		.amdhsa_reserve_vcc 1
		.amdhsa_float_round_mode_32 0
		.amdhsa_float_round_mode_16_64 0
		.amdhsa_float_denorm_mode_32 3
		.amdhsa_float_denorm_mode_16_64 3
		.amdhsa_dx10_clamp 1
		.amdhsa_ieee_mode 1
		.amdhsa_fp16_overflow 0
		.amdhsa_workgroup_processor_mode 1
		.amdhsa_memory_ordered 1
		.amdhsa_forward_progress 0
		.amdhsa_shared_vgpr_count 0
		.amdhsa_exception_fp_ieee_invalid_op 0
		.amdhsa_exception_fp_denorm_src 0
		.amdhsa_exception_fp_ieee_div_zero 0
		.amdhsa_exception_fp_ieee_overflow 0
		.amdhsa_exception_fp_ieee_underflow 0
		.amdhsa_exception_fp_ieee_inexact 0
		.amdhsa_exception_int_div_zero 0
	.end_amdhsa_kernel
	.section	.text._ZL23rocblas_trmm_rTx_kernelILi32ELb0EfPKfS0_fEv13rocblas_fill_17rocblas_diagonal_iiT2_lPT3_llS6_llPT4_lli,"axG",@progbits,_ZL23rocblas_trmm_rTx_kernelILi32ELb0EfPKfS0_fEv13rocblas_fill_17rocblas_diagonal_iiT2_lPT3_llS6_llPT4_lli,comdat
.Lfunc_end32:
	.size	_ZL23rocblas_trmm_rTx_kernelILi32ELb0EfPKfS0_fEv13rocblas_fill_17rocblas_diagonal_iiT2_lPT3_llS6_llPT4_lli, .Lfunc_end32-_ZL23rocblas_trmm_rTx_kernelILi32ELb0EfPKfS0_fEv13rocblas_fill_17rocblas_diagonal_iiT2_lPT3_llS6_llPT4_lli
                                        ; -- End function
	.section	.AMDGPU.csdata,"",@progbits
; Kernel info:
; codeLenInByte = 1360
; NumSgprs: 34
; NumVgprs: 19
; ScratchSize: 0
; MemoryBound: 0
; FloatMode: 240
; IeeeMode: 1
; LDSByteSize: 8192 bytes/workgroup (compile time only)
; SGPRBlocks: 4
; VGPRBlocks: 2
; NumSGPRsForWavesPerEU: 34
; NumVGPRsForWavesPerEU: 19
; Occupancy: 16
; WaveLimiterHint : 0
; COMPUTE_PGM_RSRC2:SCRATCH_EN: 0
; COMPUTE_PGM_RSRC2:USER_SGPR: 14
; COMPUTE_PGM_RSRC2:TRAP_HANDLER: 0
; COMPUTE_PGM_RSRC2:TGID_X_EN: 1
; COMPUTE_PGM_RSRC2:TGID_Y_EN: 0
; COMPUTE_PGM_RSRC2:TGID_Z_EN: 1
; COMPUTE_PGM_RSRC2:TIDIG_COMP_CNT: 1
	.section	.text._ZL23rocblas_trmm_rTx_kernelILi32ELb0EffKffEv13rocblas_fill_17rocblas_diagonal_iiT2_lPT3_llS5_llPT4_lli,"axG",@progbits,_ZL23rocblas_trmm_rTx_kernelILi32ELb0EffKffEv13rocblas_fill_17rocblas_diagonal_iiT2_lPT3_llS5_llPT4_lli,comdat
	.globl	_ZL23rocblas_trmm_rTx_kernelILi32ELb0EffKffEv13rocblas_fill_17rocblas_diagonal_iiT2_lPT3_llS5_llPT4_lli ; -- Begin function _ZL23rocblas_trmm_rTx_kernelILi32ELb0EffKffEv13rocblas_fill_17rocblas_diagonal_iiT2_lPT3_llS5_llPT4_lli
	.p2align	8
	.type	_ZL23rocblas_trmm_rTx_kernelILi32ELb0EffKffEv13rocblas_fill_17rocblas_diagonal_iiT2_lPT3_llS5_llPT4_lli,@function
_ZL23rocblas_trmm_rTx_kernelILi32ELb0EffKffEv13rocblas_fill_17rocblas_diagonal_iiT2_lPT3_llS5_llPT4_lli: ; @_ZL23rocblas_trmm_rTx_kernelILi32ELb0EffKffEv13rocblas_fill_17rocblas_diagonal_iiT2_lPT3_llS5_llPT4_lli
; %bb.0:
	s_load_b32 s3, s[0:1], 0x10
	s_waitcnt lgkmcnt(0)
	v_cmp_eq_f32_e64 s2, s3, 0
	s_delay_alu instid0(VALU_DEP_1)
	s_and_b32 vcc_lo, exec_lo, s2
	s_cbranch_vccnz .LBB33_15
; %bb.1:
	s_clause 0x1
	s_load_b128 s[4:7], s[0:1], 0x0
	s_load_b512 s[16:31], s[0:1], 0x20
	v_bfe_u32 v1, v0, 10, 10
	v_dual_mov_b32 v4, 0 :: v_dual_and_b32 v3, 0x3ff, v0
	s_delay_alu instid0(VALU_DEP_2) | instskip(NEXT) | instid1(VALU_DEP_1)
	v_lshlrev_b32_e32 v0, 5, v1
	v_add_lshl_u32 v2, v0, v3, 2
	v_lshlrev_b32_e32 v0, 2, v3
	ds_store_2addr_stride64_b32 v2, v4, v4 offset1:16
	s_waitcnt lgkmcnt(0)
	v_cmp_gt_i32_e32 vcc_lo, s7, v1
	v_cmp_gt_i32_e64 s2, s7, v3
	s_delay_alu instid0(VALU_DEP_1) | instskip(NEXT) | instid1(SALU_CYCLE_1)
	s_and_b32 s2, vcc_lo, s2
	s_and_saveexec_b32 s7, s2
	s_cbranch_execz .LBB33_3
; %bb.2:
	v_mad_u64_u32 v[4:5], null, v1, s18, 0
	s_mul_i32 s2, s15, s21
	s_mul_hi_u32 s9, s15, s20
	s_mul_i32 s8, s15, s20
	s_add_i32 s9, s9, s2
	s_delay_alu instid0(SALU_CYCLE_1) | instskip(NEXT) | instid1(VALU_DEP_1)
	s_lshl_b64 s[8:9], s[8:9], 2
	v_mad_u64_u32 v[6:7], null, v1, s19, v[5:6]
	s_add_u32 s2, s16, s8
	s_addc_u32 s8, s17, s9
	s_delay_alu instid0(VALU_DEP_1) | instskip(NEXT) | instid1(VALU_DEP_1)
	v_mov_b32_e32 v5, v6
	v_lshlrev_b64 v[4:5], 2, v[4:5]
	s_delay_alu instid0(VALU_DEP_1) | instskip(NEXT) | instid1(VALU_DEP_1)
	v_add_co_u32 v4, s2, s2, v4
	v_add_co_ci_u32_e64 v5, s2, s8, v5, s2
	s_delay_alu instid0(VALU_DEP_2) | instskip(NEXT) | instid1(VALU_DEP_1)
	v_add_co_u32 v4, s2, v4, v0
	v_add_co_ci_u32_e64 v5, s2, 0, v5, s2
	global_load_b32 v4, v[4:5], off
	s_waitcnt vmcnt(0)
	ds_store_b32 v2, v4
.LBB33_3:
	s_or_b32 exec_lo, exec_lo, s7
	s_add_i32 s2, s6, -1
	s_delay_alu instid0(SALU_CYCLE_1) | instskip(NEXT) | instid1(SALU_CYCLE_1)
	s_ashr_i32 s7, s2, 31
	s_lshr_b32 s7, s7, 27
	s_delay_alu instid0(SALU_CYCLE_1) | instskip(NEXT) | instid1(SALU_CYCLE_1)
	s_add_i32 s2, s2, s7
	s_and_b32 s7, s2, 0xffffffe0
	s_ashr_i32 s2, s2, 5
	s_sub_i32 s6, s6, s7
	s_cmp_ge_i32 s14, s2
	s_cselect_b32 s2, s6, 32
	s_lshl_b32 s6, s14, 5
	v_cmp_gt_i32_e64 s2, s2, v3
	s_ashr_i32 s7, s6, 31
	s_delay_alu instid0(VALU_DEP_1) | instskip(NEXT) | instid1(SALU_CYCLE_1)
	s_and_b32 s2, vcc_lo, s2
	s_and_saveexec_b32 s8, s2
	s_cbranch_execz .LBB33_5
; %bb.4:
	v_mad_u64_u32 v[4:5], null, v1, s24, 0
	s_mul_i32 s9, s15, s27
	s_mul_hi_u32 s11, s15, s26
	s_mul_i32 s10, s15, s26
	s_add_i32 s11, s11, s9
	s_delay_alu instid0(SALU_CYCLE_1) | instskip(NEXT) | instid1(VALU_DEP_1)
	s_lshl_b64 s[10:11], s[10:11], 2
	v_mad_u64_u32 v[6:7], null, v1, s25, v[5:6]
	s_add_u32 s9, s22, s10
	s_addc_u32 s12, s23, s11
	s_lshl_b64 s[10:11], s[6:7], 2
	s_delay_alu instid0(SALU_CYCLE_1) | instskip(SKIP_1) | instid1(VALU_DEP_1)
	s_add_u32 s9, s9, s10
	s_addc_u32 s10, s12, s11
	v_mov_b32_e32 v5, v6
	s_delay_alu instid0(VALU_DEP_1) | instskip(NEXT) | instid1(VALU_DEP_1)
	v_lshlrev_b64 v[4:5], 2, v[4:5]
	v_add_co_u32 v4, vcc_lo, s9, v4
	s_delay_alu instid0(VALU_DEP_2) | instskip(NEXT) | instid1(VALU_DEP_2)
	v_add_co_ci_u32_e32 v5, vcc_lo, s10, v5, vcc_lo
	v_add_co_u32 v4, vcc_lo, v4, v0
	s_delay_alu instid0(VALU_DEP_2)
	v_add_co_ci_u32_e32 v5, vcc_lo, 0, v5, vcc_lo
	global_load_b32 v4, v[4:5], off
	v_add_nc_u32_e32 v5, 0x1000, v2
	s_waitcnt vmcnt(0)
	ds_store_b32 v5, v4
.LBB33_5:
	s_or_b32 exec_lo, exec_lo, s8
	v_cmp_eq_u32_e32 vcc_lo, v1, v3
	s_cmpk_eq_i32 s5, 0x84
	s_cselect_b32 s5, -1, 0
	s_delay_alu instid0(SALU_CYCLE_1) | instskip(NEXT) | instid1(SALU_CYCLE_1)
	s_and_b32 s8, vcc_lo, s5
	s_and_saveexec_b32 s5, s8
	s_cbranch_execz .LBB33_7
; %bb.6:
	v_mov_b32_e32 v4, 1.0
	ds_store_b32 v2, v4
.LBB33_7:
	s_or_b32 exec_lo, exec_lo, s5
	s_cmpk_lg_i32 s4, 0x79
	s_cbranch_scc0 .LBB33_9
; %bb.8:
	v_cmp_lt_u32_e32 vcc_lo, v3, v1
	s_and_b32 s4, vcc_lo, exec_lo
	s_cbranch_execz .LBB33_10
	s_branch .LBB33_11
.LBB33_9:
	s_mov_b32 s4, 0
.LBB33_10:
	v_cmp_gt_u32_e32 vcc_lo, v3, v1
	s_and_not1_b32 s4, s4, exec_lo
	s_and_b32 s5, vcc_lo, exec_lo
	s_delay_alu instid0(SALU_CYCLE_1)
	s_or_b32 s4, s4, s5
.LBB33_11:
	s_delay_alu instid0(SALU_CYCLE_1)
	s_and_saveexec_b32 s5, s4
	s_cbranch_execz .LBB33_13
; %bb.12:
	v_mov_b32_e32 v3, 0
	ds_store_b32 v2, v3
.LBB33_13:
	s_or_b32 exec_lo, exec_lo, s5
	s_waitcnt lgkmcnt(0)
	s_barrier
	buffer_gl0_inv
	s_and_saveexec_b32 s4, s2
	s_cbranch_execz .LBB33_15
; %bb.14:
	v_add_nc_u32_e32 v14, 0x1000, v0
	v_lshlrev_b32_e32 v15, 2, v1
	s_load_b64 s[0:1], s[0:1], 0x60
	ds_load_2addr_b32 v[2:3], v14 offset1:32
	ds_load_2addr_b32 v[4:5], v15 offset1:32
	ds_load_2addr_b32 v[6:7], v14 offset0:64 offset1:96
	ds_load_2addr_b32 v[8:9], v15 offset0:64 offset1:96
	;; [unrolled: 1-line block ×4, first 2 shown]
	s_waitcnt lgkmcnt(0)
	v_fma_f32 v18, v2, v4, 0
	s_mul_i32 s1, s15, s1
	s_mul_hi_u32 s2, s15, s0
	s_mul_i32 s0, s15, s0
	s_add_i32 s1, s2, s1
	v_fmac_f32_e32 v18, v3, v5
	s_lshl_b64 s[0:1], s[0:1], 2
	s_delay_alu instid0(SALU_CYCLE_1) | instskip(SKIP_1) | instid1(VALU_DEP_1)
	s_add_u32 s2, s28, s0
	s_addc_u32 s4, s29, s1
	v_dual_fmac_f32 v18, v6, v8 :: v_dual_add_nc_u32 v17, 0xc00, v15
	ds_load_2addr_b32 v[2:3], v14 offset0:192 offset1:224
	ds_load_2addr_b32 v[4:5], v15 offset0:192 offset1:224
	v_add_nc_u32_e32 v14, 0x1400, v0
	v_add_nc_u32_e32 v16, 0x400, v15
	v_fmac_f32_e32 v18, v7, v9
	ds_load_2addr_b32 v[6:7], v14 offset1:32
	ds_load_2addr_b32 v[8:9], v16 offset1:32
	s_lshl_b64 s[0:1], s[6:7], 2
	v_fmac_f32_e32 v18, v10, v12
	s_add_u32 s0, s2, s0
	s_addc_u32 s1, s4, s1
	s_delay_alu instid0(VALU_DEP_1) | instskip(SKIP_4) | instid1(VALU_DEP_1)
	v_fmac_f32_e32 v18, v11, v13
	ds_load_2addr_b32 v[10:11], v14 offset0:64 offset1:96
	ds_load_2addr_b32 v[12:13], v16 offset0:64 offset1:96
	s_waitcnt lgkmcnt(4)
	v_fmac_f32_e32 v18, v2, v4
	v_fmac_f32_e32 v18, v3, v5
	ds_load_2addr_b32 v[2:3], v14 offset0:128 offset1:160
	ds_load_2addr_b32 v[4:5], v16 offset0:128 offset1:160
	s_waitcnt lgkmcnt(4)
	v_fmac_f32_e32 v18, v6, v8
	s_delay_alu instid0(VALU_DEP_1)
	v_fmac_f32_e32 v18, v7, v9
	ds_load_2addr_b32 v[6:7], v14 offset0:192 offset1:224
	ds_load_2addr_b32 v[8:9], v16 offset0:192 offset1:224
	v_add_nc_u32_e32 v14, 0x1800, v0
	v_add_nc_u32_e32 v16, 0x800, v15
	s_waitcnt lgkmcnt(4)
	v_fmac_f32_e32 v18, v10, v12
	s_delay_alu instid0(VALU_DEP_1) | instskip(SKIP_4) | instid1(VALU_DEP_1)
	v_fmac_f32_e32 v18, v11, v13
	ds_load_2addr_b32 v[10:11], v14 offset1:32
	ds_load_2addr_b32 v[12:13], v16 offset1:32
	s_waitcnt lgkmcnt(4)
	v_fmac_f32_e32 v18, v2, v4
	v_fmac_f32_e32 v18, v3, v5
	ds_load_2addr_b32 v[2:3], v14 offset0:64 offset1:96
	ds_load_2addr_b32 v[4:5], v16 offset0:64 offset1:96
	s_waitcnt lgkmcnt(4)
	v_fmac_f32_e32 v18, v6, v8
	s_delay_alu instid0(VALU_DEP_1) | instskip(SKIP_4) | instid1(VALU_DEP_1)
	v_fmac_f32_e32 v18, v7, v9
	ds_load_2addr_b32 v[6:7], v14 offset0:128 offset1:160
	ds_load_2addr_b32 v[8:9], v16 offset0:128 offset1:160
	s_waitcnt lgkmcnt(4)
	v_fmac_f32_e32 v18, v10, v12
	v_fmac_f32_e32 v18, v11, v13
	ds_load_2addr_b32 v[10:11], v14 offset0:192 offset1:224
	ds_load_2addr_b32 v[12:13], v16 offset0:192 offset1:224
	v_add_nc_u32_e32 v16, 0x1c00, v0
	s_waitcnt lgkmcnt(4)
	v_fmac_f32_e32 v18, v2, v4
	s_delay_alu instid0(VALU_DEP_1) | instskip(SKIP_4) | instid1(VALU_DEP_1)
	v_fmac_f32_e32 v18, v3, v5
	ds_load_2addr_b32 v[2:3], v16 offset1:32
	ds_load_2addr_b32 v[4:5], v17 offset1:32
	s_waitcnt lgkmcnt(4)
	v_fmac_f32_e32 v18, v6, v8
	v_fmac_f32_e32 v18, v7, v9
	ds_load_2addr_b32 v[6:7], v16 offset0:64 offset1:96
	ds_load_2addr_b32 v[8:9], v17 offset0:64 offset1:96
	s_waitcnt lgkmcnt(4)
	v_fmac_f32_e32 v18, v10, v12
	s_delay_alu instid0(VALU_DEP_1)
	v_fmac_f32_e32 v18, v11, v13
	ds_load_2addr_b32 v[12:13], v16 offset0:128 offset1:160
	ds_load_2addr_b32 v[14:15], v17 offset0:128 offset1:160
	v_mad_u64_u32 v[10:11], null, v1, s30, 0
	s_waitcnt lgkmcnt(4)
	v_fmac_f32_e32 v18, v2, v4
	s_delay_alu instid0(VALU_DEP_2) | instskip(NEXT) | instid1(VALU_DEP_2)
	v_mov_b32_e32 v4, v11
	v_fmac_f32_e32 v18, v3, v5
	ds_load_2addr_b32 v[2:3], v16 offset0:192 offset1:224
	ds_load_2addr_b32 v[16:17], v17 offset0:192 offset1:224
	s_waitcnt lgkmcnt(4)
	v_fmac_f32_e32 v18, v6, v8
	v_mad_u64_u32 v[5:6], null, v1, s31, v[4:5]
	s_delay_alu instid0(VALU_DEP_1) | instskip(SKIP_1) | instid1(VALU_DEP_1)
	v_dual_fmac_f32 v18, v7, v9 :: v_dual_mov_b32 v11, v5
	s_waitcnt lgkmcnt(2)
	v_fmac_f32_e32 v18, v12, v14
	s_delay_alu instid0(VALU_DEP_2) | instskip(NEXT) | instid1(VALU_DEP_2)
	v_lshlrev_b64 v[4:5], 2, v[10:11]
	v_fmac_f32_e32 v18, v13, v15
	s_delay_alu instid0(VALU_DEP_2) | instskip(SKIP_1) | instid1(VALU_DEP_2)
	v_add_co_u32 v1, vcc_lo, s0, v4
	s_waitcnt lgkmcnt(0)
	v_fmac_f32_e32 v18, v2, v16
	s_delay_alu instid0(VALU_DEP_4) | instskip(NEXT) | instid1(VALU_DEP_3)
	v_add_co_ci_u32_e32 v2, vcc_lo, s1, v5, vcc_lo
	v_add_co_u32 v0, vcc_lo, v1, v0
	s_delay_alu instid0(VALU_DEP_3) | instskip(NEXT) | instid1(VALU_DEP_3)
	v_fmac_f32_e32 v18, v3, v17
	v_add_co_ci_u32_e32 v1, vcc_lo, 0, v2, vcc_lo
	s_delay_alu instid0(VALU_DEP_2)
	v_mul_f32_e32 v3, s3, v18
	global_store_b32 v[0:1], v3, off
.LBB33_15:
	s_nop 0
	s_sendmsg sendmsg(MSG_DEALLOC_VGPRS)
	s_endpgm
	.section	.rodata,"a",@progbits
	.p2align	6, 0x0
	.amdhsa_kernel _ZL23rocblas_trmm_rTx_kernelILi32ELb0EffKffEv13rocblas_fill_17rocblas_diagonal_iiT2_lPT3_llS5_llPT4_lli
		.amdhsa_group_segment_fixed_size 8192
		.amdhsa_private_segment_fixed_size 0
		.amdhsa_kernarg_size 108
		.amdhsa_user_sgpr_count 14
		.amdhsa_user_sgpr_dispatch_ptr 0
		.amdhsa_user_sgpr_queue_ptr 0
		.amdhsa_user_sgpr_kernarg_segment_ptr 1
		.amdhsa_user_sgpr_dispatch_id 0
		.amdhsa_user_sgpr_private_segment_size 0
		.amdhsa_wavefront_size32 1
		.amdhsa_uses_dynamic_stack 0
		.amdhsa_enable_private_segment 0
		.amdhsa_system_sgpr_workgroup_id_x 1
		.amdhsa_system_sgpr_workgroup_id_y 0
		.amdhsa_system_sgpr_workgroup_id_z 1
		.amdhsa_system_sgpr_workgroup_info 0
		.amdhsa_system_vgpr_workitem_id 1
		.amdhsa_next_free_vgpr 19
		.amdhsa_next_free_sgpr 32
		.amdhsa_reserve_vcc 1
		.amdhsa_float_round_mode_32 0
		.amdhsa_float_round_mode_16_64 0
		.amdhsa_float_denorm_mode_32 3
		.amdhsa_float_denorm_mode_16_64 3
		.amdhsa_dx10_clamp 1
		.amdhsa_ieee_mode 1
		.amdhsa_fp16_overflow 0
		.amdhsa_workgroup_processor_mode 1
		.amdhsa_memory_ordered 1
		.amdhsa_forward_progress 0
		.amdhsa_shared_vgpr_count 0
		.amdhsa_exception_fp_ieee_invalid_op 0
		.amdhsa_exception_fp_denorm_src 0
		.amdhsa_exception_fp_ieee_div_zero 0
		.amdhsa_exception_fp_ieee_overflow 0
		.amdhsa_exception_fp_ieee_underflow 0
		.amdhsa_exception_fp_ieee_inexact 0
		.amdhsa_exception_int_div_zero 0
	.end_amdhsa_kernel
	.section	.text._ZL23rocblas_trmm_rTx_kernelILi32ELb0EffKffEv13rocblas_fill_17rocblas_diagonal_iiT2_lPT3_llS5_llPT4_lli,"axG",@progbits,_ZL23rocblas_trmm_rTx_kernelILi32ELb0EffKffEv13rocblas_fill_17rocblas_diagonal_iiT2_lPT3_llS5_llPT4_lli,comdat
.Lfunc_end33:
	.size	_ZL23rocblas_trmm_rTx_kernelILi32ELb0EffKffEv13rocblas_fill_17rocblas_diagonal_iiT2_lPT3_llS5_llPT4_lli, .Lfunc_end33-_ZL23rocblas_trmm_rTx_kernelILi32ELb0EffKffEv13rocblas_fill_17rocblas_diagonal_iiT2_lPT3_llS5_llPT4_lli
                                        ; -- End function
	.section	.AMDGPU.csdata,"",@progbits
; Kernel info:
; codeLenInByte = 1316
; NumSgprs: 34
; NumVgprs: 19
; ScratchSize: 0
; MemoryBound: 0
; FloatMode: 240
; IeeeMode: 1
; LDSByteSize: 8192 bytes/workgroup (compile time only)
; SGPRBlocks: 4
; VGPRBlocks: 2
; NumSGPRsForWavesPerEU: 34
; NumVGPRsForWavesPerEU: 19
; Occupancy: 16
; WaveLimiterHint : 0
; COMPUTE_PGM_RSRC2:SCRATCH_EN: 0
; COMPUTE_PGM_RSRC2:USER_SGPR: 14
; COMPUTE_PGM_RSRC2:TRAP_HANDLER: 0
; COMPUTE_PGM_RSRC2:TGID_X_EN: 1
; COMPUTE_PGM_RSRC2:TGID_Y_EN: 0
; COMPUTE_PGM_RSRC2:TGID_Z_EN: 1
; COMPUTE_PGM_RSRC2:TIDIG_COMP_CNT: 1
	.section	.text._ZL23rocblas_trmm_rTx_kernelILi32ELb1EfPKfS0_fEv13rocblas_fill_17rocblas_diagonal_iiT2_lPT3_llS6_llPT4_lli,"axG",@progbits,_ZL23rocblas_trmm_rTx_kernelILi32ELb1EfPKfS0_fEv13rocblas_fill_17rocblas_diagonal_iiT2_lPT3_llS6_llPT4_lli,comdat
	.globl	_ZL23rocblas_trmm_rTx_kernelILi32ELb1EfPKfS0_fEv13rocblas_fill_17rocblas_diagonal_iiT2_lPT3_llS6_llPT4_lli ; -- Begin function _ZL23rocblas_trmm_rTx_kernelILi32ELb1EfPKfS0_fEv13rocblas_fill_17rocblas_diagonal_iiT2_lPT3_llS6_llPT4_lli
	.p2align	8
	.type	_ZL23rocblas_trmm_rTx_kernelILi32ELb1EfPKfS0_fEv13rocblas_fill_17rocblas_diagonal_iiT2_lPT3_llS6_llPT4_lli,@function
_ZL23rocblas_trmm_rTx_kernelILi32ELb1EfPKfS0_fEv13rocblas_fill_17rocblas_diagonal_iiT2_lPT3_llS6_llPT4_lli: ; @_ZL23rocblas_trmm_rTx_kernelILi32ELb1EfPKfS0_fEv13rocblas_fill_17rocblas_diagonal_iiT2_lPT3_llS6_llPT4_lli
; %bb.0:
	s_load_b512 s[16:31], s[0:1], 0x10
	s_waitcnt lgkmcnt(0)
	s_mul_i32 s2, s15, s19
	s_mul_hi_u32 s3, s15, s18
	s_delay_alu instid0(SALU_CYCLE_1) | instskip(SKIP_1) | instid1(SALU_CYCLE_1)
	s_add_i32 s3, s3, s2
	s_mul_i32 s2, s15, s18
	s_lshl_b64 s[2:3], s[2:3], 2
	s_delay_alu instid0(SALU_CYCLE_1) | instskip(SKIP_4) | instid1(VALU_DEP_1)
	s_add_u32 s2, s16, s2
	s_addc_u32 s3, s17, s3
	s_load_b32 s3, s[2:3], 0x0
	s_waitcnt lgkmcnt(0)
	v_cmp_eq_f32_e64 s2, s3, 0
	s_and_b32 vcc_lo, exec_lo, s2
	s_cbranch_vccnz .LBB34_15
; %bb.1:
	s_load_b128 s[4:7], s[0:1], 0x0
	v_bfe_u32 v1, v0, 10, 10
	v_dual_mov_b32 v4, 0 :: v_dual_and_b32 v3, 0x3ff, v0
	s_delay_alu instid0(VALU_DEP_2) | instskip(NEXT) | instid1(VALU_DEP_1)
	v_lshlrev_b32_e32 v0, 5, v1
	v_add_lshl_u32 v2, v0, v3, 2
	v_lshlrev_b32_e32 v0, 2, v3
	ds_store_2addr_stride64_b32 v2, v4, v4 offset1:16
	s_waitcnt lgkmcnt(0)
	v_cmp_gt_i32_e32 vcc_lo, s7, v1
	v_cmp_gt_i32_e64 s2, s7, v3
	s_delay_alu instid0(VALU_DEP_1) | instskip(NEXT) | instid1(SALU_CYCLE_1)
	s_and_b32 s2, vcc_lo, s2
	s_and_saveexec_b32 s7, s2
	s_cbranch_execz .LBB34_3
; %bb.2:
	v_mad_u64_u32 v[4:5], null, v1, s22, 0
	s_mul_i32 s2, s15, s25
	s_mul_hi_u32 s9, s15, s24
	s_mul_i32 s8, s15, s24
	s_add_i32 s9, s9, s2
	s_delay_alu instid0(SALU_CYCLE_1) | instskip(NEXT) | instid1(VALU_DEP_1)
	s_lshl_b64 s[8:9], s[8:9], 2
	v_mad_u64_u32 v[6:7], null, v1, s23, v[5:6]
	s_add_u32 s2, s20, s8
	s_addc_u32 s8, s21, s9
	s_delay_alu instid0(VALU_DEP_1) | instskip(NEXT) | instid1(VALU_DEP_1)
	v_mov_b32_e32 v5, v6
	v_lshlrev_b64 v[4:5], 2, v[4:5]
	s_delay_alu instid0(VALU_DEP_1) | instskip(NEXT) | instid1(VALU_DEP_1)
	v_add_co_u32 v4, s2, s2, v4
	v_add_co_ci_u32_e64 v5, s2, s8, v5, s2
	s_delay_alu instid0(VALU_DEP_2) | instskip(NEXT) | instid1(VALU_DEP_1)
	v_add_co_u32 v4, s2, v4, v0
	v_add_co_ci_u32_e64 v5, s2, 0, v5, s2
	global_load_b32 v4, v[4:5], off
	s_waitcnt vmcnt(0)
	ds_store_b32 v2, v4
.LBB34_3:
	s_or_b32 exec_lo, exec_lo, s7
	s_add_i32 s2, s6, -1
	s_delay_alu instid0(SALU_CYCLE_1) | instskip(NEXT) | instid1(SALU_CYCLE_1)
	s_ashr_i32 s7, s2, 31
	s_lshr_b32 s7, s7, 27
	s_delay_alu instid0(SALU_CYCLE_1) | instskip(NEXT) | instid1(SALU_CYCLE_1)
	s_add_i32 s2, s2, s7
	s_and_b32 s7, s2, 0xffffffe0
	s_ashr_i32 s2, s2, 5
	s_sub_i32 s6, s6, s7
	s_cmp_ge_i32 s14, s2
	s_cselect_b32 s2, s6, 32
	s_lshl_b32 s6, s14, 5
	v_cmp_gt_i32_e64 s2, s2, v3
	s_ashr_i32 s7, s6, 31
	s_delay_alu instid0(VALU_DEP_1) | instskip(NEXT) | instid1(SALU_CYCLE_1)
	s_and_b32 s2, vcc_lo, s2
	s_and_saveexec_b32 s8, s2
	s_cbranch_execz .LBB34_5
; %bb.4:
	v_mad_u64_u32 v[4:5], null, v1, s28, 0
	s_mul_i32 s9, s15, s31
	s_mul_hi_u32 s11, s15, s30
	s_mul_i32 s10, s15, s30
	s_add_i32 s11, s11, s9
	s_delay_alu instid0(SALU_CYCLE_1) | instskip(NEXT) | instid1(VALU_DEP_1)
	s_lshl_b64 s[10:11], s[10:11], 2
	v_mad_u64_u32 v[6:7], null, v1, s29, v[5:6]
	s_add_u32 s9, s26, s10
	s_addc_u32 s12, s27, s11
	s_lshl_b64 s[10:11], s[6:7], 2
	s_delay_alu instid0(SALU_CYCLE_1) | instskip(SKIP_1) | instid1(VALU_DEP_1)
	s_add_u32 s9, s9, s10
	s_addc_u32 s10, s12, s11
	v_mov_b32_e32 v5, v6
	s_delay_alu instid0(VALU_DEP_1) | instskip(NEXT) | instid1(VALU_DEP_1)
	v_lshlrev_b64 v[4:5], 2, v[4:5]
	v_add_co_u32 v4, vcc_lo, s9, v4
	s_delay_alu instid0(VALU_DEP_2) | instskip(NEXT) | instid1(VALU_DEP_2)
	v_add_co_ci_u32_e32 v5, vcc_lo, s10, v5, vcc_lo
	v_add_co_u32 v4, vcc_lo, v4, v0
	s_delay_alu instid0(VALU_DEP_2)
	v_add_co_ci_u32_e32 v5, vcc_lo, 0, v5, vcc_lo
	global_load_b32 v4, v[4:5], off
	v_add_nc_u32_e32 v5, 0x1000, v2
	s_waitcnt vmcnt(0)
	ds_store_b32 v5, v4
.LBB34_5:
	s_or_b32 exec_lo, exec_lo, s8
	v_cmp_eq_u32_e32 vcc_lo, v1, v3
	s_cmpk_eq_i32 s5, 0x84
	s_cselect_b32 s5, -1, 0
	s_delay_alu instid0(SALU_CYCLE_1) | instskip(NEXT) | instid1(SALU_CYCLE_1)
	s_and_b32 s8, vcc_lo, s5
	s_and_saveexec_b32 s5, s8
	s_cbranch_execz .LBB34_7
; %bb.6:
	v_mov_b32_e32 v4, 1.0
	ds_store_b32 v2, v4
.LBB34_7:
	s_or_b32 exec_lo, exec_lo, s5
	s_cmpk_lg_i32 s4, 0x79
	s_cbranch_scc0 .LBB34_9
; %bb.8:
	v_cmp_lt_u32_e32 vcc_lo, v3, v1
	s_and_b32 s4, vcc_lo, exec_lo
	s_cbranch_execz .LBB34_10
	s_branch .LBB34_11
.LBB34_9:
	s_mov_b32 s4, 0
.LBB34_10:
	v_cmp_gt_u32_e32 vcc_lo, v3, v1
	s_and_not1_b32 s4, s4, exec_lo
	s_and_b32 s5, vcc_lo, exec_lo
	s_delay_alu instid0(SALU_CYCLE_1)
	s_or_b32 s4, s4, s5
.LBB34_11:
	s_delay_alu instid0(SALU_CYCLE_1)
	s_and_saveexec_b32 s5, s4
	s_cbranch_execz .LBB34_13
; %bb.12:
	v_mov_b32_e32 v3, 0
	ds_store_b32 v2, v3
.LBB34_13:
	s_or_b32 exec_lo, exec_lo, s5
	s_waitcnt lgkmcnt(0)
	s_barrier
	buffer_gl0_inv
	s_and_saveexec_b32 s4, s2
	s_cbranch_execz .LBB34_15
; %bb.14:
	v_add_nc_u32_e32 v14, 0x1000, v0
	v_lshlrev_b32_e32 v15, 2, v1
	s_clause 0x1
	s_load_b128 s[8:11], s[0:1], 0x50
	s_load_b64 s[0:1], s[0:1], 0x60
	ds_load_2addr_b32 v[2:3], v14 offset1:32
	ds_load_2addr_b32 v[4:5], v15 offset1:32
	ds_load_2addr_b32 v[6:7], v14 offset0:64 offset1:96
	ds_load_2addr_b32 v[8:9], v15 offset0:64 offset1:96
	;; [unrolled: 1-line block ×4, first 2 shown]
	s_waitcnt lgkmcnt(0)
	v_fma_f32 v16, v2, v4, 0
	s_mul_i32 s1, s15, s1
	s_mul_hi_u32 s2, s15, s0
	s_mul_i32 s0, s15, s0
	s_delay_alu instid0(VALU_DEP_1) | instskip(SKIP_1) | instid1(SALU_CYCLE_1)
	v_fmac_f32_e32 v16, v3, v5
	s_add_i32 s1, s2, s1
	s_lshl_b64 s[0:1], s[0:1], 2
	s_delay_alu instid0(SALU_CYCLE_1) | instskip(NEXT) | instid1(VALU_DEP_1)
	s_add_u32 s2, s8, s0
	v_dual_fmac_f32 v16, v6, v8 :: v_dual_add_nc_u32 v17, 0x400, v15
	ds_load_2addr_b32 v[2:3], v14 offset0:192 offset1:224
	ds_load_2addr_b32 v[4:5], v15 offset0:192 offset1:224
	v_add_nc_u32_e32 v14, 0x1400, v0
	v_add_nc_u32_e32 v18, 0xc00, v15
	v_fmac_f32_e32 v16, v7, v9
	ds_load_2addr_b32 v[6:7], v14 offset1:32
	ds_load_2addr_b32 v[8:9], v17 offset1:32
	s_addc_u32 s4, s9, s1
	v_fmac_f32_e32 v16, v10, v12
	s_lshl_b64 s[0:1], s[6:7], 2
	s_delay_alu instid0(SALU_CYCLE_1) | instskip(SKIP_1) | instid1(VALU_DEP_1)
	s_add_u32 s0, s2, s0
	s_addc_u32 s1, s4, s1
	v_fmac_f32_e32 v16, v11, v13
	ds_load_2addr_b32 v[10:11], v14 offset0:64 offset1:96
	ds_load_2addr_b32 v[12:13], v17 offset0:64 offset1:96
	s_waitcnt lgkmcnt(4)
	v_fmac_f32_e32 v16, v2, v4
	s_delay_alu instid0(VALU_DEP_1) | instskip(SKIP_4) | instid1(VALU_DEP_1)
	v_fmac_f32_e32 v16, v3, v5
	ds_load_2addr_b32 v[2:3], v14 offset0:128 offset1:160
	ds_load_2addr_b32 v[4:5], v17 offset0:128 offset1:160
	s_waitcnt lgkmcnt(4)
	v_fmac_f32_e32 v16, v6, v8
	v_fmac_f32_e32 v16, v7, v9
	ds_load_2addr_b32 v[6:7], v14 offset0:192 offset1:224
	ds_load_2addr_b32 v[8:9], v17 offset0:192 offset1:224
	v_add_nc_u32_e32 v14, 0x1800, v0
	s_waitcnt lgkmcnt(4)
	v_dual_fmac_f32 v16, v10, v12 :: v_dual_add_nc_u32 v17, 0x800, v15
	s_delay_alu instid0(VALU_DEP_1) | instskip(SKIP_4) | instid1(VALU_DEP_1)
	v_fmac_f32_e32 v16, v11, v13
	ds_load_2addr_b32 v[10:11], v14 offset1:32
	ds_load_2addr_b32 v[12:13], v17 offset1:32
	s_waitcnt lgkmcnt(4)
	v_fmac_f32_e32 v16, v2, v4
	v_fmac_f32_e32 v16, v3, v5
	ds_load_2addr_b32 v[2:3], v14 offset0:64 offset1:96
	ds_load_2addr_b32 v[4:5], v17 offset0:64 offset1:96
	s_waitcnt lgkmcnt(4)
	v_fmac_f32_e32 v16, v6, v8
	s_delay_alu instid0(VALU_DEP_1) | instskip(SKIP_4) | instid1(VALU_DEP_1)
	v_fmac_f32_e32 v16, v7, v9
	ds_load_2addr_b32 v[6:7], v14 offset0:128 offset1:160
	ds_load_2addr_b32 v[8:9], v17 offset0:128 offset1:160
	s_waitcnt lgkmcnt(4)
	v_fmac_f32_e32 v16, v10, v12
	v_fmac_f32_e32 v16, v11, v13
	ds_load_2addr_b32 v[10:11], v14 offset0:192 offset1:224
	ds_load_2addr_b32 v[12:13], v17 offset0:192 offset1:224
	v_add_nc_u32_e32 v17, 0x1c00, v0
	v_mad_u64_u32 v[14:15], null, v1, s10, 0
	s_waitcnt lgkmcnt(4)
	v_fmac_f32_e32 v16, v2, v4
	s_delay_alu instid0(VALU_DEP_1) | instskip(SKIP_4) | instid1(VALU_DEP_1)
	v_fmac_f32_e32 v16, v3, v5
	ds_load_2addr_b32 v[2:3], v17 offset1:32
	ds_load_2addr_b32 v[4:5], v18 offset1:32
	s_waitcnt lgkmcnt(4)
	v_fmac_f32_e32 v16, v6, v8
	v_fmac_f32_e32 v16, v7, v9
	ds_load_2addr_b32 v[6:7], v17 offset0:64 offset1:96
	ds_load_2addr_b32 v[8:9], v18 offset0:64 offset1:96
	s_waitcnt lgkmcnt(4)
	v_fmac_f32_e32 v16, v10, v12
	s_delay_alu instid0(VALU_DEP_1) | instskip(SKIP_4) | instid1(VALU_DEP_1)
	v_fmac_f32_e32 v16, v11, v13
	ds_load_2addr_b32 v[10:11], v17 offset0:128 offset1:160
	ds_load_2addr_b32 v[12:13], v18 offset0:128 offset1:160
	s_waitcnt lgkmcnt(4)
	v_fmac_f32_e32 v16, v2, v4
	v_fmac_f32_e32 v16, v3, v5
	ds_load_2addr_b32 v[2:3], v17 offset0:192 offset1:224
	ds_load_2addr_b32 v[4:5], v18 offset0:192 offset1:224
	s_waitcnt lgkmcnt(4)
	v_fmac_f32_e32 v16, v6, v8
	v_mov_b32_e32 v6, v15
	s_delay_alu instid0(VALU_DEP_2) | instskip(NEXT) | instid1(VALU_DEP_2)
	v_fmac_f32_e32 v16, v7, v9
	v_mad_u64_u32 v[7:8], null, v1, s11, v[6:7]
	s_waitcnt lgkmcnt(2)
	s_delay_alu instid0(VALU_DEP_1) | instskip(NEXT) | instid1(VALU_DEP_1)
	v_dual_fmac_f32 v16, v10, v12 :: v_dual_mov_b32 v15, v7
	v_fmac_f32_e32 v16, v11, v13
	s_waitcnt lgkmcnt(0)
	s_delay_alu instid0(VALU_DEP_1) | instskip(NEXT) | instid1(VALU_DEP_3)
	v_fmac_f32_e32 v16, v2, v4
	v_lshlrev_b64 v[1:2], 2, v[14:15]
	s_delay_alu instid0(VALU_DEP_2) | instskip(NEXT) | instid1(VALU_DEP_2)
	v_fmac_f32_e32 v16, v3, v5
	v_add_co_u32 v1, vcc_lo, s0, v1
	s_delay_alu instid0(VALU_DEP_3) | instskip(NEXT) | instid1(VALU_DEP_3)
	v_add_co_ci_u32_e32 v2, vcc_lo, s1, v2, vcc_lo
	v_mul_f32_e32 v3, s3, v16
	s_delay_alu instid0(VALU_DEP_3) | instskip(NEXT) | instid1(VALU_DEP_3)
	v_add_co_u32 v0, vcc_lo, v1, v0
	v_add_co_ci_u32_e32 v1, vcc_lo, 0, v2, vcc_lo
	global_store_b32 v[0:1], v3, off
.LBB34_15:
	s_nop 0
	s_sendmsg sendmsg(MSG_DEALLOC_VGPRS)
	s_endpgm
	.section	.rodata,"a",@progbits
	.p2align	6, 0x0
	.amdhsa_kernel _ZL23rocblas_trmm_rTx_kernelILi32ELb1EfPKfS0_fEv13rocblas_fill_17rocblas_diagonal_iiT2_lPT3_llS6_llPT4_lli
		.amdhsa_group_segment_fixed_size 8192
		.amdhsa_private_segment_fixed_size 0
		.amdhsa_kernarg_size 108
		.amdhsa_user_sgpr_count 14
		.amdhsa_user_sgpr_dispatch_ptr 0
		.amdhsa_user_sgpr_queue_ptr 0
		.amdhsa_user_sgpr_kernarg_segment_ptr 1
		.amdhsa_user_sgpr_dispatch_id 0
		.amdhsa_user_sgpr_private_segment_size 0
		.amdhsa_wavefront_size32 1
		.amdhsa_uses_dynamic_stack 0
		.amdhsa_enable_private_segment 0
		.amdhsa_system_sgpr_workgroup_id_x 1
		.amdhsa_system_sgpr_workgroup_id_y 0
		.amdhsa_system_sgpr_workgroup_id_z 1
		.amdhsa_system_sgpr_workgroup_info 0
		.amdhsa_system_vgpr_workitem_id 1
		.amdhsa_next_free_vgpr 19
		.amdhsa_next_free_sgpr 32
		.amdhsa_reserve_vcc 1
		.amdhsa_float_round_mode_32 0
		.amdhsa_float_round_mode_16_64 0
		.amdhsa_float_denorm_mode_32 3
		.amdhsa_float_denorm_mode_16_64 3
		.amdhsa_dx10_clamp 1
		.amdhsa_ieee_mode 1
		.amdhsa_fp16_overflow 0
		.amdhsa_workgroup_processor_mode 1
		.amdhsa_memory_ordered 1
		.amdhsa_forward_progress 0
		.amdhsa_shared_vgpr_count 0
		.amdhsa_exception_fp_ieee_invalid_op 0
		.amdhsa_exception_fp_denorm_src 0
		.amdhsa_exception_fp_ieee_div_zero 0
		.amdhsa_exception_fp_ieee_overflow 0
		.amdhsa_exception_fp_ieee_underflow 0
		.amdhsa_exception_fp_ieee_inexact 0
		.amdhsa_exception_int_div_zero 0
	.end_amdhsa_kernel
	.section	.text._ZL23rocblas_trmm_rTx_kernelILi32ELb1EfPKfS0_fEv13rocblas_fill_17rocblas_diagonal_iiT2_lPT3_llS6_llPT4_lli,"axG",@progbits,_ZL23rocblas_trmm_rTx_kernelILi32ELb1EfPKfS0_fEv13rocblas_fill_17rocblas_diagonal_iiT2_lPT3_llS6_llPT4_lli,comdat
.Lfunc_end34:
	.size	_ZL23rocblas_trmm_rTx_kernelILi32ELb1EfPKfS0_fEv13rocblas_fill_17rocblas_diagonal_iiT2_lPT3_llS6_llPT4_lli, .Lfunc_end34-_ZL23rocblas_trmm_rTx_kernelILi32ELb1EfPKfS0_fEv13rocblas_fill_17rocblas_diagonal_iiT2_lPT3_llS6_llPT4_lli
                                        ; -- End function
	.section	.AMDGPU.csdata,"",@progbits
; Kernel info:
; codeLenInByte = 1360
; NumSgprs: 34
; NumVgprs: 19
; ScratchSize: 0
; MemoryBound: 0
; FloatMode: 240
; IeeeMode: 1
; LDSByteSize: 8192 bytes/workgroup (compile time only)
; SGPRBlocks: 4
; VGPRBlocks: 2
; NumSGPRsForWavesPerEU: 34
; NumVGPRsForWavesPerEU: 19
; Occupancy: 16
; WaveLimiterHint : 0
; COMPUTE_PGM_RSRC2:SCRATCH_EN: 0
; COMPUTE_PGM_RSRC2:USER_SGPR: 14
; COMPUTE_PGM_RSRC2:TRAP_HANDLER: 0
; COMPUTE_PGM_RSRC2:TGID_X_EN: 1
; COMPUTE_PGM_RSRC2:TGID_Y_EN: 0
; COMPUTE_PGM_RSRC2:TGID_Z_EN: 1
; COMPUTE_PGM_RSRC2:TIDIG_COMP_CNT: 1
	.section	.text._ZL23rocblas_trmm_rTx_kernelILi32ELb1EffKffEv13rocblas_fill_17rocblas_diagonal_iiT2_lPT3_llS5_llPT4_lli,"axG",@progbits,_ZL23rocblas_trmm_rTx_kernelILi32ELb1EffKffEv13rocblas_fill_17rocblas_diagonal_iiT2_lPT3_llS5_llPT4_lli,comdat
	.globl	_ZL23rocblas_trmm_rTx_kernelILi32ELb1EffKffEv13rocblas_fill_17rocblas_diagonal_iiT2_lPT3_llS5_llPT4_lli ; -- Begin function _ZL23rocblas_trmm_rTx_kernelILi32ELb1EffKffEv13rocblas_fill_17rocblas_diagonal_iiT2_lPT3_llS5_llPT4_lli
	.p2align	8
	.type	_ZL23rocblas_trmm_rTx_kernelILi32ELb1EffKffEv13rocblas_fill_17rocblas_diagonal_iiT2_lPT3_llS5_llPT4_lli,@function
_ZL23rocblas_trmm_rTx_kernelILi32ELb1EffKffEv13rocblas_fill_17rocblas_diagonal_iiT2_lPT3_llS5_llPT4_lli: ; @_ZL23rocblas_trmm_rTx_kernelILi32ELb1EffKffEv13rocblas_fill_17rocblas_diagonal_iiT2_lPT3_llS5_llPT4_lli
; %bb.0:
	s_load_b32 s3, s[0:1], 0x10
	s_waitcnt lgkmcnt(0)
	v_cmp_eq_f32_e64 s2, s3, 0
	s_delay_alu instid0(VALU_DEP_1)
	s_and_b32 vcc_lo, exec_lo, s2
	s_cbranch_vccnz .LBB35_15
; %bb.1:
	s_clause 0x1
	s_load_b128 s[4:7], s[0:1], 0x0
	s_load_b512 s[16:31], s[0:1], 0x20
	v_bfe_u32 v1, v0, 10, 10
	v_dual_mov_b32 v4, 0 :: v_dual_and_b32 v3, 0x3ff, v0
	s_delay_alu instid0(VALU_DEP_2) | instskip(NEXT) | instid1(VALU_DEP_1)
	v_lshlrev_b32_e32 v0, 5, v1
	v_add_lshl_u32 v2, v0, v3, 2
	v_lshlrev_b32_e32 v0, 2, v3
	ds_store_2addr_stride64_b32 v2, v4, v4 offset1:16
	s_waitcnt lgkmcnt(0)
	v_cmp_gt_i32_e32 vcc_lo, s7, v1
	v_cmp_gt_i32_e64 s2, s7, v3
	s_delay_alu instid0(VALU_DEP_1) | instskip(NEXT) | instid1(SALU_CYCLE_1)
	s_and_b32 s2, vcc_lo, s2
	s_and_saveexec_b32 s7, s2
	s_cbranch_execz .LBB35_3
; %bb.2:
	v_mad_u64_u32 v[4:5], null, v1, s18, 0
	s_mul_i32 s2, s15, s21
	s_mul_hi_u32 s9, s15, s20
	s_mul_i32 s8, s15, s20
	s_add_i32 s9, s9, s2
	s_delay_alu instid0(SALU_CYCLE_1) | instskip(NEXT) | instid1(VALU_DEP_1)
	s_lshl_b64 s[8:9], s[8:9], 2
	v_mad_u64_u32 v[6:7], null, v1, s19, v[5:6]
	s_add_u32 s2, s16, s8
	s_addc_u32 s8, s17, s9
	s_delay_alu instid0(VALU_DEP_1) | instskip(NEXT) | instid1(VALU_DEP_1)
	v_mov_b32_e32 v5, v6
	v_lshlrev_b64 v[4:5], 2, v[4:5]
	s_delay_alu instid0(VALU_DEP_1) | instskip(NEXT) | instid1(VALU_DEP_1)
	v_add_co_u32 v4, s2, s2, v4
	v_add_co_ci_u32_e64 v5, s2, s8, v5, s2
	s_delay_alu instid0(VALU_DEP_2) | instskip(NEXT) | instid1(VALU_DEP_1)
	v_add_co_u32 v4, s2, v4, v0
	v_add_co_ci_u32_e64 v5, s2, 0, v5, s2
	global_load_b32 v4, v[4:5], off
	s_waitcnt vmcnt(0)
	ds_store_b32 v2, v4
.LBB35_3:
	s_or_b32 exec_lo, exec_lo, s7
	s_add_i32 s2, s6, -1
	s_delay_alu instid0(SALU_CYCLE_1) | instskip(NEXT) | instid1(SALU_CYCLE_1)
	s_ashr_i32 s7, s2, 31
	s_lshr_b32 s7, s7, 27
	s_delay_alu instid0(SALU_CYCLE_1) | instskip(NEXT) | instid1(SALU_CYCLE_1)
	s_add_i32 s2, s2, s7
	s_and_b32 s7, s2, 0xffffffe0
	s_ashr_i32 s2, s2, 5
	s_sub_i32 s6, s6, s7
	s_cmp_ge_i32 s14, s2
	s_cselect_b32 s2, s6, 32
	s_lshl_b32 s6, s14, 5
	v_cmp_gt_i32_e64 s2, s2, v3
	s_ashr_i32 s7, s6, 31
	s_delay_alu instid0(VALU_DEP_1) | instskip(NEXT) | instid1(SALU_CYCLE_1)
	s_and_b32 s2, vcc_lo, s2
	s_and_saveexec_b32 s8, s2
	s_cbranch_execz .LBB35_5
; %bb.4:
	v_mad_u64_u32 v[4:5], null, v1, s24, 0
	s_mul_i32 s9, s15, s27
	s_mul_hi_u32 s11, s15, s26
	s_mul_i32 s10, s15, s26
	s_add_i32 s11, s11, s9
	s_delay_alu instid0(SALU_CYCLE_1) | instskip(NEXT) | instid1(VALU_DEP_1)
	s_lshl_b64 s[10:11], s[10:11], 2
	v_mad_u64_u32 v[6:7], null, v1, s25, v[5:6]
	s_add_u32 s9, s22, s10
	s_addc_u32 s12, s23, s11
	s_lshl_b64 s[10:11], s[6:7], 2
	s_delay_alu instid0(SALU_CYCLE_1) | instskip(SKIP_1) | instid1(VALU_DEP_1)
	s_add_u32 s9, s9, s10
	s_addc_u32 s10, s12, s11
	v_mov_b32_e32 v5, v6
	s_delay_alu instid0(VALU_DEP_1) | instskip(NEXT) | instid1(VALU_DEP_1)
	v_lshlrev_b64 v[4:5], 2, v[4:5]
	v_add_co_u32 v4, vcc_lo, s9, v4
	s_delay_alu instid0(VALU_DEP_2) | instskip(NEXT) | instid1(VALU_DEP_2)
	v_add_co_ci_u32_e32 v5, vcc_lo, s10, v5, vcc_lo
	v_add_co_u32 v4, vcc_lo, v4, v0
	s_delay_alu instid0(VALU_DEP_2)
	v_add_co_ci_u32_e32 v5, vcc_lo, 0, v5, vcc_lo
	global_load_b32 v4, v[4:5], off
	v_add_nc_u32_e32 v5, 0x1000, v2
	s_waitcnt vmcnt(0)
	ds_store_b32 v5, v4
.LBB35_5:
	s_or_b32 exec_lo, exec_lo, s8
	v_cmp_eq_u32_e32 vcc_lo, v1, v3
	s_cmpk_eq_i32 s5, 0x84
	s_cselect_b32 s5, -1, 0
	s_delay_alu instid0(SALU_CYCLE_1) | instskip(NEXT) | instid1(SALU_CYCLE_1)
	s_and_b32 s8, vcc_lo, s5
	s_and_saveexec_b32 s5, s8
	s_cbranch_execz .LBB35_7
; %bb.6:
	v_mov_b32_e32 v4, 1.0
	ds_store_b32 v2, v4
.LBB35_7:
	s_or_b32 exec_lo, exec_lo, s5
	s_cmpk_lg_i32 s4, 0x79
	s_cbranch_scc0 .LBB35_9
; %bb.8:
	v_cmp_lt_u32_e32 vcc_lo, v3, v1
	s_and_b32 s4, vcc_lo, exec_lo
	s_cbranch_execz .LBB35_10
	s_branch .LBB35_11
.LBB35_9:
	s_mov_b32 s4, 0
.LBB35_10:
	v_cmp_gt_u32_e32 vcc_lo, v3, v1
	s_and_not1_b32 s4, s4, exec_lo
	s_and_b32 s5, vcc_lo, exec_lo
	s_delay_alu instid0(SALU_CYCLE_1)
	s_or_b32 s4, s4, s5
.LBB35_11:
	s_delay_alu instid0(SALU_CYCLE_1)
	s_and_saveexec_b32 s5, s4
	s_cbranch_execz .LBB35_13
; %bb.12:
	v_mov_b32_e32 v3, 0
	ds_store_b32 v2, v3
.LBB35_13:
	s_or_b32 exec_lo, exec_lo, s5
	s_waitcnt lgkmcnt(0)
	s_barrier
	buffer_gl0_inv
	s_and_saveexec_b32 s4, s2
	s_cbranch_execz .LBB35_15
; %bb.14:
	v_add_nc_u32_e32 v14, 0x1000, v0
	v_lshlrev_b32_e32 v15, 2, v1
	s_load_b64 s[0:1], s[0:1], 0x60
	ds_load_2addr_b32 v[2:3], v14 offset1:32
	ds_load_2addr_b32 v[4:5], v15 offset1:32
	ds_load_2addr_b32 v[6:7], v14 offset0:64 offset1:96
	ds_load_2addr_b32 v[8:9], v15 offset0:64 offset1:96
	;; [unrolled: 1-line block ×4, first 2 shown]
	s_waitcnt lgkmcnt(0)
	v_fma_f32 v18, v2, v4, 0
	s_mul_i32 s1, s15, s1
	s_mul_hi_u32 s2, s15, s0
	s_mul_i32 s0, s15, s0
	s_add_i32 s1, s2, s1
	v_fmac_f32_e32 v18, v3, v5
	s_lshl_b64 s[0:1], s[0:1], 2
	s_delay_alu instid0(SALU_CYCLE_1) | instskip(SKIP_1) | instid1(VALU_DEP_1)
	s_add_u32 s2, s28, s0
	s_addc_u32 s4, s29, s1
	v_dual_fmac_f32 v18, v6, v8 :: v_dual_add_nc_u32 v17, 0xc00, v15
	ds_load_2addr_b32 v[2:3], v14 offset0:192 offset1:224
	ds_load_2addr_b32 v[4:5], v15 offset0:192 offset1:224
	v_add_nc_u32_e32 v14, 0x1400, v0
	v_add_nc_u32_e32 v16, 0x400, v15
	v_fmac_f32_e32 v18, v7, v9
	ds_load_2addr_b32 v[6:7], v14 offset1:32
	ds_load_2addr_b32 v[8:9], v16 offset1:32
	s_lshl_b64 s[0:1], s[6:7], 2
	v_fmac_f32_e32 v18, v10, v12
	s_add_u32 s0, s2, s0
	s_addc_u32 s1, s4, s1
	s_delay_alu instid0(VALU_DEP_1) | instskip(SKIP_4) | instid1(VALU_DEP_1)
	v_fmac_f32_e32 v18, v11, v13
	ds_load_2addr_b32 v[10:11], v14 offset0:64 offset1:96
	ds_load_2addr_b32 v[12:13], v16 offset0:64 offset1:96
	s_waitcnt lgkmcnt(4)
	v_fmac_f32_e32 v18, v2, v4
	v_fmac_f32_e32 v18, v3, v5
	ds_load_2addr_b32 v[2:3], v14 offset0:128 offset1:160
	ds_load_2addr_b32 v[4:5], v16 offset0:128 offset1:160
	s_waitcnt lgkmcnt(4)
	v_fmac_f32_e32 v18, v6, v8
	s_delay_alu instid0(VALU_DEP_1)
	v_fmac_f32_e32 v18, v7, v9
	ds_load_2addr_b32 v[6:7], v14 offset0:192 offset1:224
	ds_load_2addr_b32 v[8:9], v16 offset0:192 offset1:224
	v_add_nc_u32_e32 v14, 0x1800, v0
	v_add_nc_u32_e32 v16, 0x800, v15
	s_waitcnt lgkmcnt(4)
	v_fmac_f32_e32 v18, v10, v12
	s_delay_alu instid0(VALU_DEP_1) | instskip(SKIP_4) | instid1(VALU_DEP_1)
	v_fmac_f32_e32 v18, v11, v13
	ds_load_2addr_b32 v[10:11], v14 offset1:32
	ds_load_2addr_b32 v[12:13], v16 offset1:32
	s_waitcnt lgkmcnt(4)
	v_fmac_f32_e32 v18, v2, v4
	v_fmac_f32_e32 v18, v3, v5
	ds_load_2addr_b32 v[2:3], v14 offset0:64 offset1:96
	ds_load_2addr_b32 v[4:5], v16 offset0:64 offset1:96
	s_waitcnt lgkmcnt(4)
	v_fmac_f32_e32 v18, v6, v8
	s_delay_alu instid0(VALU_DEP_1) | instskip(SKIP_4) | instid1(VALU_DEP_1)
	v_fmac_f32_e32 v18, v7, v9
	ds_load_2addr_b32 v[6:7], v14 offset0:128 offset1:160
	ds_load_2addr_b32 v[8:9], v16 offset0:128 offset1:160
	s_waitcnt lgkmcnt(4)
	v_fmac_f32_e32 v18, v10, v12
	v_fmac_f32_e32 v18, v11, v13
	ds_load_2addr_b32 v[10:11], v14 offset0:192 offset1:224
	ds_load_2addr_b32 v[12:13], v16 offset0:192 offset1:224
	v_add_nc_u32_e32 v16, 0x1c00, v0
	s_waitcnt lgkmcnt(4)
	v_fmac_f32_e32 v18, v2, v4
	s_delay_alu instid0(VALU_DEP_1) | instskip(SKIP_4) | instid1(VALU_DEP_1)
	v_fmac_f32_e32 v18, v3, v5
	ds_load_2addr_b32 v[2:3], v16 offset1:32
	ds_load_2addr_b32 v[4:5], v17 offset1:32
	s_waitcnt lgkmcnt(4)
	v_fmac_f32_e32 v18, v6, v8
	v_fmac_f32_e32 v18, v7, v9
	ds_load_2addr_b32 v[6:7], v16 offset0:64 offset1:96
	ds_load_2addr_b32 v[8:9], v17 offset0:64 offset1:96
	s_waitcnt lgkmcnt(4)
	v_fmac_f32_e32 v18, v10, v12
	s_delay_alu instid0(VALU_DEP_1)
	v_fmac_f32_e32 v18, v11, v13
	ds_load_2addr_b32 v[12:13], v16 offset0:128 offset1:160
	ds_load_2addr_b32 v[14:15], v17 offset0:128 offset1:160
	v_mad_u64_u32 v[10:11], null, v1, s30, 0
	s_waitcnt lgkmcnt(4)
	v_fmac_f32_e32 v18, v2, v4
	s_delay_alu instid0(VALU_DEP_2) | instskip(NEXT) | instid1(VALU_DEP_2)
	v_mov_b32_e32 v4, v11
	v_fmac_f32_e32 v18, v3, v5
	ds_load_2addr_b32 v[2:3], v16 offset0:192 offset1:224
	ds_load_2addr_b32 v[16:17], v17 offset0:192 offset1:224
	s_waitcnt lgkmcnt(4)
	v_fmac_f32_e32 v18, v6, v8
	v_mad_u64_u32 v[5:6], null, v1, s31, v[4:5]
	s_delay_alu instid0(VALU_DEP_1) | instskip(SKIP_1) | instid1(VALU_DEP_1)
	v_dual_fmac_f32 v18, v7, v9 :: v_dual_mov_b32 v11, v5
	s_waitcnt lgkmcnt(2)
	v_fmac_f32_e32 v18, v12, v14
	s_delay_alu instid0(VALU_DEP_2) | instskip(NEXT) | instid1(VALU_DEP_2)
	v_lshlrev_b64 v[4:5], 2, v[10:11]
	v_fmac_f32_e32 v18, v13, v15
	s_delay_alu instid0(VALU_DEP_2) | instskip(SKIP_1) | instid1(VALU_DEP_2)
	v_add_co_u32 v1, vcc_lo, s0, v4
	s_waitcnt lgkmcnt(0)
	v_fmac_f32_e32 v18, v2, v16
	s_delay_alu instid0(VALU_DEP_4) | instskip(NEXT) | instid1(VALU_DEP_3)
	v_add_co_ci_u32_e32 v2, vcc_lo, s1, v5, vcc_lo
	v_add_co_u32 v0, vcc_lo, v1, v0
	s_delay_alu instid0(VALU_DEP_3) | instskip(NEXT) | instid1(VALU_DEP_3)
	v_fmac_f32_e32 v18, v3, v17
	v_add_co_ci_u32_e32 v1, vcc_lo, 0, v2, vcc_lo
	s_delay_alu instid0(VALU_DEP_2)
	v_mul_f32_e32 v3, s3, v18
	global_store_b32 v[0:1], v3, off
.LBB35_15:
	s_nop 0
	s_sendmsg sendmsg(MSG_DEALLOC_VGPRS)
	s_endpgm
	.section	.rodata,"a",@progbits
	.p2align	6, 0x0
	.amdhsa_kernel _ZL23rocblas_trmm_rTx_kernelILi32ELb1EffKffEv13rocblas_fill_17rocblas_diagonal_iiT2_lPT3_llS5_llPT4_lli
		.amdhsa_group_segment_fixed_size 8192
		.amdhsa_private_segment_fixed_size 0
		.amdhsa_kernarg_size 108
		.amdhsa_user_sgpr_count 14
		.amdhsa_user_sgpr_dispatch_ptr 0
		.amdhsa_user_sgpr_queue_ptr 0
		.amdhsa_user_sgpr_kernarg_segment_ptr 1
		.amdhsa_user_sgpr_dispatch_id 0
		.amdhsa_user_sgpr_private_segment_size 0
		.amdhsa_wavefront_size32 1
		.amdhsa_uses_dynamic_stack 0
		.amdhsa_enable_private_segment 0
		.amdhsa_system_sgpr_workgroup_id_x 1
		.amdhsa_system_sgpr_workgroup_id_y 0
		.amdhsa_system_sgpr_workgroup_id_z 1
		.amdhsa_system_sgpr_workgroup_info 0
		.amdhsa_system_vgpr_workitem_id 1
		.amdhsa_next_free_vgpr 19
		.amdhsa_next_free_sgpr 32
		.amdhsa_reserve_vcc 1
		.amdhsa_float_round_mode_32 0
		.amdhsa_float_round_mode_16_64 0
		.amdhsa_float_denorm_mode_32 3
		.amdhsa_float_denorm_mode_16_64 3
		.amdhsa_dx10_clamp 1
		.amdhsa_ieee_mode 1
		.amdhsa_fp16_overflow 0
		.amdhsa_workgroup_processor_mode 1
		.amdhsa_memory_ordered 1
		.amdhsa_forward_progress 0
		.amdhsa_shared_vgpr_count 0
		.amdhsa_exception_fp_ieee_invalid_op 0
		.amdhsa_exception_fp_denorm_src 0
		.amdhsa_exception_fp_ieee_div_zero 0
		.amdhsa_exception_fp_ieee_overflow 0
		.amdhsa_exception_fp_ieee_underflow 0
		.amdhsa_exception_fp_ieee_inexact 0
		.amdhsa_exception_int_div_zero 0
	.end_amdhsa_kernel
	.section	.text._ZL23rocblas_trmm_rTx_kernelILi32ELb1EffKffEv13rocblas_fill_17rocblas_diagonal_iiT2_lPT3_llS5_llPT4_lli,"axG",@progbits,_ZL23rocblas_trmm_rTx_kernelILi32ELb1EffKffEv13rocblas_fill_17rocblas_diagonal_iiT2_lPT3_llS5_llPT4_lli,comdat
.Lfunc_end35:
	.size	_ZL23rocblas_trmm_rTx_kernelILi32ELb1EffKffEv13rocblas_fill_17rocblas_diagonal_iiT2_lPT3_llS5_llPT4_lli, .Lfunc_end35-_ZL23rocblas_trmm_rTx_kernelILi32ELb1EffKffEv13rocblas_fill_17rocblas_diagonal_iiT2_lPT3_llS5_llPT4_lli
                                        ; -- End function
	.section	.AMDGPU.csdata,"",@progbits
; Kernel info:
; codeLenInByte = 1316
; NumSgprs: 34
; NumVgprs: 19
; ScratchSize: 0
; MemoryBound: 0
; FloatMode: 240
; IeeeMode: 1
; LDSByteSize: 8192 bytes/workgroup (compile time only)
; SGPRBlocks: 4
; VGPRBlocks: 2
; NumSGPRsForWavesPerEU: 34
; NumVGPRsForWavesPerEU: 19
; Occupancy: 16
; WaveLimiterHint : 0
; COMPUTE_PGM_RSRC2:SCRATCH_EN: 0
; COMPUTE_PGM_RSRC2:USER_SGPR: 14
; COMPUTE_PGM_RSRC2:TRAP_HANDLER: 0
; COMPUTE_PGM_RSRC2:TGID_X_EN: 1
; COMPUTE_PGM_RSRC2:TGID_Y_EN: 0
; COMPUTE_PGM_RSRC2:TGID_Z_EN: 1
; COMPUTE_PGM_RSRC2:TIDIG_COMP_CNT: 1
	.section	.text._ZL30rocblas_trmm_outofplace_kernelIdLi32ELi2ELb1ELb0ELb0ELb0EPKdS0_dEv17rocblas_diagonal_iiT6_lPT7_lllS5_lllPT8_llli,"axG",@progbits,_ZL30rocblas_trmm_outofplace_kernelIdLi32ELi2ELb1ELb0ELb0ELb0EPKdS0_dEv17rocblas_diagonal_iiT6_lPT7_lllS5_lllPT8_llli,comdat
	.globl	_ZL30rocblas_trmm_outofplace_kernelIdLi32ELi2ELb1ELb0ELb0ELb0EPKdS0_dEv17rocblas_diagonal_iiT6_lPT7_lllS5_lllPT8_llli ; -- Begin function _ZL30rocblas_trmm_outofplace_kernelIdLi32ELi2ELb1ELb0ELb0ELb0EPKdS0_dEv17rocblas_diagonal_iiT6_lPT7_lllS5_lllPT8_llli
	.p2align	8
	.type	_ZL30rocblas_trmm_outofplace_kernelIdLi32ELi2ELb1ELb0ELb0ELb0EPKdS0_dEv17rocblas_diagonal_iiT6_lPT7_lllS5_lllPT8_llli,@function
_ZL30rocblas_trmm_outofplace_kernelIdLi32ELi2ELb1ELb0ELb0ELb0EPKdS0_dEv17rocblas_diagonal_iiT6_lPT7_lllS5_lllPT8_llli: ; @_ZL30rocblas_trmm_outofplace_kernelIdLi32ELi2ELb1ELb0ELb0ELb0EPKdS0_dEv17rocblas_diagonal_iiT6_lPT7_lllS5_lllPT8_llli
; %bb.0:
	s_load_b512 s[16:31], s[0:1], 0x10
	s_waitcnt lgkmcnt(0)
	s_mul_i32 s2, s15, s19
	s_mul_hi_u32 s3, s15, s18
	s_delay_alu instid0(SALU_CYCLE_1) | instskip(SKIP_1) | instid1(SALU_CYCLE_1)
	s_add_i32 s3, s3, s2
	s_mul_i32 s2, s15, s18
	s_lshl_b64 s[2:3], s[2:3], 3
	s_delay_alu instid0(SALU_CYCLE_1) | instskip(SKIP_4) | instid1(VALU_DEP_1)
	s_add_u32 s2, s16, s2
	s_addc_u32 s3, s17, s3
	s_load_b64 s[34:35], s[2:3], 0x0
	s_waitcnt lgkmcnt(0)
	v_cmp_eq_f64_e64 s2, s[34:35], 0
	s_and_b32 vcc_lo, exec_lo, s2
	s_cbranch_vccnz .LBB36_66
; %bb.1:
	s_load_b128 s[8:11], s[0:1], 0x0
	s_waitcnt lgkmcnt(0)
	s_add_i32 s2, s10, -1
	s_delay_alu instid0(SALU_CYCLE_1) | instskip(NEXT) | instid1(SALU_CYCLE_1)
	s_ashr_i32 s3, s2, 31
	s_lshr_b32 s3, s3, 27
	s_delay_alu instid0(SALU_CYCLE_1) | instskip(NEXT) | instid1(SALU_CYCLE_1)
	s_add_i32 s2, s2, s3
	s_ashr_i32 s11, s2, 5
	s_delay_alu instid0(SALU_CYCLE_1)
	s_cmp_gt_i32 s14, s11
	s_cbranch_scc1 .LBB36_66
; %bb.2:
	s_clause 0x1
	s_load_b256 s[36:43], s[0:1], 0x50
	s_load_b128 s[16:19], s[0:1], 0x70
	s_mul_i32 s3, s15, s27
	s_mul_hi_u32 s4, s15, s26
	s_mul_i32 s2, s15, s26
	s_load_b32 s26, s[0:1], 0x8c
	s_add_i32 s3, s4, s3
	v_bfe_u32 v1, v0, 10, 10
	s_lshl_b64 s[2:3], s[2:3], 3
	s_delay_alu instid0(SALU_CYCLE_1)
	s_add_u32 s4, s20, s2
	s_addc_u32 s5, s21, s3
	s_lshl_b64 s[2:3], s[22:23], 3
	v_mad_u64_u32 v[8:9], null, v1, s24, 0
	s_add_u32 s4, s4, s2
	s_addc_u32 s5, s5, s3
	s_waitcnt lgkmcnt(0)
	s_mul_i32 s1, s15, s39
	s_mul_hi_u32 s2, s15, s38
	s_mul_i32 s0, s15, s38
	s_add_i32 s1, s2, s1
	v_mov_b32_e32 v2, v9
	s_lshl_b64 s[0:1], s[0:1], 3
	s_mul_i32 s3, s15, s19
	s_add_u32 s7, s28, s0
	s_addc_u32 s12, s29, s1
	s_lshl_b64 s[0:1], s[30:31], 3
	s_mul_hi_u32 s6, s15, s18
	s_add_u32 s7, s7, s0
	s_mul_i32 s2, s15, s18
	s_addc_u32 s12, s12, s1
	s_add_i32 s3, s6, s3
	v_mad_u64_u32 v[4:5], null, v1, s25, v[2:3]
	v_and_b32_e32 v3, 0x3ff, v0
	s_lshl_b64 s[0:1], s[2:3], 3
	v_mov_b32_e32 v7, 0
	s_add_u32 s2, s40, s0
	s_addc_u32 s3, s41, s1
	v_lshlrev_b32_e32 v0, 3, v3
	s_lshl_b64 s[0:1], s[42:43], 3
	v_dual_mov_b32 v9, v4 :: v_dual_mov_b32 v4, v7
	s_add_u32 s15, s2, s0
	s_addc_u32 s27, s3, s1
	s_lshl_b32 s28, s13, 5
	s_delay_alu instid0(VALU_DEP_1) | instskip(SKIP_3) | instid1(VALU_DEP_2)
	v_lshlrev_b64 v[11:12], 3, v[8:9]
	v_dual_mov_b32 v2, v7 :: v_dual_add_nc_u32 v5, s28, v3
	s_cmp_gt_i32 s13, -1
	v_add_co_u32 v33, s0, s7, v0
	v_ashrrev_i32_e32 v6, 31, v5
	s_delay_alu instid0(VALU_DEP_4) | instskip(SKIP_1) | instid1(VALU_DEP_3)
	v_add_co_u32 v8, vcc_lo, s4, v11
	v_add_co_ci_u32_e32 v12, vcc_lo, s5, v12, vcc_lo
	v_lshlrev_b64 v[9:10], 3, v[5:6]
	s_cselect_b32 s29, -1, 0
	s_cmpk_eq_i32 s8, 0x84
	v_add_nc_u32_e32 v15, 16, v5
	v_add_co_ci_u32_e64 v34, null, s12, 0, s0
	s_delay_alu instid0(VALU_DEP_3) | instskip(SKIP_4) | instid1(VALU_DEP_4)
	v_add_co_u32 v11, vcc_lo, v8, v9
	v_lshlrev_b32_e32 v8, 8, v1
	v_add_co_ci_u32_e32 v12, vcc_lo, v12, v10, vcc_lo
	v_add_co_u32 v13, vcc_lo, v5, 16
	v_add_co_ci_u32_e32 v14, vcc_lo, 0, v6, vcc_lo
	v_add_nc_u32_e32 v35, 0x2000, v8
	s_cselect_b32 s30, -1, 0
	s_ashr_i32 s13, s9, 31
	s_mov_b32 s12, s9
	v_cmp_le_i32_e64 s0, s9, v5
	v_cmp_le_i64_e64 s1, s[12:13], v[13:14]
	v_add_nc_u32_e32 v36, v8, v0
	v_dual_mov_b32 v8, 0x3ff00000 :: v_dual_add_nc_u32 v37, v35, v0
	v_cmp_gt_i32_e64 s2, s9, v5
	v_cmp_gt_i32_e64 s3, s9, v15
	v_ashrrev_i32_e32 v16, 31, v15
	s_ashr_i32 s31, s10, 31
	s_lshl_b64 s[18:19], s[24:25], 8
	s_lshl_b64 s[20:21], s[24:25], 4
	s_add_u32 s22, s9, -16
	s_addc_u32 s23, s13, -1
	s_lshl_b64 s[24:25], s[36:37], 4
	s_branch .LBB36_4
.LBB36_3:                               ;   in Loop: Header=BB36_4 Depth=1
	s_or_b32 exec_lo, exec_lo, s4
	s_add_i32 s14, s26, s14
	s_delay_alu instid0(SALU_CYCLE_1)
	s_cmp_le_i32 s14, s11
	s_cbranch_scc0 .LBB36_66
.LBB36_4:                               ; =>This Loop Header: Depth=1
                                        ;     Child Loop BB36_6 Depth 2
                                        ;       Child Loop BB36_55 Depth 3
	v_mov_b32_e32 v31, 0
	v_mov_b32_e32 v32, 0
	v_lshl_add_u32 v38, s14, 5, v1
	s_delay_alu instid0(VALU_DEP_3) | instskip(SKIP_1) | instid1(VALU_DEP_4)
	v_mov_b32_e32 v29, v31
	v_mov_b32_e32 v21, v31
	v_dual_mov_b32 v17, v31 :: v_dual_mov_b32 v18, v32
	s_delay_alu instid0(VALU_DEP_4)
	v_ashrrev_i32_e32 v39, 31, v38
	v_mov_b32_e32 v30, v32
	v_mov_b32_e32 v22, v32
	s_and_not1_b32 vcc_lo, exec_lo, s29
	s_cbranch_vccnz .LBB36_58
; %bb.5:                                ;   in Loop: Header=BB36_4 Depth=1
	v_mul_lo_u32 v17, v39, s36
	v_mul_lo_u32 v18, v38, s37
	v_mad_u64_u32 v[19:20], null, v38, s36, 0
	v_sub_co_u32 v21, vcc_lo, s10, v38
	v_sub_co_ci_u32_e32 v22, vcc_lo, s31, v39, vcc_lo
	v_dual_mov_b32 v24, v2 :: v_dual_mov_b32 v23, v1
	s_delay_alu instid0(VALU_DEP_4)
	v_add3_u32 v20, v20, v18, v17
	v_mov_b32_e32 v17, 0
	v_mov_b32_e32 v18, 0
	v_cmp_lt_i64_e32 vcc_lo, 0, v[21:22]
	v_cmp_lt_i64_e64 s4, 16, v[21:22]
	v_lshlrev_b64 v[19:20], 3, v[19:20]
	v_dual_mov_b32 v26, v4 :: v_dual_mov_b32 v25, v3
	v_dual_mov_b32 v22, v18 :: v_dual_mov_b32 v21, v17
	v_dual_mov_b32 v30, v18 :: v_dual_mov_b32 v29, v17
	s_delay_alu instid0(VALU_DEP_4)
	v_add_co_u32 v19, s5, v33, v19
	v_dual_mov_b32 v32, v18 :: v_dual_mov_b32 v31, v17
	v_add_co_ci_u32_e64 v20, s5, v34, v20, s5
	v_dual_mov_b32 v28, v12 :: v_dual_mov_b32 v27, v11
	s_mov_b32 s9, 0
.LBB36_6:                               ;   Parent Loop BB36_4 Depth=1
                                        ; =>  This Loop Header: Depth=2
                                        ;       Child Loop BB36_55 Depth 3
	v_cmp_le_i64_e64 s6, s[12:13], v[23:24]
	v_cmp_eq_u64_e64 s7, v[23:24], v[5:6]
	v_cmp_gt_i64_e64 s5, v[23:24], v[5:6]
	s_delay_alu instid0(VALU_DEP_2) | instskip(NEXT) | instid1(VALU_DEP_1)
	s_and_b32 s38, s30, s7
	s_or_b32 s7, s6, s5
	s_delay_alu instid0(SALU_CYCLE_1) | instskip(NEXT) | instid1(SALU_CYCLE_1)
	s_or_b32 s7, s7, s38
	s_or_b32 s7, s0, s7
	s_delay_alu instid0(SALU_CYCLE_1) | instskip(NEXT) | instid1(SALU_CYCLE_1)
	s_xor_b32 s7, s7, -1
	s_and_saveexec_b32 s8, s7
	s_delay_alu instid0(SALU_CYCLE_1)
	s_xor_b32 s7, exec_lo, s8
	s_cbranch_execz .LBB36_8
; %bb.7:                                ;   in Loop: Header=BB36_6 Depth=2
	global_load_b64 v[40:41], v[27:28], off
	s_waitcnt vmcnt(0)
	ds_store_b64 v36, v[40:41]
.LBB36_8:                               ;   in Loop: Header=BB36_6 Depth=2
	s_or_saveexec_b32 s7, s7
	s_xor_b32 s33, s38, -1
	s_xor_b32 exec_lo, exec_lo, s7
	s_cbranch_execz .LBB36_14
; %bb.9:                                ;   in Loop: Header=BB36_6 Depth=2
	s_and_saveexec_b32 s8, s33
	s_delay_alu instid0(SALU_CYCLE_1)
	s_xor_b32 s8, exec_lo, s8
	s_cbranch_execz .LBB36_11
; %bb.10:                               ;   in Loop: Header=BB36_6 Depth=2
	v_mov_b32_e32 v40, v7
	v_mov_b32_e32 v41, v7
	ds_store_b64 v36, v[40:41]
.LBB36_11:                              ;   in Loop: Header=BB36_6 Depth=2
	s_and_not1_saveexec_b32 s8, s8
	s_cbranch_execz .LBB36_13
; %bb.12:                               ;   in Loop: Header=BB36_6 Depth=2
	ds_store_b64 v36, v[7:8]
.LBB36_13:                              ;   in Loop: Header=BB36_6 Depth=2
	s_or_b32 exec_lo, exec_lo, s8
.LBB36_14:                              ;   in Loop: Header=BB36_6 Depth=2
	s_delay_alu instid0(SALU_CYCLE_1) | instskip(SKIP_2) | instid1(VALU_DEP_2)
	s_or_b32 exec_lo, exec_lo, s7
	v_cmp_eq_u64_e64 s7, v[13:14], v[23:24]
	v_cmp_lt_i64_e64 s8, v[13:14], v[23:24]
	s_and_b32 s7, s30, s7
	s_delay_alu instid0(VALU_DEP_1) | instskip(NEXT) | instid1(SALU_CYCLE_1)
	s_or_b32 s6, s6, s8
	s_or_b32 s6, s6, s7
	s_delay_alu instid0(SALU_CYCLE_1) | instskip(NEXT) | instid1(SALU_CYCLE_1)
	s_or_b32 s6, s1, s6
	s_xor_b32 s6, s6, -1
	s_delay_alu instid0(SALU_CYCLE_1) | instskip(NEXT) | instid1(SALU_CYCLE_1)
	s_and_saveexec_b32 s8, s6
	s_xor_b32 s6, exec_lo, s8
	s_cbranch_execz .LBB36_16
; %bb.15:                               ;   in Loop: Header=BB36_6 Depth=2
	global_load_b64 v[40:41], v[27:28], off offset:128
	s_waitcnt vmcnt(0)
	ds_store_b64 v36, v[40:41] offset:128
.LBB36_16:                              ;   in Loop: Header=BB36_6 Depth=2
	s_and_not1_saveexec_b32 s6, s6
	s_cbranch_execz .LBB36_22
; %bb.17:                               ;   in Loop: Header=BB36_6 Depth=2
	s_xor_b32 s7, s7, -1
	s_delay_alu instid0(SALU_CYCLE_1) | instskip(NEXT) | instid1(SALU_CYCLE_1)
	s_and_saveexec_b32 s8, s7
	s_xor_b32 s7, exec_lo, s8
	s_cbranch_execz .LBB36_19
; %bb.18:                               ;   in Loop: Header=BB36_6 Depth=2
	v_mov_b32_e32 v40, v7
	v_mov_b32_e32 v41, v7
	ds_store_b64 v36, v[40:41] offset:128
.LBB36_19:                              ;   in Loop: Header=BB36_6 Depth=2
	s_and_not1_saveexec_b32 s7, s7
	s_cbranch_execz .LBB36_21
; %bb.20:                               ;   in Loop: Header=BB36_6 Depth=2
	ds_store_b64 v36, v[7:8] offset:128
.LBB36_21:                              ;   in Loop: Header=BB36_6 Depth=2
	s_or_b32 exec_lo, exec_lo, s7
.LBB36_22:                              ;   in Loop: Header=BB36_6 Depth=2
	s_delay_alu instid0(SALU_CYCLE_1) | instskip(SKIP_1) | instid1(VALU_DEP_1)
	s_or_b32 exec_lo, exec_lo, s6
	v_add_co_u32 v40, s6, v23, 16
	v_add_co_ci_u32_e64 v41, s6, 0, v24, s6
	s_delay_alu instid0(VALU_DEP_1) | instskip(SKIP_2) | instid1(VALU_DEP_2)
	v_cmp_le_i64_e64 s6, s[12:13], v[40:41]
	v_cmp_eq_u64_e64 s7, v[40:41], v[5:6]
	v_cmp_gt_i64_e64 s8, v[40:41], v[5:6]
	s_and_b32 s39, s30, s7
	s_delay_alu instid0(VALU_DEP_1) | instskip(NEXT) | instid1(SALU_CYCLE_1)
	s_or_b32 s7, s6, s8
	s_or_b32 s7, s7, s39
	s_delay_alu instid0(SALU_CYCLE_1) | instskip(NEXT) | instid1(SALU_CYCLE_1)
	s_or_b32 s7, s0, s7
	s_xor_b32 s7, s7, -1
	s_delay_alu instid0(SALU_CYCLE_1) | instskip(NEXT) | instid1(SALU_CYCLE_1)
	s_and_saveexec_b32 s8, s7
	s_xor_b32 s8, exec_lo, s8
	s_cbranch_execz .LBB36_24
; %bb.23:                               ;   in Loop: Header=BB36_6 Depth=2
	s_lshl_b64 s[40:41], s[20:21], 3
	s_delay_alu instid0(SALU_CYCLE_1) | instskip(NEXT) | instid1(VALU_DEP_1)
	v_add_co_u32 v40, s7, v27, s40
	v_add_co_ci_u32_e64 v41, s7, s41, v28, s7
	global_load_b64 v[40:41], v[40:41], off
	s_waitcnt vmcnt(0)
	ds_store_b64 v36, v[40:41] offset:4096
.LBB36_24:                              ;   in Loop: Header=BB36_6 Depth=2
	s_and_not1_saveexec_b32 s7, s8
	s_cbranch_execz .LBB36_30
; %bb.25:                               ;   in Loop: Header=BB36_6 Depth=2
	s_xor_b32 s8, s39, -1
	s_delay_alu instid0(SALU_CYCLE_1) | instskip(NEXT) | instid1(SALU_CYCLE_1)
	s_and_saveexec_b32 s39, s8
	s_xor_b32 s8, exec_lo, s39
	s_cbranch_execz .LBB36_27
; %bb.26:                               ;   in Loop: Header=BB36_6 Depth=2
	v_mov_b32_e32 v40, v7
	v_mov_b32_e32 v41, v7
	ds_store_b64 v36, v[40:41] offset:4096
.LBB36_27:                              ;   in Loop: Header=BB36_6 Depth=2
	s_and_not1_saveexec_b32 s8, s8
	s_cbranch_execz .LBB36_29
; %bb.28:                               ;   in Loop: Header=BB36_6 Depth=2
	ds_store_b64 v36, v[7:8] offset:4096
.LBB36_29:                              ;   in Loop: Header=BB36_6 Depth=2
	s_or_b32 exec_lo, exec_lo, s8
.LBB36_30:                              ;   in Loop: Header=BB36_6 Depth=2
	s_delay_alu instid0(SALU_CYCLE_1) | instskip(SKIP_1) | instid1(SALU_CYCLE_1)
	s_or_b32 exec_lo, exec_lo, s7
	s_or_b32 s5, s6, s5
	s_or_b32 s5, s5, s38
	s_delay_alu instid0(SALU_CYCLE_1) | instskip(NEXT) | instid1(SALU_CYCLE_1)
	s_or_b32 s5, s1, s5
	s_xor_b32 s5, s5, -1
	s_delay_alu instid0(SALU_CYCLE_1) | instskip(NEXT) | instid1(SALU_CYCLE_1)
	s_and_saveexec_b32 s6, s5
	s_xor_b32 s6, exec_lo, s6
	s_cbranch_execz .LBB36_32
; %bb.31:                               ;   in Loop: Header=BB36_6 Depth=2
	s_lshl_b64 s[38:39], s[20:21], 3
	s_delay_alu instid0(SALU_CYCLE_1) | instskip(NEXT) | instid1(VALU_DEP_1)
	v_add_co_u32 v40, s5, v27, s38
	v_add_co_ci_u32_e64 v41, s5, s39, v28, s5
	global_load_b64 v[40:41], v[40:41], off offset:128
	s_waitcnt vmcnt(0)
	ds_store_b64 v36, v[40:41] offset:4224
.LBB36_32:                              ;   in Loop: Header=BB36_6 Depth=2
	s_and_not1_saveexec_b32 s5, s6
	s_cbranch_execz .LBB36_38
; %bb.33:                               ;   in Loop: Header=BB36_6 Depth=2
	s_and_saveexec_b32 s6, s33
	s_delay_alu instid0(SALU_CYCLE_1)
	s_xor_b32 s6, exec_lo, s6
	s_cbranch_execz .LBB36_35
; %bb.34:                               ;   in Loop: Header=BB36_6 Depth=2
	v_mov_b32_e32 v40, v7
	v_mov_b32_e32 v41, v7
	ds_store_b64 v36, v[40:41] offset:4224
.LBB36_35:                              ;   in Loop: Header=BB36_6 Depth=2
	s_and_not1_saveexec_b32 s6, s6
	s_cbranch_execz .LBB36_37
; %bb.36:                               ;   in Loop: Header=BB36_6 Depth=2
	ds_store_b64 v36, v[7:8] offset:4224
.LBB36_37:                              ;   in Loop: Header=BB36_6 Depth=2
	s_or_b32 exec_lo, exec_lo, s6
.LBB36_38:                              ;   in Loop: Header=BB36_6 Depth=2
	s_delay_alu instid0(SALU_CYCLE_1) | instskip(SKIP_1) | instid1(VALU_DEP_1)
	s_or_b32 exec_lo, exec_lo, s5
	v_cmp_gt_i64_e64 s6, s[12:13], v[25:26]
	s_and_b32 s5, vcc_lo, s6
	s_delay_alu instid0(SALU_CYCLE_1) | instskip(NEXT) | instid1(SALU_CYCLE_1)
	s_xor_b32 s5, s5, -1
	s_and_saveexec_b32 s7, s5
	s_delay_alu instid0(SALU_CYCLE_1)
	s_xor_b32 s5, exec_lo, s7
	s_cbranch_execz .LBB36_40
; %bb.39:                               ;   in Loop: Header=BB36_6 Depth=2
	v_mov_b32_e32 v40, v7
	v_mov_b32_e32 v41, v7
	ds_store_b64 v37, v[40:41]
.LBB36_40:                              ;   in Loop: Header=BB36_6 Depth=2
	s_and_not1_saveexec_b32 s5, s5
	s_cbranch_execz .LBB36_42
; %bb.41:                               ;   in Loop: Header=BB36_6 Depth=2
	global_load_b64 v[40:41], v[19:20], off
	s_waitcnt vmcnt(0)
	ds_store_b64 v37, v[40:41]
.LBB36_42:                              ;   in Loop: Header=BB36_6 Depth=2
	s_or_b32 exec_lo, exec_lo, s5
	v_cmp_gt_i64_e64 s5, s[22:23], v[25:26]
	s_delay_alu instid0(VALU_DEP_1) | instskip(NEXT) | instid1(SALU_CYCLE_1)
	s_and_b32 s7, vcc_lo, s5
	s_xor_b32 s7, s7, -1
	s_delay_alu instid0(SALU_CYCLE_1) | instskip(NEXT) | instid1(SALU_CYCLE_1)
	s_and_saveexec_b32 s8, s7
	s_xor_b32 s7, exec_lo, s8
	s_cbranch_execz .LBB36_44
; %bb.43:                               ;   in Loop: Header=BB36_6 Depth=2
	v_mov_b32_e32 v40, v7
	v_mov_b32_e32 v41, v7
	ds_store_b64 v37, v[40:41] offset:128
.LBB36_44:                              ;   in Loop: Header=BB36_6 Depth=2
	s_and_not1_saveexec_b32 s7, s7
	s_cbranch_execz .LBB36_46
; %bb.45:                               ;   in Loop: Header=BB36_6 Depth=2
	global_load_b64 v[40:41], v[19:20], off offset:128
	s_waitcnt vmcnt(0)
	ds_store_b64 v37, v[40:41] offset:128
.LBB36_46:                              ;   in Loop: Header=BB36_6 Depth=2
	s_or_b32 exec_lo, exec_lo, s7
	s_and_b32 s6, s4, s6
	s_delay_alu instid0(SALU_CYCLE_1) | instskip(NEXT) | instid1(SALU_CYCLE_1)
	s_xor_b32 s6, s6, -1
	s_and_saveexec_b32 s7, s6
	s_delay_alu instid0(SALU_CYCLE_1)
	s_xor_b32 s6, exec_lo, s7
	s_cbranch_execz .LBB36_48
; %bb.47:                               ;   in Loop: Header=BB36_6 Depth=2
	v_mov_b32_e32 v40, v7
	v_mov_b32_e32 v41, v7
	ds_store_b64 v37, v[40:41] offset:4096
.LBB36_48:                              ;   in Loop: Header=BB36_6 Depth=2
	s_and_not1_saveexec_b32 s7, s6
	s_cbranch_execz .LBB36_50
; %bb.49:                               ;   in Loop: Header=BB36_6 Depth=2
	s_lshl_b64 s[38:39], s[24:25], 3
	s_delay_alu instid0(SALU_CYCLE_1) | instskip(NEXT) | instid1(VALU_DEP_1)
	v_add_co_u32 v40, s6, v19, s38
	v_add_co_ci_u32_e64 v41, s6, s39, v20, s6
	global_load_b64 v[40:41], v[40:41], off
	s_waitcnt vmcnt(0)
	ds_store_b64 v37, v[40:41] offset:4096
.LBB36_50:                              ;   in Loop: Header=BB36_6 Depth=2
	s_or_b32 exec_lo, exec_lo, s7
	s_and_b32 s5, s4, s5
	s_delay_alu instid0(SALU_CYCLE_1) | instskip(NEXT) | instid1(SALU_CYCLE_1)
	s_xor_b32 s5, s5, -1
	s_and_saveexec_b32 s6, s5
	s_delay_alu instid0(SALU_CYCLE_1)
	s_xor_b32 s5, exec_lo, s6
	s_cbranch_execz .LBB36_52
; %bb.51:                               ;   in Loop: Header=BB36_6 Depth=2
	v_mov_b32_e32 v40, v7
	v_mov_b32_e32 v41, v7
	ds_store_b64 v37, v[40:41] offset:4224
.LBB36_52:                              ;   in Loop: Header=BB36_6 Depth=2
	s_and_not1_saveexec_b32 s6, s5
	s_cbranch_execz .LBB36_54
; %bb.53:                               ;   in Loop: Header=BB36_6 Depth=2
	s_lshl_b64 s[38:39], s[24:25], 3
	s_delay_alu instid0(SALU_CYCLE_1) | instskip(NEXT) | instid1(VALU_DEP_1)
	v_add_co_u32 v40, s5, v19, s38
	v_add_co_ci_u32_e64 v41, s5, s39, v20, s5
	global_load_b64 v[40:41], v[40:41], off offset:128
	s_waitcnt vmcnt(0)
	ds_store_b64 v37, v[40:41] offset:4224
.LBB36_54:                              ;   in Loop: Header=BB36_6 Depth=2
	s_or_b32 exec_lo, exec_lo, s6
	v_mov_b32_e32 v40, v0
	s_mov_b32 s5, 0
	s_waitcnt lgkmcnt(0)
	s_waitcnt_vscnt null, 0x0
	s_barrier
	buffer_gl0_inv
.LBB36_55:                              ;   Parent Loop BB36_4 Depth=1
                                        ;     Parent Loop BB36_6 Depth=2
                                        ; =>    This Inner Loop Header: Depth=3
	v_add_nc_u32_e32 v63, s5, v35
	s_add_i32 s5, s5, 64
	ds_load_2addr_b64 v[41:44], v40 offset1:16
	ds_load_b128 v[45:48], v63
	ds_load_b128 v[49:52], v63 offset:4096
	ds_load_b128 v[53:56], v63 offset:16
	;; [unrolled: 1-line block ×3, first 2 shown]
	s_cmpk_lg_i32 s5, 0x100
	s_waitcnt lgkmcnt(3)
	v_fma_f64 v[61:62], v[41:42], v[45:46], v[31:32]
	v_fma_f64 v[45:46], v[43:44], v[45:46], v[29:30]
	s_waitcnt lgkmcnt(2)
	v_fma_f64 v[21:22], v[41:42], v[49:50], v[21:22]
	v_fma_f64 v[17:18], v[43:44], v[49:50], v[17:18]
	ds_load_2addr_b64 v[29:32], v40 offset0:32 offset1:48
	s_waitcnt lgkmcnt(0)
	v_fma_f64 v[41:42], v[29:30], v[47:48], v[61:62]
	v_fma_f64 v[43:44], v[31:32], v[47:48], v[45:46]
	v_fma_f64 v[21:22], v[29:30], v[51:52], v[21:22]
	v_fma_f64 v[17:18], v[31:32], v[51:52], v[17:18]
	ds_load_2addr_b64 v[29:32], v40 offset0:64 offset1:80
	s_waitcnt lgkmcnt(0)
	v_fma_f64 v[41:42], v[29:30], v[53:54], v[41:42]
	v_fma_f64 v[43:44], v[31:32], v[53:54], v[43:44]
	;; [unrolled: 6-line block ×3, first 2 shown]
	v_fma_f64 v[21:22], v[29:30], v[59:60], v[21:22]
	v_fma_f64 v[17:18], v[31:32], v[59:60], v[17:18]
	ds_load_2addr_b64 v[29:32], v40 offset0:128 offset1:144
	ds_load_b128 v[41:44], v63 offset:32
	ds_load_b128 v[45:48], v63 offset:4128
	;; [unrolled: 1-line block ×4, first 2 shown]
	s_waitcnt lgkmcnt(3)
	v_fma_f64 v[57:58], v[29:30], v[41:42], v[57:58]
	v_fma_f64 v[41:42], v[31:32], v[41:42], v[61:62]
	s_waitcnt lgkmcnt(2)
	v_fma_f64 v[21:22], v[29:30], v[45:46], v[21:22]
	v_fma_f64 v[17:18], v[31:32], v[45:46], v[17:18]
	ds_load_2addr_b64 v[29:32], v40 offset0:160 offset1:176
	s_waitcnt lgkmcnt(0)
	v_fma_f64 v[45:46], v[29:30], v[43:44], v[57:58]
	v_fma_f64 v[41:42], v[31:32], v[43:44], v[41:42]
	v_fma_f64 v[21:22], v[29:30], v[47:48], v[21:22]
	v_fma_f64 v[17:18], v[31:32], v[47:48], v[17:18]
	ds_load_2addr_b64 v[29:32], v40 offset0:192 offset1:208
	s_waitcnt lgkmcnt(0)
	v_fma_f64 v[45:46], v[29:30], v[49:50], v[45:46]
	v_fma_f64 v[47:48], v[31:32], v[49:50], v[41:42]
	;; [unrolled: 1-line block ×4, first 2 shown]
	ds_load_2addr_b64 v[41:44], v40 offset0:224 offset1:240
	v_add_nc_u32_e32 v40, 0x800, v40
	s_waitcnt lgkmcnt(0)
	v_fma_f64 v[31:32], v[41:42], v[51:52], v[45:46]
	v_fma_f64 v[29:30], v[43:44], v[51:52], v[47:48]
	;; [unrolled: 1-line block ×4, first 2 shown]
	s_cbranch_scc1 .LBB36_55
; %bb.56:                               ;   in Loop: Header=BB36_6 Depth=2
	v_add_co_u32 v27, s5, v27, s18
	s_delay_alu instid0(VALU_DEP_1) | instskip(SKIP_1) | instid1(VALU_DEP_1)
	v_add_co_ci_u32_e64 v28, s5, s19, v28, s5
	v_add_co_u32 v23, s5, v23, 32
	v_add_co_ci_u32_e64 v24, s5, 0, v24, s5
	v_add_co_u32 v19, s5, 0x100, v19
	s_delay_alu instid0(VALU_DEP_1) | instskip(SKIP_1) | instid1(VALU_DEP_1)
	v_add_co_ci_u32_e64 v20, s5, 0, v20, s5
	v_add_co_u32 v25, s5, v25, 32
	v_add_co_ci_u32_e64 v26, s5, 0, v26, s5
	s_add_i32 s5, s9, 32
	s_cmp_ge_i32 s9, s28
	s_barrier
	buffer_gl0_inv
	s_cbranch_scc1 .LBB36_58
; %bb.57:                               ;   in Loop: Header=BB36_6 Depth=2
	s_mov_b32 s9, s5
	s_branch .LBB36_6
.LBB36_58:                              ;   in Loop: Header=BB36_4 Depth=1
	v_mul_lo_u32 v23, v39, s16
	v_mul_lo_u32 v24, v38, s17
	v_mad_u64_u32 v[19:20], null, v38, s16, 0
	v_cmp_gt_i32_e32 vcc_lo, s10, v38
	s_delay_alu instid0(VALU_DEP_2) | instskip(NEXT) | instid1(VALU_DEP_1)
	v_add3_u32 v20, v20, v24, v23
	v_lshlrev_b64 v[19:20], 3, v[19:20]
	s_delay_alu instid0(VALU_DEP_1) | instskip(NEXT) | instid1(VALU_DEP_1)
	v_add_co_u32 v19, s4, s15, v19
	v_add_co_ci_u32_e64 v20, s4, s27, v20, s4
	s_and_b32 s4, s2, vcc_lo
	s_delay_alu instid0(SALU_CYCLE_1)
	s_and_saveexec_b32 s5, s4
	s_cbranch_execz .LBB36_60
; %bb.59:                               ;   in Loop: Header=BB36_4 Depth=1
	v_add_co_u32 v23, s4, v19, v9
	s_delay_alu instid0(VALU_DEP_1)
	v_add_co_ci_u32_e64 v24, s4, v20, v10, s4
	global_load_b64 v[25:26], v[23:24], off
	s_waitcnt vmcnt(0)
	v_fma_f64 v[25:26], s[34:35], v[31:32], v[25:26]
	global_store_b64 v[23:24], v[25:26], off
.LBB36_60:                              ;   in Loop: Header=BB36_4 Depth=1
	s_or_b32 exec_lo, exec_lo, s5
	s_and_b32 s5, s3, vcc_lo
	s_delay_alu instid0(SALU_CYCLE_1)
	s_and_saveexec_b32 s4, s5
	s_cbranch_execz .LBB36_62
; %bb.61:                               ;   in Loop: Header=BB36_4 Depth=1
	v_lshlrev_b64 v[23:24], 3, v[15:16]
	s_delay_alu instid0(VALU_DEP_1) | instskip(NEXT) | instid1(VALU_DEP_2)
	v_add_co_u32 v19, vcc_lo, v19, v23
	v_add_co_ci_u32_e32 v20, vcc_lo, v20, v24, vcc_lo
	global_load_b64 v[23:24], v[19:20], off
	s_waitcnt vmcnt(0)
	v_fma_f64 v[23:24], s[34:35], v[29:30], v[23:24]
	global_store_b64 v[19:20], v[23:24], off
.LBB36_62:                              ;   in Loop: Header=BB36_4 Depth=1
	s_or_b32 exec_lo, exec_lo, s4
	v_add_nc_u32_e32 v23, 16, v38
	s_delay_alu instid0(VALU_DEP_1) | instskip(SKIP_3) | instid1(VALU_DEP_4)
	v_ashrrev_i32_e32 v24, 31, v23
	v_mul_lo_u32 v25, v23, s17
	v_mad_u64_u32 v[19:20], null, v23, s16, 0
	v_cmp_gt_i32_e32 vcc_lo, s10, v23
	v_mul_lo_u32 v24, v24, s16
	s_delay_alu instid0(VALU_DEP_1) | instskip(NEXT) | instid1(VALU_DEP_1)
	v_add3_u32 v20, v20, v25, v24
	v_lshlrev_b64 v[19:20], 3, v[19:20]
	s_delay_alu instid0(VALU_DEP_1) | instskip(NEXT) | instid1(VALU_DEP_1)
	v_add_co_u32 v19, s4, s15, v19
	v_add_co_ci_u32_e64 v20, s4, s27, v20, s4
	s_and_b32 s4, s2, vcc_lo
	s_delay_alu instid0(SALU_CYCLE_1)
	s_and_saveexec_b32 s5, s4
	s_cbranch_execnz .LBB36_64
; %bb.63:                               ;   in Loop: Header=BB36_4 Depth=1
	s_or_b32 exec_lo, exec_lo, s5
	s_and_b32 s5, s3, vcc_lo
	s_delay_alu instid0(SALU_CYCLE_1)
	s_and_saveexec_b32 s4, s5
	s_cbranch_execz .LBB36_3
	s_branch .LBB36_65
.LBB36_64:                              ;   in Loop: Header=BB36_4 Depth=1
	v_add_co_u32 v23, s4, v19, v9
	s_delay_alu instid0(VALU_DEP_1)
	v_add_co_ci_u32_e64 v24, s4, v20, v10, s4
	global_load_b64 v[25:26], v[23:24], off
	s_waitcnt vmcnt(0)
	v_fma_f64 v[21:22], s[34:35], v[21:22], v[25:26]
	global_store_b64 v[23:24], v[21:22], off
	s_or_b32 exec_lo, exec_lo, s5
	s_and_b32 s5, s3, vcc_lo
	s_delay_alu instid0(SALU_CYCLE_1)
	s_and_saveexec_b32 s4, s5
	s_cbranch_execz .LBB36_3
.LBB36_65:                              ;   in Loop: Header=BB36_4 Depth=1
	v_lshlrev_b64 v[21:22], 3, v[15:16]
	s_delay_alu instid0(VALU_DEP_1) | instskip(NEXT) | instid1(VALU_DEP_2)
	v_add_co_u32 v19, vcc_lo, v19, v21
	v_add_co_ci_u32_e32 v20, vcc_lo, v20, v22, vcc_lo
	global_load_b64 v[21:22], v[19:20], off
	s_waitcnt vmcnt(0)
	v_fma_f64 v[17:18], s[34:35], v[17:18], v[21:22]
	global_store_b64 v[19:20], v[17:18], off
	s_branch .LBB36_3
.LBB36_66:
	s_nop 0
	s_sendmsg sendmsg(MSG_DEALLOC_VGPRS)
	s_endpgm
	.section	.rodata,"a",@progbits
	.p2align	6, 0x0
	.amdhsa_kernel _ZL30rocblas_trmm_outofplace_kernelIdLi32ELi2ELb1ELb0ELb0ELb0EPKdS0_dEv17rocblas_diagonal_iiT6_lPT7_lllS5_lllPT8_llli
		.amdhsa_group_segment_fixed_size 16384
		.amdhsa_private_segment_fixed_size 0
		.amdhsa_kernarg_size 392
		.amdhsa_user_sgpr_count 13
		.amdhsa_user_sgpr_dispatch_ptr 0
		.amdhsa_user_sgpr_queue_ptr 0
		.amdhsa_user_sgpr_kernarg_segment_ptr 1
		.amdhsa_user_sgpr_dispatch_id 0
		.amdhsa_user_sgpr_private_segment_size 0
		.amdhsa_wavefront_size32 1
		.amdhsa_uses_dynamic_stack 0
		.amdhsa_enable_private_segment 0
		.amdhsa_system_sgpr_workgroup_id_x 1
		.amdhsa_system_sgpr_workgroup_id_y 1
		.amdhsa_system_sgpr_workgroup_id_z 1
		.amdhsa_system_sgpr_workgroup_info 0
		.amdhsa_system_vgpr_workitem_id 1
		.amdhsa_next_free_vgpr 64
		.amdhsa_next_free_sgpr 44
		.amdhsa_reserve_vcc 1
		.amdhsa_float_round_mode_32 0
		.amdhsa_float_round_mode_16_64 0
		.amdhsa_float_denorm_mode_32 3
		.amdhsa_float_denorm_mode_16_64 3
		.amdhsa_dx10_clamp 1
		.amdhsa_ieee_mode 1
		.amdhsa_fp16_overflow 0
		.amdhsa_workgroup_processor_mode 1
		.amdhsa_memory_ordered 1
		.amdhsa_forward_progress 0
		.amdhsa_shared_vgpr_count 0
		.amdhsa_exception_fp_ieee_invalid_op 0
		.amdhsa_exception_fp_denorm_src 0
		.amdhsa_exception_fp_ieee_div_zero 0
		.amdhsa_exception_fp_ieee_overflow 0
		.amdhsa_exception_fp_ieee_underflow 0
		.amdhsa_exception_fp_ieee_inexact 0
		.amdhsa_exception_int_div_zero 0
	.end_amdhsa_kernel
	.section	.text._ZL30rocblas_trmm_outofplace_kernelIdLi32ELi2ELb1ELb0ELb0ELb0EPKdS0_dEv17rocblas_diagonal_iiT6_lPT7_lllS5_lllPT8_llli,"axG",@progbits,_ZL30rocblas_trmm_outofplace_kernelIdLi32ELi2ELb1ELb0ELb0ELb0EPKdS0_dEv17rocblas_diagonal_iiT6_lPT7_lllS5_lllPT8_llli,comdat
.Lfunc_end36:
	.size	_ZL30rocblas_trmm_outofplace_kernelIdLi32ELi2ELb1ELb0ELb0ELb0EPKdS0_dEv17rocblas_diagonal_iiT6_lPT7_lllS5_lllPT8_llli, .Lfunc_end36-_ZL30rocblas_trmm_outofplace_kernelIdLi32ELi2ELb1ELb0ELb0ELb0EPKdS0_dEv17rocblas_diagonal_iiT6_lPT7_lllS5_lllPT8_llli
                                        ; -- End function
	.section	.AMDGPU.csdata,"",@progbits
; Kernel info:
; codeLenInByte = 2868
; NumSgprs: 46
; NumVgprs: 64
; ScratchSize: 0
; MemoryBound: 1
; FloatMode: 240
; IeeeMode: 1
; LDSByteSize: 16384 bytes/workgroup (compile time only)
; SGPRBlocks: 5
; VGPRBlocks: 7
; NumSGPRsForWavesPerEU: 46
; NumVGPRsForWavesPerEU: 64
; Occupancy: 16
; WaveLimiterHint : 0
; COMPUTE_PGM_RSRC2:SCRATCH_EN: 0
; COMPUTE_PGM_RSRC2:USER_SGPR: 13
; COMPUTE_PGM_RSRC2:TRAP_HANDLER: 0
; COMPUTE_PGM_RSRC2:TGID_X_EN: 1
; COMPUTE_PGM_RSRC2:TGID_Y_EN: 1
; COMPUTE_PGM_RSRC2:TGID_Z_EN: 1
; COMPUTE_PGM_RSRC2:TIDIG_COMP_CNT: 1
	.section	.text._ZL30rocblas_trmm_outofplace_kernelIdLi32ELi2ELb1ELb0ELb0ELb0EdKddEv17rocblas_diagonal_iiT6_lPT7_lllS4_lllPT8_llli,"axG",@progbits,_ZL30rocblas_trmm_outofplace_kernelIdLi32ELi2ELb1ELb0ELb0ELb0EdKddEv17rocblas_diagonal_iiT6_lPT7_lllS4_lllPT8_llli,comdat
	.globl	_ZL30rocblas_trmm_outofplace_kernelIdLi32ELi2ELb1ELb0ELb0ELb0EdKddEv17rocblas_diagonal_iiT6_lPT7_lllS4_lllPT8_llli ; -- Begin function _ZL30rocblas_trmm_outofplace_kernelIdLi32ELi2ELb1ELb0ELb0ELb0EdKddEv17rocblas_diagonal_iiT6_lPT7_lllS4_lllPT8_llli
	.p2align	8
	.type	_ZL30rocblas_trmm_outofplace_kernelIdLi32ELi2ELb1ELb0ELb0ELb0EdKddEv17rocblas_diagonal_iiT6_lPT7_lllS4_lllPT8_llli,@function
_ZL30rocblas_trmm_outofplace_kernelIdLi32ELi2ELb1ELb0ELb0ELb0EdKddEv17rocblas_diagonal_iiT6_lPT7_lllS4_lllPT8_llli: ; @_ZL30rocblas_trmm_outofplace_kernelIdLi32ELi2ELb1ELb0ELb0ELb0EdKddEv17rocblas_diagonal_iiT6_lPT7_lllS4_lllPT8_llli
; %bb.0:
	s_load_b64 s[34:35], s[0:1], 0x10
	s_waitcnt lgkmcnt(0)
	v_cmp_eq_f64_e64 s2, s[34:35], 0
	s_delay_alu instid0(VALU_DEP_1)
	s_and_b32 vcc_lo, exec_lo, s2
	s_cbranch_vccnz .LBB37_66
; %bb.1:
	s_load_b128 s[8:11], s[0:1], 0x0
	s_waitcnt lgkmcnt(0)
	s_add_i32 s2, s10, -1
	s_delay_alu instid0(SALU_CYCLE_1) | instskip(NEXT) | instid1(SALU_CYCLE_1)
	s_ashr_i32 s3, s2, 31
	s_lshr_b32 s3, s3, 27
	s_delay_alu instid0(SALU_CYCLE_1) | instskip(NEXT) | instid1(SALU_CYCLE_1)
	s_add_i32 s2, s2, s3
	s_ashr_i32 s11, s2, 5
	s_delay_alu instid0(SALU_CYCLE_1)
	s_cmp_gt_i32 s14, s11
	s_cbranch_scc1 .LBB37_66
; %bb.2:
	s_clause 0x1
	s_load_b512 s[16:31], s[0:1], 0x20
	s_load_b256 s[36:43], s[0:1], 0x60
	v_bfe_u32 v1, v0, 10, 10
	s_waitcnt lgkmcnt(0)
	s_mul_i32 s3, s15, s23
	s_mul_hi_u32 s5, s15, s22
	s_mul_i32 s2, s15, s22
	s_add_i32 s3, s5, s3
	v_mad_u64_u32 v[8:9], null, v1, s20, 0
	s_lshl_b64 s[2:3], s[2:3], 3
	s_mul_i32 s6, s15, s31
	s_add_u32 s5, s16, s2
	s_addc_u32 s16, s17, s3
	s_lshl_b64 s[2:3], s[18:19], 3
	s_mul_hi_u32 s7, s15, s30
	s_add_u32 s18, s5, s2
	s_mul_i32 s4, s15, s30
	s_addc_u32 s16, s16, s3
	s_add_i32 s5, s7, s6
	v_mov_b32_e32 v2, v9
	s_lshl_b64 s[4:5], s[4:5], 3
	s_mul_i32 s12, s15, s43
	s_add_u32 s3, s24, s4
	s_addc_u32 s6, s25, s5
	s_lshl_b64 s[4:5], s[26:27], 3
	s_mul_hi_u32 s17, s15, s42
	s_add_u32 s4, s3, s4
	s_mul_i32 s2, s15, s42
	s_addc_u32 s5, s6, s5
	s_add_i32 s3, s17, s12
	v_mad_u64_u32 v[4:5], null, v1, s21, v[2:3]
	v_mov_b32_e32 v3, 0
	s_lshl_b64 s[2:3], s[2:3], 3
	v_and_b32_e32 v5, 0x3ff, v0
	s_add_u32 s6, s36, s2
	s_addc_u32 s7, s37, s3
	v_mov_b32_e32 v2, v3
	s_lshl_b64 s[2:3], s[38:39], 3
	v_dual_mov_b32 v9, v4 :: v_dual_mov_b32 v6, v3
	s_add_u32 s15, s6, s2
	s_addc_u32 s24, s7, s3
	s_lshl_b32 s25, s13, 5
	s_delay_alu instid0(VALU_DEP_1)
	v_lshlrev_b64 v[11:12], 3, v[8:9]
	v_add_nc_u32_e32 v7, s25, v5
	s_load_b32 s31, s[0:1], 0x8c
	v_lshlrev_b32_e32 v0, 3, v5
	s_cmp_gt_i32 s13, -1
	s_mov_b32 s12, s9
	v_ashrrev_i32_e32 v8, 31, v7
	v_add_co_u32 v4, vcc_lo, s18, v11
	v_add_co_ci_u32_e32 v12, vcc_lo, s16, v12, vcc_lo
	s_delay_alu instid0(VALU_DEP_3) | instskip(SKIP_4) | instid1(VALU_DEP_2)
	v_lshlrev_b64 v[9:10], 3, v[7:8]
	s_cselect_b32 s26, -1, 0
	s_cmpk_eq_i32 s8, 0x84
	v_add_co_u32 v33, s2, s4, v0
	s_cselect_b32 s27, -1, 0
	v_add_co_u32 v11, vcc_lo, v4, v9
	v_lshlrev_b32_e32 v4, 8, v1
	v_add_co_ci_u32_e32 v12, vcc_lo, v12, v10, vcc_lo
	s_ashr_i32 s13, s9, 31
	v_add_co_ci_u32_e64 v34, null, s5, 0, s2
	s_delay_alu instid0(VALU_DEP_3)
	v_add_nc_u32_e32 v35, 0x2000, v4
	v_add_nc_u32_e32 v36, v4, v0
	v_mov_b32_e32 v4, 0x3ff00000
	v_add_co_u32 v13, vcc_lo, v7, 16
	v_add_co_ci_u32_e32 v14, vcc_lo, 0, v8, vcc_lo
	v_add_nc_u32_e32 v15, 16, v7
	v_cmp_le_i32_e64 s0, s9, v7
	v_add_nc_u32_e32 v37, v35, v0
	s_delay_alu instid0(VALU_DEP_4)
	v_cmp_le_i64_e64 s1, s[12:13], v[13:14]
	v_cmp_gt_i32_e64 s2, s9, v7
	v_cmp_gt_i32_e64 s3, s9, v15
	v_ashrrev_i32_e32 v16, 31, v15
	s_ashr_i32 s30, s10, 31
	s_lshl_b64 s[16:17], s[20:21], 8
	s_lshl_b64 s[18:19], s[20:21], 4
	s_add_u32 s20, s9, -16
	s_addc_u32 s21, s13, -1
	s_lshl_b64 s[22:23], s[28:29], 4
	s_branch .LBB37_4
.LBB37_3:                               ;   in Loop: Header=BB37_4 Depth=1
	s_or_b32 exec_lo, exec_lo, s4
	s_waitcnt lgkmcnt(0)
	s_add_i32 s14, s31, s14
	s_delay_alu instid0(SALU_CYCLE_1)
	s_cmp_le_i32 s14, s11
	s_cbranch_scc0 .LBB37_66
.LBB37_4:                               ; =>This Loop Header: Depth=1
                                        ;     Child Loop BB37_6 Depth 2
                                        ;       Child Loop BB37_55 Depth 3
	v_mov_b32_e32 v31, 0
	v_mov_b32_e32 v32, 0
	v_lshl_add_u32 v38, s14, 5, v1
	s_delay_alu instid0(VALU_DEP_3) | instskip(SKIP_1) | instid1(VALU_DEP_4)
	v_mov_b32_e32 v29, v31
	v_mov_b32_e32 v21, v31
	v_dual_mov_b32 v17, v31 :: v_dual_mov_b32 v18, v32
	s_delay_alu instid0(VALU_DEP_4)
	v_ashrrev_i32_e32 v39, 31, v38
	v_mov_b32_e32 v30, v32
	v_mov_b32_e32 v22, v32
	s_and_not1_b32 vcc_lo, exec_lo, s26
	s_cbranch_vccnz .LBB37_58
; %bb.5:                                ;   in Loop: Header=BB37_4 Depth=1
	v_mul_lo_u32 v17, v39, s28
	v_mul_lo_u32 v18, v38, s29
	v_mad_u64_u32 v[19:20], null, v38, s28, 0
	v_sub_co_u32 v21, vcc_lo, s10, v38
	v_sub_co_ci_u32_e32 v22, vcc_lo, s30, v39, vcc_lo
	v_dual_mov_b32 v24, v2 :: v_dual_mov_b32 v23, v1
	s_delay_alu instid0(VALU_DEP_4)
	v_add3_u32 v20, v20, v18, v17
	v_mov_b32_e32 v17, 0
	v_mov_b32_e32 v18, 0
	v_cmp_lt_i64_e32 vcc_lo, 0, v[21:22]
	v_cmp_lt_i64_e64 s4, 16, v[21:22]
	v_lshlrev_b64 v[19:20], 3, v[19:20]
	v_dual_mov_b32 v26, v6 :: v_dual_mov_b32 v25, v5
	v_dual_mov_b32 v22, v18 :: v_dual_mov_b32 v21, v17
	;; [unrolled: 1-line block ×3, first 2 shown]
	s_delay_alu instid0(VALU_DEP_4)
	v_add_co_u32 v19, s5, v33, v19
	v_dual_mov_b32 v32, v18 :: v_dual_mov_b32 v31, v17
	v_add_co_ci_u32_e64 v20, s5, v34, v20, s5
	v_dual_mov_b32 v28, v12 :: v_dual_mov_b32 v27, v11
	s_mov_b32 s9, 0
.LBB37_6:                               ;   Parent Loop BB37_4 Depth=1
                                        ; =>  This Loop Header: Depth=2
                                        ;       Child Loop BB37_55 Depth 3
	v_cmp_le_i64_e64 s6, s[12:13], v[23:24]
	v_cmp_eq_u64_e64 s7, v[23:24], v[7:8]
	v_cmp_gt_i64_e64 s5, v[23:24], v[7:8]
	s_delay_alu instid0(VALU_DEP_2) | instskip(NEXT) | instid1(VALU_DEP_1)
	s_and_b32 s36, s27, s7
	s_or_b32 s7, s6, s5
	s_delay_alu instid0(SALU_CYCLE_1) | instskip(NEXT) | instid1(SALU_CYCLE_1)
	s_or_b32 s7, s7, s36
	s_or_b32 s7, s0, s7
	s_delay_alu instid0(SALU_CYCLE_1) | instskip(NEXT) | instid1(SALU_CYCLE_1)
	s_xor_b32 s7, s7, -1
	s_and_saveexec_b32 s8, s7
	s_delay_alu instid0(SALU_CYCLE_1)
	s_xor_b32 s7, exec_lo, s8
	s_cbranch_execz .LBB37_8
; %bb.7:                                ;   in Loop: Header=BB37_6 Depth=2
	global_load_b64 v[40:41], v[27:28], off
	s_waitcnt vmcnt(0)
	ds_store_b64 v36, v[40:41]
.LBB37_8:                               ;   in Loop: Header=BB37_6 Depth=2
	s_or_saveexec_b32 s7, s7
	s_xor_b32 s33, s36, -1
	s_xor_b32 exec_lo, exec_lo, s7
	s_cbranch_execz .LBB37_14
; %bb.9:                                ;   in Loop: Header=BB37_6 Depth=2
	s_and_saveexec_b32 s8, s33
	s_delay_alu instid0(SALU_CYCLE_1)
	s_xor_b32 s8, exec_lo, s8
	s_cbranch_execz .LBB37_11
; %bb.10:                               ;   in Loop: Header=BB37_6 Depth=2
	v_mov_b32_e32 v40, v3
	v_mov_b32_e32 v41, v3
	ds_store_b64 v36, v[40:41]
.LBB37_11:                              ;   in Loop: Header=BB37_6 Depth=2
	s_and_not1_saveexec_b32 s8, s8
	s_cbranch_execz .LBB37_13
; %bb.12:                               ;   in Loop: Header=BB37_6 Depth=2
	ds_store_b64 v36, v[3:4]
.LBB37_13:                              ;   in Loop: Header=BB37_6 Depth=2
	s_or_b32 exec_lo, exec_lo, s8
.LBB37_14:                              ;   in Loop: Header=BB37_6 Depth=2
	s_delay_alu instid0(SALU_CYCLE_1) | instskip(SKIP_2) | instid1(VALU_DEP_2)
	s_or_b32 exec_lo, exec_lo, s7
	v_cmp_eq_u64_e64 s7, v[13:14], v[23:24]
	v_cmp_lt_i64_e64 s8, v[13:14], v[23:24]
	s_and_b32 s7, s27, s7
	s_delay_alu instid0(VALU_DEP_1) | instskip(NEXT) | instid1(SALU_CYCLE_1)
	s_or_b32 s6, s6, s8
	s_or_b32 s6, s6, s7
	s_delay_alu instid0(SALU_CYCLE_1) | instskip(NEXT) | instid1(SALU_CYCLE_1)
	s_or_b32 s6, s1, s6
	s_xor_b32 s6, s6, -1
	s_delay_alu instid0(SALU_CYCLE_1) | instskip(NEXT) | instid1(SALU_CYCLE_1)
	s_and_saveexec_b32 s8, s6
	s_xor_b32 s6, exec_lo, s8
	s_cbranch_execz .LBB37_16
; %bb.15:                               ;   in Loop: Header=BB37_6 Depth=2
	global_load_b64 v[40:41], v[27:28], off offset:128
	s_waitcnt vmcnt(0)
	ds_store_b64 v36, v[40:41] offset:128
.LBB37_16:                              ;   in Loop: Header=BB37_6 Depth=2
	s_and_not1_saveexec_b32 s6, s6
	s_cbranch_execz .LBB37_22
; %bb.17:                               ;   in Loop: Header=BB37_6 Depth=2
	s_xor_b32 s7, s7, -1
	s_delay_alu instid0(SALU_CYCLE_1) | instskip(NEXT) | instid1(SALU_CYCLE_1)
	s_and_saveexec_b32 s8, s7
	s_xor_b32 s7, exec_lo, s8
	s_cbranch_execz .LBB37_19
; %bb.18:                               ;   in Loop: Header=BB37_6 Depth=2
	v_mov_b32_e32 v40, v3
	v_mov_b32_e32 v41, v3
	ds_store_b64 v36, v[40:41] offset:128
.LBB37_19:                              ;   in Loop: Header=BB37_6 Depth=2
	s_and_not1_saveexec_b32 s7, s7
	s_cbranch_execz .LBB37_21
; %bb.20:                               ;   in Loop: Header=BB37_6 Depth=2
	ds_store_b64 v36, v[3:4] offset:128
.LBB37_21:                              ;   in Loop: Header=BB37_6 Depth=2
	s_or_b32 exec_lo, exec_lo, s7
.LBB37_22:                              ;   in Loop: Header=BB37_6 Depth=2
	s_delay_alu instid0(SALU_CYCLE_1) | instskip(SKIP_1) | instid1(VALU_DEP_1)
	s_or_b32 exec_lo, exec_lo, s6
	v_add_co_u32 v40, s6, v23, 16
	v_add_co_ci_u32_e64 v41, s6, 0, v24, s6
	s_delay_alu instid0(VALU_DEP_1) | instskip(SKIP_2) | instid1(VALU_DEP_2)
	v_cmp_le_i64_e64 s6, s[12:13], v[40:41]
	v_cmp_eq_u64_e64 s7, v[40:41], v[7:8]
	v_cmp_gt_i64_e64 s8, v[40:41], v[7:8]
	s_and_b32 s37, s27, s7
	s_delay_alu instid0(VALU_DEP_1) | instskip(NEXT) | instid1(SALU_CYCLE_1)
	s_or_b32 s7, s6, s8
	s_or_b32 s7, s7, s37
	s_delay_alu instid0(SALU_CYCLE_1) | instskip(NEXT) | instid1(SALU_CYCLE_1)
	s_or_b32 s7, s0, s7
	s_xor_b32 s7, s7, -1
	s_delay_alu instid0(SALU_CYCLE_1) | instskip(NEXT) | instid1(SALU_CYCLE_1)
	s_and_saveexec_b32 s8, s7
	s_xor_b32 s8, exec_lo, s8
	s_cbranch_execz .LBB37_24
; %bb.23:                               ;   in Loop: Header=BB37_6 Depth=2
	s_lshl_b64 s[38:39], s[18:19], 3
	s_delay_alu instid0(SALU_CYCLE_1) | instskip(NEXT) | instid1(VALU_DEP_1)
	v_add_co_u32 v40, s7, v27, s38
	v_add_co_ci_u32_e64 v41, s7, s39, v28, s7
	global_load_b64 v[40:41], v[40:41], off
	s_waitcnt vmcnt(0)
	ds_store_b64 v36, v[40:41] offset:4096
.LBB37_24:                              ;   in Loop: Header=BB37_6 Depth=2
	s_and_not1_saveexec_b32 s7, s8
	s_cbranch_execz .LBB37_30
; %bb.25:                               ;   in Loop: Header=BB37_6 Depth=2
	s_xor_b32 s8, s37, -1
	s_delay_alu instid0(SALU_CYCLE_1) | instskip(NEXT) | instid1(SALU_CYCLE_1)
	s_and_saveexec_b32 s37, s8
	s_xor_b32 s8, exec_lo, s37
	s_cbranch_execz .LBB37_27
; %bb.26:                               ;   in Loop: Header=BB37_6 Depth=2
	v_mov_b32_e32 v40, v3
	v_mov_b32_e32 v41, v3
	ds_store_b64 v36, v[40:41] offset:4096
.LBB37_27:                              ;   in Loop: Header=BB37_6 Depth=2
	s_and_not1_saveexec_b32 s8, s8
	s_cbranch_execz .LBB37_29
; %bb.28:                               ;   in Loop: Header=BB37_6 Depth=2
	ds_store_b64 v36, v[3:4] offset:4096
.LBB37_29:                              ;   in Loop: Header=BB37_6 Depth=2
	s_or_b32 exec_lo, exec_lo, s8
.LBB37_30:                              ;   in Loop: Header=BB37_6 Depth=2
	s_delay_alu instid0(SALU_CYCLE_1) | instskip(SKIP_1) | instid1(SALU_CYCLE_1)
	s_or_b32 exec_lo, exec_lo, s7
	s_or_b32 s5, s6, s5
	s_or_b32 s5, s5, s36
	s_delay_alu instid0(SALU_CYCLE_1) | instskip(NEXT) | instid1(SALU_CYCLE_1)
	s_or_b32 s5, s1, s5
	s_xor_b32 s5, s5, -1
	s_delay_alu instid0(SALU_CYCLE_1) | instskip(NEXT) | instid1(SALU_CYCLE_1)
	s_and_saveexec_b32 s6, s5
	s_xor_b32 s6, exec_lo, s6
	s_cbranch_execz .LBB37_32
; %bb.31:                               ;   in Loop: Header=BB37_6 Depth=2
	s_lshl_b64 s[36:37], s[18:19], 3
	s_delay_alu instid0(SALU_CYCLE_1) | instskip(NEXT) | instid1(VALU_DEP_1)
	v_add_co_u32 v40, s5, v27, s36
	v_add_co_ci_u32_e64 v41, s5, s37, v28, s5
	global_load_b64 v[40:41], v[40:41], off offset:128
	s_waitcnt vmcnt(0)
	ds_store_b64 v36, v[40:41] offset:4224
.LBB37_32:                              ;   in Loop: Header=BB37_6 Depth=2
	s_and_not1_saveexec_b32 s5, s6
	s_cbranch_execz .LBB37_38
; %bb.33:                               ;   in Loop: Header=BB37_6 Depth=2
	s_and_saveexec_b32 s6, s33
	s_delay_alu instid0(SALU_CYCLE_1)
	s_xor_b32 s6, exec_lo, s6
	s_cbranch_execz .LBB37_35
; %bb.34:                               ;   in Loop: Header=BB37_6 Depth=2
	v_mov_b32_e32 v40, v3
	v_mov_b32_e32 v41, v3
	ds_store_b64 v36, v[40:41] offset:4224
.LBB37_35:                              ;   in Loop: Header=BB37_6 Depth=2
	s_and_not1_saveexec_b32 s6, s6
	s_cbranch_execz .LBB37_37
; %bb.36:                               ;   in Loop: Header=BB37_6 Depth=2
	ds_store_b64 v36, v[3:4] offset:4224
.LBB37_37:                              ;   in Loop: Header=BB37_6 Depth=2
	s_or_b32 exec_lo, exec_lo, s6
.LBB37_38:                              ;   in Loop: Header=BB37_6 Depth=2
	s_delay_alu instid0(SALU_CYCLE_1) | instskip(SKIP_1) | instid1(VALU_DEP_1)
	s_or_b32 exec_lo, exec_lo, s5
	v_cmp_gt_i64_e64 s6, s[12:13], v[25:26]
	s_and_b32 s5, vcc_lo, s6
	s_delay_alu instid0(SALU_CYCLE_1) | instskip(NEXT) | instid1(SALU_CYCLE_1)
	s_xor_b32 s5, s5, -1
	s_and_saveexec_b32 s7, s5
	s_delay_alu instid0(SALU_CYCLE_1)
	s_xor_b32 s5, exec_lo, s7
	s_cbranch_execz .LBB37_40
; %bb.39:                               ;   in Loop: Header=BB37_6 Depth=2
	v_mov_b32_e32 v40, v3
	v_mov_b32_e32 v41, v3
	ds_store_b64 v37, v[40:41]
.LBB37_40:                              ;   in Loop: Header=BB37_6 Depth=2
	s_and_not1_saveexec_b32 s5, s5
	s_cbranch_execz .LBB37_42
; %bb.41:                               ;   in Loop: Header=BB37_6 Depth=2
	global_load_b64 v[40:41], v[19:20], off
	s_waitcnt vmcnt(0)
	ds_store_b64 v37, v[40:41]
.LBB37_42:                              ;   in Loop: Header=BB37_6 Depth=2
	s_or_b32 exec_lo, exec_lo, s5
	v_cmp_gt_i64_e64 s5, s[20:21], v[25:26]
	s_delay_alu instid0(VALU_DEP_1) | instskip(NEXT) | instid1(SALU_CYCLE_1)
	s_and_b32 s7, vcc_lo, s5
	s_xor_b32 s7, s7, -1
	s_delay_alu instid0(SALU_CYCLE_1) | instskip(NEXT) | instid1(SALU_CYCLE_1)
	s_and_saveexec_b32 s8, s7
	s_xor_b32 s7, exec_lo, s8
	s_cbranch_execz .LBB37_44
; %bb.43:                               ;   in Loop: Header=BB37_6 Depth=2
	v_mov_b32_e32 v40, v3
	v_mov_b32_e32 v41, v3
	ds_store_b64 v37, v[40:41] offset:128
.LBB37_44:                              ;   in Loop: Header=BB37_6 Depth=2
	s_and_not1_saveexec_b32 s7, s7
	s_cbranch_execz .LBB37_46
; %bb.45:                               ;   in Loop: Header=BB37_6 Depth=2
	global_load_b64 v[40:41], v[19:20], off offset:128
	s_waitcnt vmcnt(0)
	ds_store_b64 v37, v[40:41] offset:128
.LBB37_46:                              ;   in Loop: Header=BB37_6 Depth=2
	s_or_b32 exec_lo, exec_lo, s7
	s_and_b32 s6, s4, s6
	s_delay_alu instid0(SALU_CYCLE_1) | instskip(NEXT) | instid1(SALU_CYCLE_1)
	s_xor_b32 s6, s6, -1
	s_and_saveexec_b32 s7, s6
	s_delay_alu instid0(SALU_CYCLE_1)
	s_xor_b32 s6, exec_lo, s7
	s_cbranch_execz .LBB37_48
; %bb.47:                               ;   in Loop: Header=BB37_6 Depth=2
	v_mov_b32_e32 v40, v3
	v_mov_b32_e32 v41, v3
	ds_store_b64 v37, v[40:41] offset:4096
.LBB37_48:                              ;   in Loop: Header=BB37_6 Depth=2
	s_and_not1_saveexec_b32 s7, s6
	s_cbranch_execz .LBB37_50
; %bb.49:                               ;   in Loop: Header=BB37_6 Depth=2
	s_lshl_b64 s[36:37], s[22:23], 3
	s_delay_alu instid0(SALU_CYCLE_1) | instskip(NEXT) | instid1(VALU_DEP_1)
	v_add_co_u32 v40, s6, v19, s36
	v_add_co_ci_u32_e64 v41, s6, s37, v20, s6
	global_load_b64 v[40:41], v[40:41], off
	s_waitcnt vmcnt(0)
	ds_store_b64 v37, v[40:41] offset:4096
.LBB37_50:                              ;   in Loop: Header=BB37_6 Depth=2
	s_or_b32 exec_lo, exec_lo, s7
	s_and_b32 s5, s4, s5
	s_delay_alu instid0(SALU_CYCLE_1) | instskip(NEXT) | instid1(SALU_CYCLE_1)
	s_xor_b32 s5, s5, -1
	s_and_saveexec_b32 s6, s5
	s_delay_alu instid0(SALU_CYCLE_1)
	s_xor_b32 s5, exec_lo, s6
	s_cbranch_execz .LBB37_52
; %bb.51:                               ;   in Loop: Header=BB37_6 Depth=2
	v_mov_b32_e32 v40, v3
	v_mov_b32_e32 v41, v3
	ds_store_b64 v37, v[40:41] offset:4224
.LBB37_52:                              ;   in Loop: Header=BB37_6 Depth=2
	s_and_not1_saveexec_b32 s6, s5
	s_cbranch_execz .LBB37_54
; %bb.53:                               ;   in Loop: Header=BB37_6 Depth=2
	s_lshl_b64 s[36:37], s[22:23], 3
	s_delay_alu instid0(SALU_CYCLE_1) | instskip(NEXT) | instid1(VALU_DEP_1)
	v_add_co_u32 v40, s5, v19, s36
	v_add_co_ci_u32_e64 v41, s5, s37, v20, s5
	global_load_b64 v[40:41], v[40:41], off offset:128
	s_waitcnt vmcnt(0)
	ds_store_b64 v37, v[40:41] offset:4224
.LBB37_54:                              ;   in Loop: Header=BB37_6 Depth=2
	s_or_b32 exec_lo, exec_lo, s6
	v_mov_b32_e32 v40, v0
	s_mov_b32 s5, 0
	s_waitcnt lgkmcnt(0)
	s_waitcnt_vscnt null, 0x0
	s_barrier
	buffer_gl0_inv
.LBB37_55:                              ;   Parent Loop BB37_4 Depth=1
                                        ;     Parent Loop BB37_6 Depth=2
                                        ; =>    This Inner Loop Header: Depth=3
	v_add_nc_u32_e32 v63, s5, v35
	s_add_i32 s5, s5, 64
	ds_load_2addr_b64 v[41:44], v40 offset1:16
	ds_load_b128 v[45:48], v63
	ds_load_b128 v[49:52], v63 offset:4096
	ds_load_b128 v[53:56], v63 offset:16
	;; [unrolled: 1-line block ×3, first 2 shown]
	s_cmpk_lg_i32 s5, 0x100
	s_waitcnt lgkmcnt(3)
	v_fma_f64 v[61:62], v[41:42], v[45:46], v[31:32]
	v_fma_f64 v[45:46], v[43:44], v[45:46], v[29:30]
	s_waitcnt lgkmcnt(2)
	v_fma_f64 v[21:22], v[41:42], v[49:50], v[21:22]
	v_fma_f64 v[17:18], v[43:44], v[49:50], v[17:18]
	ds_load_2addr_b64 v[29:32], v40 offset0:32 offset1:48
	s_waitcnt lgkmcnt(0)
	v_fma_f64 v[41:42], v[29:30], v[47:48], v[61:62]
	v_fma_f64 v[43:44], v[31:32], v[47:48], v[45:46]
	v_fma_f64 v[21:22], v[29:30], v[51:52], v[21:22]
	v_fma_f64 v[17:18], v[31:32], v[51:52], v[17:18]
	ds_load_2addr_b64 v[29:32], v40 offset0:64 offset1:80
	s_waitcnt lgkmcnt(0)
	v_fma_f64 v[41:42], v[29:30], v[53:54], v[41:42]
	v_fma_f64 v[43:44], v[31:32], v[53:54], v[43:44]
	;; [unrolled: 6-line block ×3, first 2 shown]
	v_fma_f64 v[21:22], v[29:30], v[59:60], v[21:22]
	v_fma_f64 v[17:18], v[31:32], v[59:60], v[17:18]
	ds_load_2addr_b64 v[29:32], v40 offset0:128 offset1:144
	ds_load_b128 v[41:44], v63 offset:32
	ds_load_b128 v[45:48], v63 offset:4128
	;; [unrolled: 1-line block ×4, first 2 shown]
	s_waitcnt lgkmcnt(3)
	v_fma_f64 v[57:58], v[29:30], v[41:42], v[57:58]
	v_fma_f64 v[41:42], v[31:32], v[41:42], v[61:62]
	s_waitcnt lgkmcnt(2)
	v_fma_f64 v[21:22], v[29:30], v[45:46], v[21:22]
	v_fma_f64 v[17:18], v[31:32], v[45:46], v[17:18]
	ds_load_2addr_b64 v[29:32], v40 offset0:160 offset1:176
	s_waitcnt lgkmcnt(0)
	v_fma_f64 v[45:46], v[29:30], v[43:44], v[57:58]
	v_fma_f64 v[41:42], v[31:32], v[43:44], v[41:42]
	;; [unrolled: 1-line block ×4, first 2 shown]
	ds_load_2addr_b64 v[29:32], v40 offset0:192 offset1:208
	s_waitcnt lgkmcnt(0)
	v_fma_f64 v[45:46], v[29:30], v[49:50], v[45:46]
	v_fma_f64 v[47:48], v[31:32], v[49:50], v[41:42]
	;; [unrolled: 1-line block ×4, first 2 shown]
	ds_load_2addr_b64 v[41:44], v40 offset0:224 offset1:240
	v_add_nc_u32_e32 v40, 0x800, v40
	s_waitcnt lgkmcnt(0)
	v_fma_f64 v[31:32], v[41:42], v[51:52], v[45:46]
	v_fma_f64 v[29:30], v[43:44], v[51:52], v[47:48]
	;; [unrolled: 1-line block ×4, first 2 shown]
	s_cbranch_scc1 .LBB37_55
; %bb.56:                               ;   in Loop: Header=BB37_6 Depth=2
	v_add_co_u32 v27, s5, v27, s16
	s_delay_alu instid0(VALU_DEP_1) | instskip(SKIP_1) | instid1(VALU_DEP_1)
	v_add_co_ci_u32_e64 v28, s5, s17, v28, s5
	v_add_co_u32 v23, s5, v23, 32
	v_add_co_ci_u32_e64 v24, s5, 0, v24, s5
	v_add_co_u32 v19, s5, 0x100, v19
	s_delay_alu instid0(VALU_DEP_1) | instskip(SKIP_1) | instid1(VALU_DEP_1)
	v_add_co_ci_u32_e64 v20, s5, 0, v20, s5
	v_add_co_u32 v25, s5, v25, 32
	v_add_co_ci_u32_e64 v26, s5, 0, v26, s5
	s_add_i32 s5, s9, 32
	s_cmp_ge_i32 s9, s25
	s_barrier
	buffer_gl0_inv
	s_cbranch_scc1 .LBB37_58
; %bb.57:                               ;   in Loop: Header=BB37_6 Depth=2
	s_mov_b32 s9, s5
	s_branch .LBB37_6
.LBB37_58:                              ;   in Loop: Header=BB37_4 Depth=1
	v_mul_lo_u32 v23, v39, s40
	v_mul_lo_u32 v24, v38, s41
	v_mad_u64_u32 v[19:20], null, v38, s40, 0
	v_cmp_gt_i32_e32 vcc_lo, s10, v38
	s_delay_alu instid0(VALU_DEP_2) | instskip(NEXT) | instid1(VALU_DEP_1)
	v_add3_u32 v20, v20, v24, v23
	v_lshlrev_b64 v[19:20], 3, v[19:20]
	s_delay_alu instid0(VALU_DEP_1) | instskip(NEXT) | instid1(VALU_DEP_1)
	v_add_co_u32 v19, s4, s15, v19
	v_add_co_ci_u32_e64 v20, s4, s24, v20, s4
	s_and_b32 s4, s2, vcc_lo
	s_delay_alu instid0(SALU_CYCLE_1)
	s_and_saveexec_b32 s5, s4
	s_cbranch_execz .LBB37_60
; %bb.59:                               ;   in Loop: Header=BB37_4 Depth=1
	v_add_co_u32 v23, s4, v19, v9
	s_delay_alu instid0(VALU_DEP_1)
	v_add_co_ci_u32_e64 v24, s4, v20, v10, s4
	global_load_b64 v[25:26], v[23:24], off
	s_waitcnt vmcnt(0)
	v_fma_f64 v[25:26], v[31:32], s[34:35], v[25:26]
	global_store_b64 v[23:24], v[25:26], off
.LBB37_60:                              ;   in Loop: Header=BB37_4 Depth=1
	s_or_b32 exec_lo, exec_lo, s5
	s_and_b32 s5, s3, vcc_lo
	s_delay_alu instid0(SALU_CYCLE_1)
	s_and_saveexec_b32 s4, s5
	s_cbranch_execz .LBB37_62
; %bb.61:                               ;   in Loop: Header=BB37_4 Depth=1
	v_lshlrev_b64 v[23:24], 3, v[15:16]
	s_delay_alu instid0(VALU_DEP_1) | instskip(NEXT) | instid1(VALU_DEP_2)
	v_add_co_u32 v19, vcc_lo, v19, v23
	v_add_co_ci_u32_e32 v20, vcc_lo, v20, v24, vcc_lo
	global_load_b64 v[23:24], v[19:20], off
	s_waitcnt vmcnt(0)
	v_fma_f64 v[23:24], v[29:30], s[34:35], v[23:24]
	global_store_b64 v[19:20], v[23:24], off
.LBB37_62:                              ;   in Loop: Header=BB37_4 Depth=1
	s_or_b32 exec_lo, exec_lo, s4
	v_add_nc_u32_e32 v23, 16, v38
	s_delay_alu instid0(VALU_DEP_1) | instskip(SKIP_3) | instid1(VALU_DEP_4)
	v_ashrrev_i32_e32 v24, 31, v23
	v_mul_lo_u32 v25, v23, s41
	v_mad_u64_u32 v[19:20], null, v23, s40, 0
	v_cmp_gt_i32_e32 vcc_lo, s10, v23
	v_mul_lo_u32 v24, v24, s40
	s_delay_alu instid0(VALU_DEP_1) | instskip(NEXT) | instid1(VALU_DEP_1)
	v_add3_u32 v20, v20, v25, v24
	v_lshlrev_b64 v[19:20], 3, v[19:20]
	s_delay_alu instid0(VALU_DEP_1) | instskip(NEXT) | instid1(VALU_DEP_1)
	v_add_co_u32 v19, s4, s15, v19
	v_add_co_ci_u32_e64 v20, s4, s24, v20, s4
	s_and_b32 s4, s2, vcc_lo
	s_delay_alu instid0(SALU_CYCLE_1)
	s_and_saveexec_b32 s5, s4
	s_cbranch_execnz .LBB37_64
; %bb.63:                               ;   in Loop: Header=BB37_4 Depth=1
	s_or_b32 exec_lo, exec_lo, s5
	s_and_b32 s5, s3, vcc_lo
	s_delay_alu instid0(SALU_CYCLE_1)
	s_and_saveexec_b32 s4, s5
	s_cbranch_execz .LBB37_3
	s_branch .LBB37_65
.LBB37_64:                              ;   in Loop: Header=BB37_4 Depth=1
	v_add_co_u32 v23, s4, v19, v9
	s_delay_alu instid0(VALU_DEP_1)
	v_add_co_ci_u32_e64 v24, s4, v20, v10, s4
	global_load_b64 v[25:26], v[23:24], off
	s_waitcnt vmcnt(0)
	v_fma_f64 v[21:22], v[21:22], s[34:35], v[25:26]
	global_store_b64 v[23:24], v[21:22], off
	s_or_b32 exec_lo, exec_lo, s5
	s_and_b32 s5, s3, vcc_lo
	s_delay_alu instid0(SALU_CYCLE_1)
	s_and_saveexec_b32 s4, s5
	s_cbranch_execz .LBB37_3
.LBB37_65:                              ;   in Loop: Header=BB37_4 Depth=1
	v_lshlrev_b64 v[21:22], 3, v[15:16]
	s_delay_alu instid0(VALU_DEP_1) | instskip(NEXT) | instid1(VALU_DEP_2)
	v_add_co_u32 v19, vcc_lo, v19, v21
	v_add_co_ci_u32_e32 v20, vcc_lo, v20, v22, vcc_lo
	global_load_b64 v[21:22], v[19:20], off
	s_waitcnt vmcnt(0)
	v_fma_f64 v[17:18], v[17:18], s[34:35], v[21:22]
	global_store_b64 v[19:20], v[17:18], off
	s_branch .LBB37_3
.LBB37_66:
	s_nop 0
	s_sendmsg sendmsg(MSG_DEALLOC_VGPRS)
	s_endpgm
	.section	.rodata,"a",@progbits
	.p2align	6, 0x0
	.amdhsa_kernel _ZL30rocblas_trmm_outofplace_kernelIdLi32ELi2ELb1ELb0ELb0ELb0EdKddEv17rocblas_diagonal_iiT6_lPT7_lllS4_lllPT8_llli
		.amdhsa_group_segment_fixed_size 16384
		.amdhsa_private_segment_fixed_size 0
		.amdhsa_kernarg_size 392
		.amdhsa_user_sgpr_count 13
		.amdhsa_user_sgpr_dispatch_ptr 0
		.amdhsa_user_sgpr_queue_ptr 0
		.amdhsa_user_sgpr_kernarg_segment_ptr 1
		.amdhsa_user_sgpr_dispatch_id 0
		.amdhsa_user_sgpr_private_segment_size 0
		.amdhsa_wavefront_size32 1
		.amdhsa_uses_dynamic_stack 0
		.amdhsa_enable_private_segment 0
		.amdhsa_system_sgpr_workgroup_id_x 1
		.amdhsa_system_sgpr_workgroup_id_y 1
		.amdhsa_system_sgpr_workgroup_id_z 1
		.amdhsa_system_sgpr_workgroup_info 0
		.amdhsa_system_vgpr_workitem_id 1
		.amdhsa_next_free_vgpr 64
		.amdhsa_next_free_sgpr 44
		.amdhsa_reserve_vcc 1
		.amdhsa_float_round_mode_32 0
		.amdhsa_float_round_mode_16_64 0
		.amdhsa_float_denorm_mode_32 3
		.amdhsa_float_denorm_mode_16_64 3
		.amdhsa_dx10_clamp 1
		.amdhsa_ieee_mode 1
		.amdhsa_fp16_overflow 0
		.amdhsa_workgroup_processor_mode 1
		.amdhsa_memory_ordered 1
		.amdhsa_forward_progress 0
		.amdhsa_shared_vgpr_count 0
		.amdhsa_exception_fp_ieee_invalid_op 0
		.amdhsa_exception_fp_denorm_src 0
		.amdhsa_exception_fp_ieee_div_zero 0
		.amdhsa_exception_fp_ieee_overflow 0
		.amdhsa_exception_fp_ieee_underflow 0
		.amdhsa_exception_fp_ieee_inexact 0
		.amdhsa_exception_int_div_zero 0
	.end_amdhsa_kernel
	.section	.text._ZL30rocblas_trmm_outofplace_kernelIdLi32ELi2ELb1ELb0ELb0ELb0EdKddEv17rocblas_diagonal_iiT6_lPT7_lllS4_lllPT8_llli,"axG",@progbits,_ZL30rocblas_trmm_outofplace_kernelIdLi32ELi2ELb1ELb0ELb0ELb0EdKddEv17rocblas_diagonal_iiT6_lPT7_lllS4_lllPT8_llli,comdat
.Lfunc_end37:
	.size	_ZL30rocblas_trmm_outofplace_kernelIdLi32ELi2ELb1ELb0ELb0ELb0EdKddEv17rocblas_diagonal_iiT6_lPT7_lllS4_lllPT8_llli, .Lfunc_end37-_ZL30rocblas_trmm_outofplace_kernelIdLi32ELi2ELb1ELb0ELb0ELb0EdKddEv17rocblas_diagonal_iiT6_lPT7_lllS4_lllPT8_llli
                                        ; -- End function
	.section	.AMDGPU.csdata,"",@progbits
; Kernel info:
; codeLenInByte = 2828
; NumSgprs: 46
; NumVgprs: 64
; ScratchSize: 0
; MemoryBound: 1
; FloatMode: 240
; IeeeMode: 1
; LDSByteSize: 16384 bytes/workgroup (compile time only)
; SGPRBlocks: 5
; VGPRBlocks: 7
; NumSGPRsForWavesPerEU: 46
; NumVGPRsForWavesPerEU: 64
; Occupancy: 16
; WaveLimiterHint : 0
; COMPUTE_PGM_RSRC2:SCRATCH_EN: 0
; COMPUTE_PGM_RSRC2:USER_SGPR: 13
; COMPUTE_PGM_RSRC2:TRAP_HANDLER: 0
; COMPUTE_PGM_RSRC2:TGID_X_EN: 1
; COMPUTE_PGM_RSRC2:TGID_Y_EN: 1
; COMPUTE_PGM_RSRC2:TGID_Z_EN: 1
; COMPUTE_PGM_RSRC2:TIDIG_COMP_CNT: 1
	.section	.text._ZL30rocblas_trmm_outofplace_kernelIdLi32ELi2ELb1ELb1ELb0ELb0EPKdS0_dEv17rocblas_diagonal_iiT6_lPT7_lllS5_lllPT8_llli,"axG",@progbits,_ZL30rocblas_trmm_outofplace_kernelIdLi32ELi2ELb1ELb1ELb0ELb0EPKdS0_dEv17rocblas_diagonal_iiT6_lPT7_lllS5_lllPT8_llli,comdat
	.globl	_ZL30rocblas_trmm_outofplace_kernelIdLi32ELi2ELb1ELb1ELb0ELb0EPKdS0_dEv17rocblas_diagonal_iiT6_lPT7_lllS5_lllPT8_llli ; -- Begin function _ZL30rocblas_trmm_outofplace_kernelIdLi32ELi2ELb1ELb1ELb0ELb0EPKdS0_dEv17rocblas_diagonal_iiT6_lPT7_lllS5_lllPT8_llli
	.p2align	8
	.type	_ZL30rocblas_trmm_outofplace_kernelIdLi32ELi2ELb1ELb1ELb0ELb0EPKdS0_dEv17rocblas_diagonal_iiT6_lPT7_lllS5_lllPT8_llli,@function
_ZL30rocblas_trmm_outofplace_kernelIdLi32ELi2ELb1ELb1ELb0ELb0EPKdS0_dEv17rocblas_diagonal_iiT6_lPT7_lllS5_lllPT8_llli: ; @_ZL30rocblas_trmm_outofplace_kernelIdLi32ELi2ELb1ELb1ELb0ELb0EPKdS0_dEv17rocblas_diagonal_iiT6_lPT7_lllS5_lllPT8_llli
; %bb.0:
	s_load_b512 s[16:31], s[0:1], 0x10
	s_waitcnt lgkmcnt(0)
	s_mul_i32 s2, s15, s19
	s_mul_hi_u32 s3, s15, s18
	s_delay_alu instid0(SALU_CYCLE_1) | instskip(SKIP_1) | instid1(SALU_CYCLE_1)
	s_add_i32 s3, s3, s2
	s_mul_i32 s2, s15, s18
	s_lshl_b64 s[2:3], s[2:3], 3
	s_delay_alu instid0(SALU_CYCLE_1) | instskip(SKIP_4) | instid1(VALU_DEP_1)
	s_add_u32 s2, s16, s2
	s_addc_u32 s3, s17, s3
	s_load_b64 s[34:35], s[2:3], 0x0
	s_waitcnt lgkmcnt(0)
	v_cmp_eq_f64_e64 s2, s[34:35], 0
	s_and_b32 vcc_lo, exec_lo, s2
	s_cbranch_vccnz .LBB38_65
; %bb.1:
	s_load_b128 s[8:11], s[0:1], 0x0
	s_waitcnt lgkmcnt(0)
	s_add_i32 s2, s10, -1
	s_delay_alu instid0(SALU_CYCLE_1) | instskip(NEXT) | instid1(SALU_CYCLE_1)
	s_ashr_i32 s3, s2, 31
	s_lshr_b32 s3, s3, 27
	s_delay_alu instid0(SALU_CYCLE_1) | instskip(NEXT) | instid1(SALU_CYCLE_1)
	s_add_i32 s2, s2, s3
	s_ashr_i32 s11, s2, 5
	s_delay_alu instid0(SALU_CYCLE_1)
	s_cmp_gt_i32 s14, s11
	s_cbranch_scc1 .LBB38_65
; %bb.2:
	s_clause 0x1
	s_load_b256 s[36:43], s[0:1], 0x50
	s_load_b128 s[16:19], s[0:1], 0x70
	s_mul_i32 s3, s15, s27
	s_mul_hi_u32 s4, s15, s26
	s_mul_i32 s2, s15, s26
	s_add_i32 s3, s4, s3
	s_load_b32 s26, s[0:1], 0x8c
	s_lshl_b64 s[2:3], s[2:3], 3
	v_bfe_u32 v30, v0, 10, 10
	s_add_u32 s4, s20, s2
	s_addc_u32 s5, s21, s3
	s_lshl_b64 s[2:3], s[22:23], 3
	v_dual_mov_b32 v12, 0 :: v_dual_and_b32 v1, 0x3ff, v0
	s_add_u32 s4, s4, s2
	s_addc_u32 s5, s5, s3
	v_lshlrev_b32_e32 v10, 8, v30
	s_delay_alu instid0(VALU_DEP_2)
	v_lshlrev_b32_e32 v31, 3, v1
	v_mov_b32_e32 v13, 0x3ff00000
	s_waitcnt lgkmcnt(0)
	s_mul_i32 s1, s15, s39
	s_mul_hi_u32 s2, s15, s38
	s_mul_i32 s0, s15, s38
	s_add_i32 s1, s2, s1
	s_mul_i32 s3, s15, s19
	s_lshl_b64 s[0:1], s[0:1], 3
	s_mul_hi_u32 s6, s15, s18
	s_add_u32 s7, s28, s0
	s_addc_u32 s12, s29, s1
	s_lshl_b64 s[0:1], s[30:31], 3
	s_mul_i32 s2, s15, s18
	s_add_u32 s7, s7, s0
	s_addc_u32 s20, s12, s1
	s_add_i32 s3, s6, s3
	v_add_nc_u32_e32 v34, 0x2000, v10
	s_lshl_b64 s[0:1], s[2:3], 3
	v_add_nc_u32_e32 v35, v10, v31
	s_add_u32 s2, s40, s0
	s_addc_u32 s3, s41, s1
	s_lshl_b64 s[0:1], s[42:43], 3
	s_mov_b32 s12, s9
	s_add_u32 s15, s2, s0
	s_addc_u32 s27, s3, s1
	s_lshl_b32 s0, s13, 5
	v_add_nc_u32_e32 v36, v34, v31
	v_add_nc_u32_e32 v0, s0, v30
	;; [unrolled: 1-line block ×3, first 2 shown]
	s_sub_i32 s28, s9, s0
	s_delay_alu instid0(SALU_CYCLE_1) | instskip(NEXT) | instid1(VALU_DEP_2)
	s_cmp_gt_i32 s28, 0
	v_ashrrev_i32_e32 v1, 31, v0
	v_mul_lo_u32 v4, v0, s25
	v_mad_u64_u32 v[6:7], null, v0, s24, 0
	v_ashrrev_i32_e32 v3, 31, v2
	s_delay_alu instid0(VALU_DEP_4)
	v_mul_lo_u32 v5, v1, s24
	s_cselect_b32 s29, -1, 0
	s_cmpk_eq_i32 s8, 0x84
	v_add_nc_u32_e32 v10, 16, v2
	s_cselect_b32 s30, -1, 0
	s_ashr_i32 s13, s9, 31
	v_cmp_le_i32_e64 s0, s9, v2
	v_cmp_gt_i32_e64 s2, s9, v2
	v_add3_u32 v7, v7, v4, v5
	v_lshlrev_b64 v[4:5], 3, v[2:3]
	v_cmp_gt_i32_e64 s3, s9, v10
	v_ashrrev_i32_e32 v11, 31, v10
	s_ashr_i32 s31, s10, 31
	v_lshlrev_b64 v[8:9], 3, v[6:7]
	v_add_co_u32 v6, vcc_lo, v2, 16
	v_add_co_ci_u32_e32 v7, vcc_lo, 0, v3, vcc_lo
	s_lshl_b64 s[18:19], s[24:25], 8
	s_delay_alu instid0(VALU_DEP_3) | instskip(NEXT) | instid1(VALU_DEP_4)
	v_add_co_u32 v8, vcc_lo, s4, v8
	v_add_co_ci_u32_e32 v9, vcc_lo, s5, v9, vcc_lo
	v_add_co_u32 v32, vcc_lo, s7, v4
	v_add_co_ci_u32_e32 v33, vcc_lo, s20, v5, vcc_lo
	s_delay_alu instid0(VALU_DEP_4)
	v_add_co_u32 v8, vcc_lo, v8, v4
	v_cmp_le_i64_e64 s1, s[12:13], v[6:7]
	v_add_co_ci_u32_e32 v9, vcc_lo, v9, v5, vcc_lo
	s_lshl_b64 s[20:21], s[24:25], 4
	s_add_u32 s22, s9, -16
	s_addc_u32 s23, s13, -1
	s_lshl_b64 s[24:25], s[36:37], 4
	s_branch .LBB38_4
.LBB38_3:                               ;   in Loop: Header=BB38_4 Depth=1
	s_or_b32 exec_lo, exec_lo, s4
	s_add_i32 s14, s26, s14
	s_delay_alu instid0(SALU_CYCLE_1)
	s_cmp_le_i32 s14, s11
	s_cbranch_scc0 .LBB38_65
.LBB38_4:                               ; =>This Loop Header: Depth=1
                                        ;     Child Loop BB38_6 Depth 2
                                        ;       Child Loop BB38_55 Depth 3
	v_mov_b32_e32 v28, 0
	v_mov_b32_e32 v29, 0
	v_lshl_add_u32 v37, s14, 5, v30
	s_delay_alu instid0(VALU_DEP_3) | instskip(SKIP_1) | instid1(VALU_DEP_4)
	v_mov_b32_e32 v26, v28
	v_mov_b32_e32 v18, v28
	v_dual_mov_b32 v14, v28 :: v_dual_mov_b32 v15, v29
	s_delay_alu instid0(VALU_DEP_4)
	v_ashrrev_i32_e32 v38, 31, v37
	v_mov_b32_e32 v27, v29
	v_mov_b32_e32 v19, v29
	s_and_not1_b32 vcc_lo, exec_lo, s29
	s_cbranch_vccnz .LBB38_57
; %bb.5:                                ;   in Loop: Header=BB38_4 Depth=1
	v_mul_lo_u32 v14, v38, s36
	v_mul_lo_u32 v15, v37, s37
	v_mad_u64_u32 v[16:17], null, v37, s36, 0
	v_sub_co_u32 v18, vcc_lo, s10, v37
	v_sub_co_ci_u32_e32 v19, vcc_lo, s31, v38, vcc_lo
	v_dual_mov_b32 v21, v1 :: v_dual_mov_b32 v20, v0
	s_delay_alu instid0(VALU_DEP_4)
	v_add3_u32 v17, v17, v15, v14
	v_mov_b32_e32 v14, 0
	v_mov_b32_e32 v15, 0
	v_cmp_lt_i64_e32 vcc_lo, 0, v[18:19]
	v_cmp_lt_i64_e64 s4, 16, v[18:19]
	v_lshlrev_b64 v[16:17], 3, v[16:17]
	v_dual_mov_b32 v23, v3 :: v_dual_mov_b32 v22, v2
	v_dual_mov_b32 v19, v15 :: v_dual_mov_b32 v18, v14
	;; [unrolled: 1-line block ×3, first 2 shown]
	s_delay_alu instid0(VALU_DEP_4)
	v_add_co_u32 v16, s5, v32, v16
	v_dual_mov_b32 v29, v15 :: v_dual_mov_b32 v28, v14
	v_add_co_ci_u32_e64 v17, s5, v33, v17, s5
	v_dual_mov_b32 v25, v9 :: v_dual_mov_b32 v24, v8
	s_mov_b32 s9, 0
.LBB38_6:                               ;   Parent Loop BB38_4 Depth=1
                                        ; =>  This Loop Header: Depth=2
                                        ;       Child Loop BB38_55 Depth 3
	v_cmp_le_i64_e64 s6, s[12:13], v[20:21]
	v_cmp_eq_u64_e64 s7, v[20:21], v[2:3]
	v_cmp_lt_i64_e64 s5, v[20:21], v[2:3]
	s_delay_alu instid0(VALU_DEP_2) | instskip(NEXT) | instid1(VALU_DEP_1)
	s_and_b32 s38, s30, s7
	s_or_b32 s7, s6, s5
	s_delay_alu instid0(SALU_CYCLE_1) | instskip(NEXT) | instid1(SALU_CYCLE_1)
	s_or_b32 s7, s7, s38
	s_or_b32 s7, s0, s7
	s_delay_alu instid0(SALU_CYCLE_1) | instskip(NEXT) | instid1(SALU_CYCLE_1)
	s_xor_b32 s7, s7, -1
	s_and_saveexec_b32 s8, s7
	s_delay_alu instid0(SALU_CYCLE_1)
	s_xor_b32 s7, exec_lo, s8
	s_cbranch_execz .LBB38_8
; %bb.7:                                ;   in Loop: Header=BB38_6 Depth=2
	global_load_b64 v[39:40], v[24:25], off
	s_waitcnt vmcnt(0)
	ds_store_b64 v35, v[39:40]
.LBB38_8:                               ;   in Loop: Header=BB38_6 Depth=2
	s_or_saveexec_b32 s7, s7
	s_xor_b32 s33, s38, -1
	s_xor_b32 exec_lo, exec_lo, s7
	s_cbranch_execz .LBB38_14
; %bb.9:                                ;   in Loop: Header=BB38_6 Depth=2
	s_and_saveexec_b32 s8, s33
	s_delay_alu instid0(SALU_CYCLE_1)
	s_xor_b32 s8, exec_lo, s8
	s_cbranch_execz .LBB38_11
; %bb.10:                               ;   in Loop: Header=BB38_6 Depth=2
	v_mov_b32_e32 v39, v12
	v_mov_b32_e32 v40, v12
	ds_store_b64 v35, v[39:40]
.LBB38_11:                              ;   in Loop: Header=BB38_6 Depth=2
	s_and_not1_saveexec_b32 s8, s8
	s_cbranch_execz .LBB38_13
; %bb.12:                               ;   in Loop: Header=BB38_6 Depth=2
	ds_store_b64 v35, v[12:13]
.LBB38_13:                              ;   in Loop: Header=BB38_6 Depth=2
	s_or_b32 exec_lo, exec_lo, s8
.LBB38_14:                              ;   in Loop: Header=BB38_6 Depth=2
	s_delay_alu instid0(SALU_CYCLE_1) | instskip(SKIP_2) | instid1(VALU_DEP_2)
	s_or_b32 exec_lo, exec_lo, s7
	v_cmp_eq_u64_e64 s7, v[6:7], v[20:21]
	v_cmp_gt_i64_e64 s8, v[6:7], v[20:21]
	s_and_b32 s7, s30, s7
	s_delay_alu instid0(VALU_DEP_1) | instskip(NEXT) | instid1(SALU_CYCLE_1)
	s_or_b32 s6, s6, s8
	s_or_b32 s6, s6, s7
	s_delay_alu instid0(SALU_CYCLE_1) | instskip(NEXT) | instid1(SALU_CYCLE_1)
	s_or_b32 s6, s1, s6
	s_xor_b32 s6, s6, -1
	s_delay_alu instid0(SALU_CYCLE_1) | instskip(NEXT) | instid1(SALU_CYCLE_1)
	s_and_saveexec_b32 s8, s6
	s_xor_b32 s6, exec_lo, s8
	s_cbranch_execz .LBB38_16
; %bb.15:                               ;   in Loop: Header=BB38_6 Depth=2
	global_load_b64 v[39:40], v[24:25], off offset:128
	s_waitcnt vmcnt(0)
	ds_store_b64 v35, v[39:40] offset:128
.LBB38_16:                              ;   in Loop: Header=BB38_6 Depth=2
	s_and_not1_saveexec_b32 s6, s6
	s_cbranch_execz .LBB38_22
; %bb.17:                               ;   in Loop: Header=BB38_6 Depth=2
	s_xor_b32 s7, s7, -1
	s_delay_alu instid0(SALU_CYCLE_1) | instskip(NEXT) | instid1(SALU_CYCLE_1)
	s_and_saveexec_b32 s8, s7
	s_xor_b32 s7, exec_lo, s8
	s_cbranch_execz .LBB38_19
; %bb.18:                               ;   in Loop: Header=BB38_6 Depth=2
	v_mov_b32_e32 v39, v12
	v_mov_b32_e32 v40, v12
	ds_store_b64 v35, v[39:40] offset:128
.LBB38_19:                              ;   in Loop: Header=BB38_6 Depth=2
	s_and_not1_saveexec_b32 s7, s7
	s_cbranch_execz .LBB38_21
; %bb.20:                               ;   in Loop: Header=BB38_6 Depth=2
	ds_store_b64 v35, v[12:13] offset:128
.LBB38_21:                              ;   in Loop: Header=BB38_6 Depth=2
	s_or_b32 exec_lo, exec_lo, s7
.LBB38_22:                              ;   in Loop: Header=BB38_6 Depth=2
	s_delay_alu instid0(SALU_CYCLE_1) | instskip(SKIP_1) | instid1(VALU_DEP_1)
	s_or_b32 exec_lo, exec_lo, s6
	v_add_co_u32 v39, s6, v20, 16
	v_add_co_ci_u32_e64 v40, s6, 0, v21, s6
	s_delay_alu instid0(VALU_DEP_1) | instskip(SKIP_2) | instid1(VALU_DEP_2)
	v_cmp_le_i64_e64 s6, s[12:13], v[39:40]
	v_cmp_eq_u64_e64 s7, v[39:40], v[2:3]
	v_cmp_lt_i64_e64 s8, v[39:40], v[2:3]
	s_and_b32 s39, s30, s7
	s_delay_alu instid0(VALU_DEP_1) | instskip(NEXT) | instid1(SALU_CYCLE_1)
	s_or_b32 s7, s6, s8
	s_or_b32 s7, s7, s39
	s_delay_alu instid0(SALU_CYCLE_1) | instskip(NEXT) | instid1(SALU_CYCLE_1)
	s_or_b32 s7, s0, s7
	s_xor_b32 s7, s7, -1
	s_delay_alu instid0(SALU_CYCLE_1) | instskip(NEXT) | instid1(SALU_CYCLE_1)
	s_and_saveexec_b32 s8, s7
	s_xor_b32 s8, exec_lo, s8
	s_cbranch_execz .LBB38_24
; %bb.23:                               ;   in Loop: Header=BB38_6 Depth=2
	s_lshl_b64 s[40:41], s[20:21], 3
	s_delay_alu instid0(SALU_CYCLE_1) | instskip(NEXT) | instid1(VALU_DEP_1)
	v_add_co_u32 v39, s7, v24, s40
	v_add_co_ci_u32_e64 v40, s7, s41, v25, s7
	global_load_b64 v[39:40], v[39:40], off
	s_waitcnt vmcnt(0)
	ds_store_b64 v35, v[39:40] offset:4096
.LBB38_24:                              ;   in Loop: Header=BB38_6 Depth=2
	s_and_not1_saveexec_b32 s7, s8
	s_cbranch_execz .LBB38_30
; %bb.25:                               ;   in Loop: Header=BB38_6 Depth=2
	s_xor_b32 s8, s39, -1
	s_delay_alu instid0(SALU_CYCLE_1) | instskip(NEXT) | instid1(SALU_CYCLE_1)
	s_and_saveexec_b32 s39, s8
	s_xor_b32 s8, exec_lo, s39
	s_cbranch_execz .LBB38_27
; %bb.26:                               ;   in Loop: Header=BB38_6 Depth=2
	v_mov_b32_e32 v39, v12
	v_mov_b32_e32 v40, v12
	ds_store_b64 v35, v[39:40] offset:4096
.LBB38_27:                              ;   in Loop: Header=BB38_6 Depth=2
	s_and_not1_saveexec_b32 s8, s8
	s_cbranch_execz .LBB38_29
; %bb.28:                               ;   in Loop: Header=BB38_6 Depth=2
	ds_store_b64 v35, v[12:13] offset:4096
.LBB38_29:                              ;   in Loop: Header=BB38_6 Depth=2
	s_or_b32 exec_lo, exec_lo, s8
.LBB38_30:                              ;   in Loop: Header=BB38_6 Depth=2
	s_delay_alu instid0(SALU_CYCLE_1) | instskip(SKIP_1) | instid1(SALU_CYCLE_1)
	s_or_b32 exec_lo, exec_lo, s7
	s_or_b32 s5, s6, s5
	s_or_b32 s5, s5, s38
	s_delay_alu instid0(SALU_CYCLE_1) | instskip(NEXT) | instid1(SALU_CYCLE_1)
	s_or_b32 s5, s1, s5
	s_xor_b32 s5, s5, -1
	s_delay_alu instid0(SALU_CYCLE_1) | instskip(NEXT) | instid1(SALU_CYCLE_1)
	s_and_saveexec_b32 s6, s5
	s_xor_b32 s6, exec_lo, s6
	s_cbranch_execz .LBB38_32
; %bb.31:                               ;   in Loop: Header=BB38_6 Depth=2
	s_lshl_b64 s[38:39], s[20:21], 3
	s_delay_alu instid0(SALU_CYCLE_1) | instskip(NEXT) | instid1(VALU_DEP_1)
	v_add_co_u32 v39, s5, v24, s38
	v_add_co_ci_u32_e64 v40, s5, s39, v25, s5
	global_load_b64 v[39:40], v[39:40], off offset:128
	s_waitcnt vmcnt(0)
	ds_store_b64 v35, v[39:40] offset:4224
.LBB38_32:                              ;   in Loop: Header=BB38_6 Depth=2
	s_and_not1_saveexec_b32 s5, s6
	s_cbranch_execz .LBB38_38
; %bb.33:                               ;   in Loop: Header=BB38_6 Depth=2
	s_and_saveexec_b32 s6, s33
	s_delay_alu instid0(SALU_CYCLE_1)
	s_xor_b32 s6, exec_lo, s6
	s_cbranch_execz .LBB38_35
; %bb.34:                               ;   in Loop: Header=BB38_6 Depth=2
	v_mov_b32_e32 v39, v12
	v_mov_b32_e32 v40, v12
	ds_store_b64 v35, v[39:40] offset:4224
.LBB38_35:                              ;   in Loop: Header=BB38_6 Depth=2
	s_and_not1_saveexec_b32 s6, s6
	s_cbranch_execz .LBB38_37
; %bb.36:                               ;   in Loop: Header=BB38_6 Depth=2
	ds_store_b64 v35, v[12:13] offset:4224
.LBB38_37:                              ;   in Loop: Header=BB38_6 Depth=2
	s_or_b32 exec_lo, exec_lo, s6
.LBB38_38:                              ;   in Loop: Header=BB38_6 Depth=2
	s_delay_alu instid0(SALU_CYCLE_1) | instskip(SKIP_1) | instid1(VALU_DEP_1)
	s_or_b32 exec_lo, exec_lo, s5
	v_cmp_gt_i64_e64 s6, s[12:13], v[22:23]
	s_and_b32 s5, vcc_lo, s6
	s_delay_alu instid0(SALU_CYCLE_1) | instskip(NEXT) | instid1(SALU_CYCLE_1)
	s_xor_b32 s5, s5, -1
	s_and_saveexec_b32 s7, s5
	s_delay_alu instid0(SALU_CYCLE_1)
	s_xor_b32 s5, exec_lo, s7
	s_cbranch_execz .LBB38_40
; %bb.39:                               ;   in Loop: Header=BB38_6 Depth=2
	v_mov_b32_e32 v39, v12
	v_mov_b32_e32 v40, v12
	ds_store_b64 v36, v[39:40]
.LBB38_40:                              ;   in Loop: Header=BB38_6 Depth=2
	s_and_not1_saveexec_b32 s5, s5
	s_cbranch_execz .LBB38_42
; %bb.41:                               ;   in Loop: Header=BB38_6 Depth=2
	global_load_b64 v[39:40], v[16:17], off
	s_waitcnt vmcnt(0)
	ds_store_b64 v36, v[39:40]
.LBB38_42:                              ;   in Loop: Header=BB38_6 Depth=2
	s_or_b32 exec_lo, exec_lo, s5
	v_cmp_gt_i64_e64 s5, s[22:23], v[22:23]
	s_delay_alu instid0(VALU_DEP_1) | instskip(NEXT) | instid1(SALU_CYCLE_1)
	s_and_b32 s7, vcc_lo, s5
	s_xor_b32 s7, s7, -1
	s_delay_alu instid0(SALU_CYCLE_1) | instskip(NEXT) | instid1(SALU_CYCLE_1)
	s_and_saveexec_b32 s8, s7
	s_xor_b32 s7, exec_lo, s8
	s_cbranch_execz .LBB38_44
; %bb.43:                               ;   in Loop: Header=BB38_6 Depth=2
	v_mov_b32_e32 v39, v12
	v_mov_b32_e32 v40, v12
	ds_store_b64 v36, v[39:40] offset:128
.LBB38_44:                              ;   in Loop: Header=BB38_6 Depth=2
	s_and_not1_saveexec_b32 s7, s7
	s_cbranch_execz .LBB38_46
; %bb.45:                               ;   in Loop: Header=BB38_6 Depth=2
	global_load_b64 v[39:40], v[16:17], off offset:128
	s_waitcnt vmcnt(0)
	ds_store_b64 v36, v[39:40] offset:128
.LBB38_46:                              ;   in Loop: Header=BB38_6 Depth=2
	s_or_b32 exec_lo, exec_lo, s7
	s_and_b32 s6, s4, s6
	s_delay_alu instid0(SALU_CYCLE_1) | instskip(NEXT) | instid1(SALU_CYCLE_1)
	s_xor_b32 s6, s6, -1
	s_and_saveexec_b32 s7, s6
	s_delay_alu instid0(SALU_CYCLE_1)
	s_xor_b32 s6, exec_lo, s7
	s_cbranch_execz .LBB38_48
; %bb.47:                               ;   in Loop: Header=BB38_6 Depth=2
	v_mov_b32_e32 v39, v12
	v_mov_b32_e32 v40, v12
	ds_store_b64 v36, v[39:40] offset:4096
.LBB38_48:                              ;   in Loop: Header=BB38_6 Depth=2
	s_and_not1_saveexec_b32 s7, s6
	s_cbranch_execz .LBB38_50
; %bb.49:                               ;   in Loop: Header=BB38_6 Depth=2
	s_lshl_b64 s[38:39], s[24:25], 3
	s_delay_alu instid0(SALU_CYCLE_1) | instskip(NEXT) | instid1(VALU_DEP_1)
	v_add_co_u32 v39, s6, v16, s38
	v_add_co_ci_u32_e64 v40, s6, s39, v17, s6
	global_load_b64 v[39:40], v[39:40], off
	s_waitcnt vmcnt(0)
	ds_store_b64 v36, v[39:40] offset:4096
.LBB38_50:                              ;   in Loop: Header=BB38_6 Depth=2
	s_or_b32 exec_lo, exec_lo, s7
	s_and_b32 s5, s4, s5
	s_delay_alu instid0(SALU_CYCLE_1) | instskip(NEXT) | instid1(SALU_CYCLE_1)
	s_xor_b32 s5, s5, -1
	s_and_saveexec_b32 s6, s5
	s_delay_alu instid0(SALU_CYCLE_1)
	s_xor_b32 s5, exec_lo, s6
	s_cbranch_execz .LBB38_52
; %bb.51:                               ;   in Loop: Header=BB38_6 Depth=2
	v_mov_b32_e32 v39, v12
	v_mov_b32_e32 v40, v12
	ds_store_b64 v36, v[39:40] offset:4224
.LBB38_52:                              ;   in Loop: Header=BB38_6 Depth=2
	s_and_not1_saveexec_b32 s6, s5
	s_cbranch_execz .LBB38_54
; %bb.53:                               ;   in Loop: Header=BB38_6 Depth=2
	s_lshl_b64 s[38:39], s[24:25], 3
	s_delay_alu instid0(SALU_CYCLE_1) | instskip(NEXT) | instid1(VALU_DEP_1)
	v_add_co_u32 v39, s5, v16, s38
	v_add_co_ci_u32_e64 v40, s5, s39, v17, s5
	global_load_b64 v[39:40], v[39:40], off offset:128
	s_waitcnt vmcnt(0)
	ds_store_b64 v36, v[39:40] offset:4224
.LBB38_54:                              ;   in Loop: Header=BB38_6 Depth=2
	s_or_b32 exec_lo, exec_lo, s6
	v_mov_b32_e32 v39, v31
	s_mov_b32 s5, 0
	s_waitcnt lgkmcnt(0)
	s_waitcnt_vscnt null, 0x0
	s_barrier
	buffer_gl0_inv
.LBB38_55:                              ;   Parent Loop BB38_4 Depth=1
                                        ;     Parent Loop BB38_6 Depth=2
                                        ; =>    This Inner Loop Header: Depth=3
	v_add_nc_u32_e32 v62, s5, v34
	s_add_i32 s5, s5, 64
	ds_load_2addr_b64 v[40:43], v39 offset1:16
	ds_load_b128 v[44:47], v62
	ds_load_b128 v[48:51], v62 offset:4096
	ds_load_b128 v[52:55], v62 offset:16
	;; [unrolled: 1-line block ×3, first 2 shown]
	s_cmpk_lg_i32 s5, 0x100
	s_waitcnt lgkmcnt(3)
	v_fma_f64 v[60:61], v[40:41], v[44:45], v[28:29]
	v_fma_f64 v[44:45], v[42:43], v[44:45], v[26:27]
	s_waitcnt lgkmcnt(2)
	v_fma_f64 v[18:19], v[40:41], v[48:49], v[18:19]
	v_fma_f64 v[14:15], v[42:43], v[48:49], v[14:15]
	ds_load_2addr_b64 v[26:29], v39 offset0:32 offset1:48
	s_waitcnt lgkmcnt(0)
	v_fma_f64 v[40:41], v[26:27], v[46:47], v[60:61]
	v_fma_f64 v[42:43], v[28:29], v[46:47], v[44:45]
	v_fma_f64 v[18:19], v[26:27], v[50:51], v[18:19]
	v_fma_f64 v[14:15], v[28:29], v[50:51], v[14:15]
	ds_load_2addr_b64 v[26:29], v39 offset0:64 offset1:80
	s_waitcnt lgkmcnt(0)
	v_fma_f64 v[40:41], v[26:27], v[52:53], v[40:41]
	v_fma_f64 v[42:43], v[28:29], v[52:53], v[42:43]
	;; [unrolled: 6-line block ×3, first 2 shown]
	v_fma_f64 v[18:19], v[26:27], v[58:59], v[18:19]
	v_fma_f64 v[14:15], v[28:29], v[58:59], v[14:15]
	ds_load_2addr_b64 v[26:29], v39 offset0:128 offset1:144
	ds_load_b128 v[40:43], v62 offset:32
	ds_load_b128 v[44:47], v62 offset:4128
	;; [unrolled: 1-line block ×4, first 2 shown]
	s_waitcnt lgkmcnt(3)
	v_fma_f64 v[56:57], v[26:27], v[40:41], v[56:57]
	v_fma_f64 v[40:41], v[28:29], v[40:41], v[60:61]
	s_waitcnt lgkmcnt(2)
	v_fma_f64 v[18:19], v[26:27], v[44:45], v[18:19]
	v_fma_f64 v[14:15], v[28:29], v[44:45], v[14:15]
	ds_load_2addr_b64 v[26:29], v39 offset0:160 offset1:176
	s_waitcnt lgkmcnt(0)
	v_fma_f64 v[44:45], v[26:27], v[42:43], v[56:57]
	v_fma_f64 v[40:41], v[28:29], v[42:43], v[40:41]
	;; [unrolled: 1-line block ×4, first 2 shown]
	ds_load_2addr_b64 v[26:29], v39 offset0:192 offset1:208
	s_waitcnt lgkmcnt(0)
	v_fma_f64 v[44:45], v[26:27], v[48:49], v[44:45]
	v_fma_f64 v[46:47], v[28:29], v[48:49], v[40:41]
	;; [unrolled: 1-line block ×4, first 2 shown]
	ds_load_2addr_b64 v[40:43], v39 offset0:224 offset1:240
	v_add_nc_u32_e32 v39, 0x800, v39
	s_waitcnt lgkmcnt(0)
	v_fma_f64 v[28:29], v[40:41], v[50:51], v[44:45]
	v_fma_f64 v[26:27], v[42:43], v[50:51], v[46:47]
	;; [unrolled: 1-line block ×4, first 2 shown]
	s_cbranch_scc1 .LBB38_55
; %bb.56:                               ;   in Loop: Header=BB38_6 Depth=2
	v_add_co_u32 v24, s5, v24, s18
	s_delay_alu instid0(VALU_DEP_1) | instskip(SKIP_1) | instid1(VALU_DEP_1)
	v_add_co_ci_u32_e64 v25, s5, s19, v25, s5
	v_add_co_u32 v20, s5, v20, 32
	v_add_co_ci_u32_e64 v21, s5, 0, v21, s5
	v_add_co_u32 v16, s5, 0x100, v16
	s_delay_alu instid0(VALU_DEP_1) | instskip(SKIP_1) | instid1(VALU_DEP_1)
	v_add_co_ci_u32_e64 v17, s5, 0, v17, s5
	v_add_co_u32 v22, s5, v22, 32
	v_add_co_ci_u32_e64 v23, s5, 0, v23, s5
	s_add_i32 s9, s9, 32
	s_delay_alu instid0(SALU_CYCLE_1)
	s_cmp_ge_i32 s9, s28
	s_barrier
	buffer_gl0_inv
	s_cbranch_scc0 .LBB38_6
.LBB38_57:                              ;   in Loop: Header=BB38_4 Depth=1
	v_mul_lo_u32 v20, v38, s16
	v_mul_lo_u32 v21, v37, s17
	v_mad_u64_u32 v[16:17], null, v37, s16, 0
	v_cmp_gt_i32_e32 vcc_lo, s10, v37
	s_delay_alu instid0(VALU_DEP_2) | instskip(NEXT) | instid1(VALU_DEP_1)
	v_add3_u32 v17, v17, v21, v20
	v_lshlrev_b64 v[16:17], 3, v[16:17]
	s_delay_alu instid0(VALU_DEP_1) | instskip(NEXT) | instid1(VALU_DEP_1)
	v_add_co_u32 v16, s4, s15, v16
	v_add_co_ci_u32_e64 v17, s4, s27, v17, s4
	s_and_b32 s4, s2, vcc_lo
	s_delay_alu instid0(SALU_CYCLE_1)
	s_and_saveexec_b32 s5, s4
	s_cbranch_execz .LBB38_59
; %bb.58:                               ;   in Loop: Header=BB38_4 Depth=1
	v_add_co_u32 v20, s4, v16, v4
	s_delay_alu instid0(VALU_DEP_1)
	v_add_co_ci_u32_e64 v21, s4, v17, v5, s4
	global_load_b64 v[22:23], v[20:21], off
	s_waitcnt vmcnt(0)
	v_fma_f64 v[22:23], s[34:35], v[28:29], v[22:23]
	global_store_b64 v[20:21], v[22:23], off
.LBB38_59:                              ;   in Loop: Header=BB38_4 Depth=1
	s_or_b32 exec_lo, exec_lo, s5
	s_and_b32 s5, s3, vcc_lo
	s_delay_alu instid0(SALU_CYCLE_1)
	s_and_saveexec_b32 s4, s5
	s_cbranch_execz .LBB38_61
; %bb.60:                               ;   in Loop: Header=BB38_4 Depth=1
	v_lshlrev_b64 v[20:21], 3, v[10:11]
	s_delay_alu instid0(VALU_DEP_1) | instskip(NEXT) | instid1(VALU_DEP_2)
	v_add_co_u32 v16, vcc_lo, v16, v20
	v_add_co_ci_u32_e32 v17, vcc_lo, v17, v21, vcc_lo
	global_load_b64 v[20:21], v[16:17], off
	s_waitcnt vmcnt(0)
	v_fma_f64 v[20:21], s[34:35], v[26:27], v[20:21]
	global_store_b64 v[16:17], v[20:21], off
.LBB38_61:                              ;   in Loop: Header=BB38_4 Depth=1
	s_or_b32 exec_lo, exec_lo, s4
	v_add_nc_u32_e32 v20, 16, v37
	s_delay_alu instid0(VALU_DEP_1) | instskip(SKIP_3) | instid1(VALU_DEP_4)
	v_ashrrev_i32_e32 v21, 31, v20
	v_mul_lo_u32 v22, v20, s17
	v_mad_u64_u32 v[16:17], null, v20, s16, 0
	v_cmp_gt_i32_e32 vcc_lo, s10, v20
	v_mul_lo_u32 v21, v21, s16
	s_delay_alu instid0(VALU_DEP_1) | instskip(NEXT) | instid1(VALU_DEP_1)
	v_add3_u32 v17, v17, v22, v21
	v_lshlrev_b64 v[16:17], 3, v[16:17]
	s_delay_alu instid0(VALU_DEP_1) | instskip(NEXT) | instid1(VALU_DEP_1)
	v_add_co_u32 v16, s4, s15, v16
	v_add_co_ci_u32_e64 v17, s4, s27, v17, s4
	s_and_b32 s4, s2, vcc_lo
	s_delay_alu instid0(SALU_CYCLE_1)
	s_and_saveexec_b32 s5, s4
	s_cbranch_execnz .LBB38_63
; %bb.62:                               ;   in Loop: Header=BB38_4 Depth=1
	s_or_b32 exec_lo, exec_lo, s5
	s_and_b32 s5, s3, vcc_lo
	s_delay_alu instid0(SALU_CYCLE_1)
	s_and_saveexec_b32 s4, s5
	s_cbranch_execz .LBB38_3
	s_branch .LBB38_64
.LBB38_63:                              ;   in Loop: Header=BB38_4 Depth=1
	v_add_co_u32 v20, s4, v16, v4
	s_delay_alu instid0(VALU_DEP_1)
	v_add_co_ci_u32_e64 v21, s4, v17, v5, s4
	global_load_b64 v[22:23], v[20:21], off
	s_waitcnt vmcnt(0)
	v_fma_f64 v[18:19], s[34:35], v[18:19], v[22:23]
	global_store_b64 v[20:21], v[18:19], off
	s_or_b32 exec_lo, exec_lo, s5
	s_and_b32 s5, s3, vcc_lo
	s_delay_alu instid0(SALU_CYCLE_1)
	s_and_saveexec_b32 s4, s5
	s_cbranch_execz .LBB38_3
.LBB38_64:                              ;   in Loop: Header=BB38_4 Depth=1
	v_lshlrev_b64 v[18:19], 3, v[10:11]
	s_delay_alu instid0(VALU_DEP_1) | instskip(NEXT) | instid1(VALU_DEP_2)
	v_add_co_u32 v16, vcc_lo, v16, v18
	v_add_co_ci_u32_e32 v17, vcc_lo, v17, v19, vcc_lo
	global_load_b64 v[18:19], v[16:17], off
	s_waitcnt vmcnt(0)
	v_fma_f64 v[14:15], s[34:35], v[14:15], v[18:19]
	global_store_b64 v[16:17], v[14:15], off
	s_branch .LBB38_3
.LBB38_65:
	s_nop 0
	s_sendmsg sendmsg(MSG_DEALLOC_VGPRS)
	s_endpgm
	.section	.rodata,"a",@progbits
	.p2align	6, 0x0
	.amdhsa_kernel _ZL30rocblas_trmm_outofplace_kernelIdLi32ELi2ELb1ELb1ELb0ELb0EPKdS0_dEv17rocblas_diagonal_iiT6_lPT7_lllS5_lllPT8_llli
		.amdhsa_group_segment_fixed_size 16384
		.amdhsa_private_segment_fixed_size 0
		.amdhsa_kernarg_size 392
		.amdhsa_user_sgpr_count 13
		.amdhsa_user_sgpr_dispatch_ptr 0
		.amdhsa_user_sgpr_queue_ptr 0
		.amdhsa_user_sgpr_kernarg_segment_ptr 1
		.amdhsa_user_sgpr_dispatch_id 0
		.amdhsa_user_sgpr_private_segment_size 0
		.amdhsa_wavefront_size32 1
		.amdhsa_uses_dynamic_stack 0
		.amdhsa_enable_private_segment 0
		.amdhsa_system_sgpr_workgroup_id_x 1
		.amdhsa_system_sgpr_workgroup_id_y 1
		.amdhsa_system_sgpr_workgroup_id_z 1
		.amdhsa_system_sgpr_workgroup_info 0
		.amdhsa_system_vgpr_workitem_id 1
		.amdhsa_next_free_vgpr 63
		.amdhsa_next_free_sgpr 44
		.amdhsa_reserve_vcc 1
		.amdhsa_float_round_mode_32 0
		.amdhsa_float_round_mode_16_64 0
		.amdhsa_float_denorm_mode_32 3
		.amdhsa_float_denorm_mode_16_64 3
		.amdhsa_dx10_clamp 1
		.amdhsa_ieee_mode 1
		.amdhsa_fp16_overflow 0
		.amdhsa_workgroup_processor_mode 1
		.amdhsa_memory_ordered 1
		.amdhsa_forward_progress 0
		.amdhsa_shared_vgpr_count 0
		.amdhsa_exception_fp_ieee_invalid_op 0
		.amdhsa_exception_fp_denorm_src 0
		.amdhsa_exception_fp_ieee_div_zero 0
		.amdhsa_exception_fp_ieee_overflow 0
		.amdhsa_exception_fp_ieee_underflow 0
		.amdhsa_exception_fp_ieee_inexact 0
		.amdhsa_exception_int_div_zero 0
	.end_amdhsa_kernel
	.section	.text._ZL30rocblas_trmm_outofplace_kernelIdLi32ELi2ELb1ELb1ELb0ELb0EPKdS0_dEv17rocblas_diagonal_iiT6_lPT7_lllS5_lllPT8_llli,"axG",@progbits,_ZL30rocblas_trmm_outofplace_kernelIdLi32ELi2ELb1ELb1ELb0ELb0EPKdS0_dEv17rocblas_diagonal_iiT6_lPT7_lllS5_lllPT8_llli,comdat
.Lfunc_end38:
	.size	_ZL30rocblas_trmm_outofplace_kernelIdLi32ELi2ELb1ELb1ELb0ELb0EPKdS0_dEv17rocblas_diagonal_iiT6_lPT7_lllS5_lllPT8_llli, .Lfunc_end38-_ZL30rocblas_trmm_outofplace_kernelIdLi32ELi2ELb1ELb1ELb0ELb0EPKdS0_dEv17rocblas_diagonal_iiT6_lPT7_lllS5_lllPT8_llli
                                        ; -- End function
	.section	.AMDGPU.csdata,"",@progbits
; Kernel info:
; codeLenInByte = 2876
; NumSgprs: 46
; NumVgprs: 63
; ScratchSize: 0
; MemoryBound: 1
; FloatMode: 240
; IeeeMode: 1
; LDSByteSize: 16384 bytes/workgroup (compile time only)
; SGPRBlocks: 5
; VGPRBlocks: 7
; NumSGPRsForWavesPerEU: 46
; NumVGPRsForWavesPerEU: 63
; Occupancy: 16
; WaveLimiterHint : 0
; COMPUTE_PGM_RSRC2:SCRATCH_EN: 0
; COMPUTE_PGM_RSRC2:USER_SGPR: 13
; COMPUTE_PGM_RSRC2:TRAP_HANDLER: 0
; COMPUTE_PGM_RSRC2:TGID_X_EN: 1
; COMPUTE_PGM_RSRC2:TGID_Y_EN: 1
; COMPUTE_PGM_RSRC2:TGID_Z_EN: 1
; COMPUTE_PGM_RSRC2:TIDIG_COMP_CNT: 1
	.section	.text._ZL30rocblas_trmm_outofplace_kernelIdLi32ELi2ELb1ELb1ELb0ELb0EdKddEv17rocblas_diagonal_iiT6_lPT7_lllS4_lllPT8_llli,"axG",@progbits,_ZL30rocblas_trmm_outofplace_kernelIdLi32ELi2ELb1ELb1ELb0ELb0EdKddEv17rocblas_diagonal_iiT6_lPT7_lllS4_lllPT8_llli,comdat
	.globl	_ZL30rocblas_trmm_outofplace_kernelIdLi32ELi2ELb1ELb1ELb0ELb0EdKddEv17rocblas_diagonal_iiT6_lPT7_lllS4_lllPT8_llli ; -- Begin function _ZL30rocblas_trmm_outofplace_kernelIdLi32ELi2ELb1ELb1ELb0ELb0EdKddEv17rocblas_diagonal_iiT6_lPT7_lllS4_lllPT8_llli
	.p2align	8
	.type	_ZL30rocblas_trmm_outofplace_kernelIdLi32ELi2ELb1ELb1ELb0ELb0EdKddEv17rocblas_diagonal_iiT6_lPT7_lllS4_lllPT8_llli,@function
_ZL30rocblas_trmm_outofplace_kernelIdLi32ELi2ELb1ELb1ELb0ELb0EdKddEv17rocblas_diagonal_iiT6_lPT7_lllS4_lllPT8_llli: ; @_ZL30rocblas_trmm_outofplace_kernelIdLi32ELi2ELb1ELb1ELb0ELb0EdKddEv17rocblas_diagonal_iiT6_lPT7_lllS4_lllPT8_llli
; %bb.0:
	s_load_b64 s[34:35], s[0:1], 0x10
	s_waitcnt lgkmcnt(0)
	v_cmp_eq_f64_e64 s2, s[34:35], 0
	s_delay_alu instid0(VALU_DEP_1)
	s_and_b32 vcc_lo, exec_lo, s2
	s_cbranch_vccnz .LBB39_65
; %bb.1:
	s_load_b128 s[8:11], s[0:1], 0x0
	s_waitcnt lgkmcnt(0)
	s_add_i32 s2, s10, -1
	s_delay_alu instid0(SALU_CYCLE_1) | instskip(NEXT) | instid1(SALU_CYCLE_1)
	s_ashr_i32 s3, s2, 31
	s_lshr_b32 s3, s3, 27
	s_delay_alu instid0(SALU_CYCLE_1) | instskip(NEXT) | instid1(SALU_CYCLE_1)
	s_add_i32 s2, s2, s3
	s_ashr_i32 s11, s2, 5
	s_delay_alu instid0(SALU_CYCLE_1)
	s_cmp_gt_i32 s14, s11
	s_cbranch_scc1 .LBB39_65
; %bb.2:
	s_clause 0x1
	s_load_b512 s[16:31], s[0:1], 0x20
	s_load_b256 s[36:43], s[0:1], 0x60
	v_dual_mov_b32 v12, 0 :: v_dual_and_b32 v1, 0x3ff, v0
	v_bfe_u32 v30, v0, 10, 10
	s_mov_b32 s12, s9
	v_mov_b32_e32 v13, 0x3ff00000
	s_delay_alu instid0(VALU_DEP_3) | instskip(NEXT) | instid1(VALU_DEP_3)
	v_lshlrev_b32_e32 v31, 3, v1
	v_lshlrev_b32_e32 v0, 8, v30
	s_delay_alu instid0(VALU_DEP_1) | instskip(SKIP_1) | instid1(VALU_DEP_1)
	v_add_nc_u32_e32 v32, v0, v31
	v_add_nc_u32_e32 v33, 0x2000, v0
	;; [unrolled: 1-line block ×3, first 2 shown]
	s_waitcnt lgkmcnt(0)
	s_mul_i32 s3, s15, s23
	s_mul_hi_u32 s4, s15, s22
	s_mul_i32 s2, s15, s22
	s_add_i32 s3, s4, s3
	s_mul_i32 s5, s15, s31
	s_lshl_b64 s[2:3], s[2:3], 3
	s_mul_hi_u32 s6, s15, s30
	s_add_u32 s7, s16, s2
	s_addc_u32 s16, s17, s3
	s_lshl_b64 s[2:3], s[18:19], 3
	s_mul_i32 s4, s15, s30
	s_add_u32 s7, s7, s2
	s_addc_u32 s22, s16, s3
	s_add_i32 s5, s6, s5
	s_mul_i32 s6, s15, s43
	s_lshl_b64 s[2:3], s[4:5], 3
	s_mul_hi_u32 s5, s15, s42
	s_add_u32 s16, s24, s2
	s_addc_u32 s17, s25, s3
	s_lshl_b64 s[2:3], s[26:27], 3
	s_mul_i32 s4, s15, s42
	s_add_u32 s23, s16, s2
	s_addc_u32 s33, s17, s3
	s_add_i32 s5, s5, s6
	s_load_b32 s15, s[0:1], 0x8c
	s_lshl_b64 s[2:3], s[4:5], 3
	s_delay_alu instid0(SALU_CYCLE_1) | instskip(SKIP_2) | instid1(SALU_CYCLE_1)
	s_add_u32 s2, s36, s2
	s_addc_u32 s3, s37, s3
	s_lshl_b64 s[0:1], s[38:39], 3
	s_add_u32 s24, s2, s0
	s_addc_u32 s25, s3, s1
	s_lshl_b32 s0, s13, 5
	s_delay_alu instid0(SALU_CYCLE_1) | instskip(SKIP_2) | instid1(SALU_CYCLE_1)
	v_add_nc_u32_e32 v0, s0, v30
	v_add_nc_u32_e32 v2, s0, v1
	s_sub_i32 s26, s9, s0
	s_cmp_gt_i32 s26, 0
	s_delay_alu instid0(VALU_DEP_2) | instskip(SKIP_3) | instid1(VALU_DEP_4)
	v_ashrrev_i32_e32 v1, 31, v0
	v_mul_lo_u32 v5, v0, s21
	v_mad_u64_u32 v[8:9], null, v0, s20, 0
	v_ashrrev_i32_e32 v3, 31, v2
	v_mul_lo_u32 v6, v1, s20
	s_cselect_b32 s27, -1, 0
	s_cmpk_eq_i32 s8, 0x84
	v_add_nc_u32_e32 v4, 16, v2
	s_cselect_b32 s30, -1, 0
	s_ashr_i32 s13, s9, 31
	v_cmp_le_i32_e64 s0, s9, v2
	v_cmp_gt_i32_e64 s1, s9, v2
	v_add3_u32 v9, v9, v5, v6
	v_add_co_u32 v6, vcc_lo, v2, 16
	v_add_co_ci_u32_e32 v7, vcc_lo, 0, v3, vcc_lo
	s_delay_alu instid0(VALU_DEP_3) | instskip(SKIP_2) | instid1(VALU_DEP_4)
	v_lshlrev_b64 v[10:11], 3, v[8:9]
	v_lshlrev_b64 v[8:9], 3, v[2:3]
	v_cmp_gt_i32_e64 s2, s9, v4
	v_cmp_le_i64_e64 s3, s[12:13], v[6:7]
	s_ashr_i32 s31, s10, 31
	s_lshl_b64 s[16:17], s[20:21], 8
	v_add_co_u32 v5, vcc_lo, s7, v10
	v_add_co_ci_u32_e32 v11, vcc_lo, s22, v11, vcc_lo
	v_add_co_u32 v35, vcc_lo, s23, v8
	v_add_co_ci_u32_e32 v36, vcc_lo, s33, v9, vcc_lo
	s_delay_alu instid0(VALU_DEP_4) | instskip(NEXT) | instid1(VALU_DEP_4)
	v_add_co_u32 v10, vcc_lo, v5, v8
	v_add_co_ci_u32_e32 v11, vcc_lo, v11, v9, vcc_lo
	v_ashrrev_i32_e32 v5, 31, v4
	s_lshl_b64 s[18:19], s[20:21], 4
	s_add_u32 s20, s9, -16
	s_addc_u32 s21, s13, -1
	s_lshl_b64 s[22:23], s[28:29], 4
	s_branch .LBB39_4
.LBB39_3:                               ;   in Loop: Header=BB39_4 Depth=1
	s_or_b32 exec_lo, exec_lo, s4
	s_waitcnt lgkmcnt(0)
	s_add_i32 s14, s15, s14
	s_delay_alu instid0(SALU_CYCLE_1)
	s_cmp_le_i32 s14, s11
	s_cbranch_scc0 .LBB39_65
.LBB39_4:                               ; =>This Loop Header: Depth=1
                                        ;     Child Loop BB39_6 Depth 2
                                        ;       Child Loop BB39_55 Depth 3
	v_mov_b32_e32 v28, 0
	v_mov_b32_e32 v29, 0
	v_lshl_add_u32 v37, s14, 5, v30
	s_delay_alu instid0(VALU_DEP_3) | instskip(SKIP_1) | instid1(VALU_DEP_4)
	v_mov_b32_e32 v26, v28
	v_mov_b32_e32 v18, v28
	v_dual_mov_b32 v14, v28 :: v_dual_mov_b32 v15, v29
	s_delay_alu instid0(VALU_DEP_4)
	v_ashrrev_i32_e32 v38, 31, v37
	v_mov_b32_e32 v27, v29
	v_mov_b32_e32 v19, v29
	s_and_not1_b32 vcc_lo, exec_lo, s27
	s_cbranch_vccnz .LBB39_57
; %bb.5:                                ;   in Loop: Header=BB39_4 Depth=1
	v_mul_lo_u32 v14, v38, s28
	v_mul_lo_u32 v15, v37, s29
	v_mad_u64_u32 v[16:17], null, v37, s28, 0
	v_sub_co_u32 v18, vcc_lo, s10, v37
	v_sub_co_ci_u32_e32 v19, vcc_lo, s31, v38, vcc_lo
	v_dual_mov_b32 v21, v1 :: v_dual_mov_b32 v20, v0
	s_delay_alu instid0(VALU_DEP_4)
	v_add3_u32 v17, v17, v15, v14
	v_mov_b32_e32 v14, 0
	v_mov_b32_e32 v15, 0
	v_cmp_lt_i64_e32 vcc_lo, 0, v[18:19]
	v_cmp_lt_i64_e64 s4, 16, v[18:19]
	v_lshlrev_b64 v[16:17], 3, v[16:17]
	v_dual_mov_b32 v23, v3 :: v_dual_mov_b32 v22, v2
	v_dual_mov_b32 v19, v15 :: v_dual_mov_b32 v18, v14
	;; [unrolled: 1-line block ×3, first 2 shown]
	s_delay_alu instid0(VALU_DEP_4)
	v_add_co_u32 v16, s5, v35, v16
	v_dual_mov_b32 v29, v15 :: v_dual_mov_b32 v28, v14
	v_add_co_ci_u32_e64 v17, s5, v36, v17, s5
	v_dual_mov_b32 v25, v11 :: v_dual_mov_b32 v24, v10
	s_mov_b32 s9, 0
.LBB39_6:                               ;   Parent Loop BB39_4 Depth=1
                                        ; =>  This Loop Header: Depth=2
                                        ;       Child Loop BB39_55 Depth 3
	v_cmp_le_i64_e64 s6, s[12:13], v[20:21]
	v_cmp_eq_u64_e64 s7, v[20:21], v[2:3]
	v_cmp_lt_i64_e64 s5, v[20:21], v[2:3]
	s_delay_alu instid0(VALU_DEP_2) | instskip(NEXT) | instid1(VALU_DEP_1)
	s_and_b32 s36, s30, s7
	s_or_b32 s7, s6, s5
	s_delay_alu instid0(SALU_CYCLE_1) | instskip(NEXT) | instid1(SALU_CYCLE_1)
	s_or_b32 s7, s7, s36
	s_or_b32 s7, s0, s7
	s_delay_alu instid0(SALU_CYCLE_1) | instskip(NEXT) | instid1(SALU_CYCLE_1)
	s_xor_b32 s7, s7, -1
	s_and_saveexec_b32 s8, s7
	s_delay_alu instid0(SALU_CYCLE_1)
	s_xor_b32 s7, exec_lo, s8
	s_cbranch_execz .LBB39_8
; %bb.7:                                ;   in Loop: Header=BB39_6 Depth=2
	global_load_b64 v[39:40], v[24:25], off
	s_waitcnt vmcnt(0)
	ds_store_b64 v32, v[39:40]
.LBB39_8:                               ;   in Loop: Header=BB39_6 Depth=2
	s_or_saveexec_b32 s7, s7
	s_xor_b32 s33, s36, -1
	s_xor_b32 exec_lo, exec_lo, s7
	s_cbranch_execz .LBB39_14
; %bb.9:                                ;   in Loop: Header=BB39_6 Depth=2
	s_and_saveexec_b32 s8, s33
	s_delay_alu instid0(SALU_CYCLE_1)
	s_xor_b32 s8, exec_lo, s8
	s_cbranch_execz .LBB39_11
; %bb.10:                               ;   in Loop: Header=BB39_6 Depth=2
	v_mov_b32_e32 v39, v12
	v_mov_b32_e32 v40, v12
	ds_store_b64 v32, v[39:40]
.LBB39_11:                              ;   in Loop: Header=BB39_6 Depth=2
	s_and_not1_saveexec_b32 s8, s8
	s_cbranch_execz .LBB39_13
; %bb.12:                               ;   in Loop: Header=BB39_6 Depth=2
	ds_store_b64 v32, v[12:13]
.LBB39_13:                              ;   in Loop: Header=BB39_6 Depth=2
	s_or_b32 exec_lo, exec_lo, s8
.LBB39_14:                              ;   in Loop: Header=BB39_6 Depth=2
	s_delay_alu instid0(SALU_CYCLE_1) | instskip(SKIP_2) | instid1(VALU_DEP_2)
	s_or_b32 exec_lo, exec_lo, s7
	v_cmp_eq_u64_e64 s7, v[6:7], v[20:21]
	v_cmp_gt_i64_e64 s8, v[6:7], v[20:21]
	s_and_b32 s7, s30, s7
	s_delay_alu instid0(VALU_DEP_1) | instskip(NEXT) | instid1(SALU_CYCLE_1)
	s_or_b32 s6, s6, s8
	s_or_b32 s6, s6, s7
	s_delay_alu instid0(SALU_CYCLE_1) | instskip(NEXT) | instid1(SALU_CYCLE_1)
	s_or_b32 s6, s3, s6
	s_xor_b32 s6, s6, -1
	s_delay_alu instid0(SALU_CYCLE_1) | instskip(NEXT) | instid1(SALU_CYCLE_1)
	s_and_saveexec_b32 s8, s6
	s_xor_b32 s6, exec_lo, s8
	s_cbranch_execz .LBB39_16
; %bb.15:                               ;   in Loop: Header=BB39_6 Depth=2
	global_load_b64 v[39:40], v[24:25], off offset:128
	s_waitcnt vmcnt(0)
	ds_store_b64 v32, v[39:40] offset:128
.LBB39_16:                              ;   in Loop: Header=BB39_6 Depth=2
	s_and_not1_saveexec_b32 s6, s6
	s_cbranch_execz .LBB39_22
; %bb.17:                               ;   in Loop: Header=BB39_6 Depth=2
	s_xor_b32 s7, s7, -1
	s_delay_alu instid0(SALU_CYCLE_1) | instskip(NEXT) | instid1(SALU_CYCLE_1)
	s_and_saveexec_b32 s8, s7
	s_xor_b32 s7, exec_lo, s8
	s_cbranch_execz .LBB39_19
; %bb.18:                               ;   in Loop: Header=BB39_6 Depth=2
	v_mov_b32_e32 v39, v12
	v_mov_b32_e32 v40, v12
	ds_store_b64 v32, v[39:40] offset:128
.LBB39_19:                              ;   in Loop: Header=BB39_6 Depth=2
	s_and_not1_saveexec_b32 s7, s7
	s_cbranch_execz .LBB39_21
; %bb.20:                               ;   in Loop: Header=BB39_6 Depth=2
	ds_store_b64 v32, v[12:13] offset:128
.LBB39_21:                              ;   in Loop: Header=BB39_6 Depth=2
	s_or_b32 exec_lo, exec_lo, s7
.LBB39_22:                              ;   in Loop: Header=BB39_6 Depth=2
	s_delay_alu instid0(SALU_CYCLE_1) | instskip(SKIP_1) | instid1(VALU_DEP_1)
	s_or_b32 exec_lo, exec_lo, s6
	v_add_co_u32 v39, s6, v20, 16
	v_add_co_ci_u32_e64 v40, s6, 0, v21, s6
	s_delay_alu instid0(VALU_DEP_1) | instskip(SKIP_2) | instid1(VALU_DEP_2)
	v_cmp_le_i64_e64 s6, s[12:13], v[39:40]
	v_cmp_eq_u64_e64 s7, v[39:40], v[2:3]
	v_cmp_lt_i64_e64 s8, v[39:40], v[2:3]
	s_and_b32 s37, s30, s7
	s_delay_alu instid0(VALU_DEP_1) | instskip(NEXT) | instid1(SALU_CYCLE_1)
	s_or_b32 s7, s6, s8
	s_or_b32 s7, s7, s37
	s_delay_alu instid0(SALU_CYCLE_1) | instskip(NEXT) | instid1(SALU_CYCLE_1)
	s_or_b32 s7, s0, s7
	s_xor_b32 s7, s7, -1
	s_delay_alu instid0(SALU_CYCLE_1) | instskip(NEXT) | instid1(SALU_CYCLE_1)
	s_and_saveexec_b32 s8, s7
	s_xor_b32 s8, exec_lo, s8
	s_cbranch_execz .LBB39_24
; %bb.23:                               ;   in Loop: Header=BB39_6 Depth=2
	s_lshl_b64 s[38:39], s[18:19], 3
	s_delay_alu instid0(SALU_CYCLE_1) | instskip(NEXT) | instid1(VALU_DEP_1)
	v_add_co_u32 v39, s7, v24, s38
	v_add_co_ci_u32_e64 v40, s7, s39, v25, s7
	global_load_b64 v[39:40], v[39:40], off
	s_waitcnt vmcnt(0)
	ds_store_b64 v32, v[39:40] offset:4096
.LBB39_24:                              ;   in Loop: Header=BB39_6 Depth=2
	s_and_not1_saveexec_b32 s7, s8
	s_cbranch_execz .LBB39_30
; %bb.25:                               ;   in Loop: Header=BB39_6 Depth=2
	s_xor_b32 s8, s37, -1
	s_delay_alu instid0(SALU_CYCLE_1) | instskip(NEXT) | instid1(SALU_CYCLE_1)
	s_and_saveexec_b32 s37, s8
	s_xor_b32 s8, exec_lo, s37
	s_cbranch_execz .LBB39_27
; %bb.26:                               ;   in Loop: Header=BB39_6 Depth=2
	v_mov_b32_e32 v39, v12
	v_mov_b32_e32 v40, v12
	ds_store_b64 v32, v[39:40] offset:4096
.LBB39_27:                              ;   in Loop: Header=BB39_6 Depth=2
	s_and_not1_saveexec_b32 s8, s8
	s_cbranch_execz .LBB39_29
; %bb.28:                               ;   in Loop: Header=BB39_6 Depth=2
	ds_store_b64 v32, v[12:13] offset:4096
.LBB39_29:                              ;   in Loop: Header=BB39_6 Depth=2
	s_or_b32 exec_lo, exec_lo, s8
.LBB39_30:                              ;   in Loop: Header=BB39_6 Depth=2
	s_delay_alu instid0(SALU_CYCLE_1) | instskip(SKIP_1) | instid1(SALU_CYCLE_1)
	s_or_b32 exec_lo, exec_lo, s7
	s_or_b32 s5, s6, s5
	s_or_b32 s5, s5, s36
	s_delay_alu instid0(SALU_CYCLE_1) | instskip(NEXT) | instid1(SALU_CYCLE_1)
	s_or_b32 s5, s3, s5
	s_xor_b32 s5, s5, -1
	s_delay_alu instid0(SALU_CYCLE_1) | instskip(NEXT) | instid1(SALU_CYCLE_1)
	s_and_saveexec_b32 s6, s5
	s_xor_b32 s6, exec_lo, s6
	s_cbranch_execz .LBB39_32
; %bb.31:                               ;   in Loop: Header=BB39_6 Depth=2
	s_lshl_b64 s[36:37], s[18:19], 3
	s_delay_alu instid0(SALU_CYCLE_1) | instskip(NEXT) | instid1(VALU_DEP_1)
	v_add_co_u32 v39, s5, v24, s36
	v_add_co_ci_u32_e64 v40, s5, s37, v25, s5
	global_load_b64 v[39:40], v[39:40], off offset:128
	s_waitcnt vmcnt(0)
	ds_store_b64 v32, v[39:40] offset:4224
.LBB39_32:                              ;   in Loop: Header=BB39_6 Depth=2
	s_and_not1_saveexec_b32 s5, s6
	s_cbranch_execz .LBB39_38
; %bb.33:                               ;   in Loop: Header=BB39_6 Depth=2
	s_and_saveexec_b32 s6, s33
	s_delay_alu instid0(SALU_CYCLE_1)
	s_xor_b32 s6, exec_lo, s6
	s_cbranch_execz .LBB39_35
; %bb.34:                               ;   in Loop: Header=BB39_6 Depth=2
	v_mov_b32_e32 v39, v12
	v_mov_b32_e32 v40, v12
	ds_store_b64 v32, v[39:40] offset:4224
.LBB39_35:                              ;   in Loop: Header=BB39_6 Depth=2
	s_and_not1_saveexec_b32 s6, s6
	s_cbranch_execz .LBB39_37
; %bb.36:                               ;   in Loop: Header=BB39_6 Depth=2
	ds_store_b64 v32, v[12:13] offset:4224
.LBB39_37:                              ;   in Loop: Header=BB39_6 Depth=2
	s_or_b32 exec_lo, exec_lo, s6
.LBB39_38:                              ;   in Loop: Header=BB39_6 Depth=2
	s_delay_alu instid0(SALU_CYCLE_1) | instskip(SKIP_1) | instid1(VALU_DEP_1)
	s_or_b32 exec_lo, exec_lo, s5
	v_cmp_gt_i64_e64 s6, s[12:13], v[22:23]
	s_and_b32 s5, vcc_lo, s6
	s_delay_alu instid0(SALU_CYCLE_1) | instskip(NEXT) | instid1(SALU_CYCLE_1)
	s_xor_b32 s5, s5, -1
	s_and_saveexec_b32 s7, s5
	s_delay_alu instid0(SALU_CYCLE_1)
	s_xor_b32 s5, exec_lo, s7
	s_cbranch_execz .LBB39_40
; %bb.39:                               ;   in Loop: Header=BB39_6 Depth=2
	v_mov_b32_e32 v39, v12
	v_mov_b32_e32 v40, v12
	ds_store_b64 v34, v[39:40]
.LBB39_40:                              ;   in Loop: Header=BB39_6 Depth=2
	s_and_not1_saveexec_b32 s5, s5
	s_cbranch_execz .LBB39_42
; %bb.41:                               ;   in Loop: Header=BB39_6 Depth=2
	global_load_b64 v[39:40], v[16:17], off
	s_waitcnt vmcnt(0)
	ds_store_b64 v34, v[39:40]
.LBB39_42:                              ;   in Loop: Header=BB39_6 Depth=2
	s_or_b32 exec_lo, exec_lo, s5
	v_cmp_gt_i64_e64 s5, s[20:21], v[22:23]
	s_delay_alu instid0(VALU_DEP_1) | instskip(NEXT) | instid1(SALU_CYCLE_1)
	s_and_b32 s7, vcc_lo, s5
	s_xor_b32 s7, s7, -1
	s_delay_alu instid0(SALU_CYCLE_1) | instskip(NEXT) | instid1(SALU_CYCLE_1)
	s_and_saveexec_b32 s8, s7
	s_xor_b32 s7, exec_lo, s8
	s_cbranch_execz .LBB39_44
; %bb.43:                               ;   in Loop: Header=BB39_6 Depth=2
	v_mov_b32_e32 v39, v12
	v_mov_b32_e32 v40, v12
	ds_store_b64 v34, v[39:40] offset:128
.LBB39_44:                              ;   in Loop: Header=BB39_6 Depth=2
	s_and_not1_saveexec_b32 s7, s7
	s_cbranch_execz .LBB39_46
; %bb.45:                               ;   in Loop: Header=BB39_6 Depth=2
	global_load_b64 v[39:40], v[16:17], off offset:128
	s_waitcnt vmcnt(0)
	ds_store_b64 v34, v[39:40] offset:128
.LBB39_46:                              ;   in Loop: Header=BB39_6 Depth=2
	s_or_b32 exec_lo, exec_lo, s7
	s_and_b32 s6, s4, s6
	s_delay_alu instid0(SALU_CYCLE_1) | instskip(NEXT) | instid1(SALU_CYCLE_1)
	s_xor_b32 s6, s6, -1
	s_and_saveexec_b32 s7, s6
	s_delay_alu instid0(SALU_CYCLE_1)
	s_xor_b32 s6, exec_lo, s7
	s_cbranch_execz .LBB39_48
; %bb.47:                               ;   in Loop: Header=BB39_6 Depth=2
	v_mov_b32_e32 v39, v12
	v_mov_b32_e32 v40, v12
	ds_store_b64 v34, v[39:40] offset:4096
.LBB39_48:                              ;   in Loop: Header=BB39_6 Depth=2
	s_and_not1_saveexec_b32 s7, s6
	s_cbranch_execz .LBB39_50
; %bb.49:                               ;   in Loop: Header=BB39_6 Depth=2
	s_lshl_b64 s[36:37], s[22:23], 3
	s_delay_alu instid0(SALU_CYCLE_1) | instskip(NEXT) | instid1(VALU_DEP_1)
	v_add_co_u32 v39, s6, v16, s36
	v_add_co_ci_u32_e64 v40, s6, s37, v17, s6
	global_load_b64 v[39:40], v[39:40], off
	s_waitcnt vmcnt(0)
	ds_store_b64 v34, v[39:40] offset:4096
.LBB39_50:                              ;   in Loop: Header=BB39_6 Depth=2
	s_or_b32 exec_lo, exec_lo, s7
	s_and_b32 s5, s4, s5
	s_delay_alu instid0(SALU_CYCLE_1) | instskip(NEXT) | instid1(SALU_CYCLE_1)
	s_xor_b32 s5, s5, -1
	s_and_saveexec_b32 s6, s5
	s_delay_alu instid0(SALU_CYCLE_1)
	s_xor_b32 s5, exec_lo, s6
	s_cbranch_execz .LBB39_52
; %bb.51:                               ;   in Loop: Header=BB39_6 Depth=2
	v_mov_b32_e32 v39, v12
	v_mov_b32_e32 v40, v12
	ds_store_b64 v34, v[39:40] offset:4224
.LBB39_52:                              ;   in Loop: Header=BB39_6 Depth=2
	s_and_not1_saveexec_b32 s6, s5
	s_cbranch_execz .LBB39_54
; %bb.53:                               ;   in Loop: Header=BB39_6 Depth=2
	s_lshl_b64 s[36:37], s[22:23], 3
	s_delay_alu instid0(SALU_CYCLE_1) | instskip(NEXT) | instid1(VALU_DEP_1)
	v_add_co_u32 v39, s5, v16, s36
	v_add_co_ci_u32_e64 v40, s5, s37, v17, s5
	global_load_b64 v[39:40], v[39:40], off offset:128
	s_waitcnt vmcnt(0)
	ds_store_b64 v34, v[39:40] offset:4224
.LBB39_54:                              ;   in Loop: Header=BB39_6 Depth=2
	s_or_b32 exec_lo, exec_lo, s6
	v_mov_b32_e32 v39, v31
	s_mov_b32 s5, 0
	s_waitcnt lgkmcnt(0)
	s_waitcnt_vscnt null, 0x0
	s_barrier
	buffer_gl0_inv
.LBB39_55:                              ;   Parent Loop BB39_4 Depth=1
                                        ;     Parent Loop BB39_6 Depth=2
                                        ; =>    This Inner Loop Header: Depth=3
	v_add_nc_u32_e32 v62, s5, v33
	s_add_i32 s5, s5, 64
	ds_load_2addr_b64 v[40:43], v39 offset1:16
	ds_load_b128 v[44:47], v62
	ds_load_b128 v[48:51], v62 offset:4096
	ds_load_b128 v[52:55], v62 offset:16
	;; [unrolled: 1-line block ×3, first 2 shown]
	s_cmpk_lg_i32 s5, 0x100
	s_waitcnt lgkmcnt(3)
	v_fma_f64 v[60:61], v[40:41], v[44:45], v[28:29]
	v_fma_f64 v[44:45], v[42:43], v[44:45], v[26:27]
	s_waitcnt lgkmcnt(2)
	v_fma_f64 v[18:19], v[40:41], v[48:49], v[18:19]
	v_fma_f64 v[14:15], v[42:43], v[48:49], v[14:15]
	ds_load_2addr_b64 v[26:29], v39 offset0:32 offset1:48
	s_waitcnt lgkmcnt(0)
	v_fma_f64 v[40:41], v[26:27], v[46:47], v[60:61]
	v_fma_f64 v[42:43], v[28:29], v[46:47], v[44:45]
	v_fma_f64 v[18:19], v[26:27], v[50:51], v[18:19]
	v_fma_f64 v[14:15], v[28:29], v[50:51], v[14:15]
	ds_load_2addr_b64 v[26:29], v39 offset0:64 offset1:80
	s_waitcnt lgkmcnt(0)
	v_fma_f64 v[40:41], v[26:27], v[52:53], v[40:41]
	v_fma_f64 v[42:43], v[28:29], v[52:53], v[42:43]
	;; [unrolled: 6-line block ×3, first 2 shown]
	v_fma_f64 v[18:19], v[26:27], v[58:59], v[18:19]
	v_fma_f64 v[14:15], v[28:29], v[58:59], v[14:15]
	ds_load_2addr_b64 v[26:29], v39 offset0:128 offset1:144
	ds_load_b128 v[40:43], v62 offset:32
	ds_load_b128 v[44:47], v62 offset:4128
	;; [unrolled: 1-line block ×4, first 2 shown]
	s_waitcnt lgkmcnt(3)
	v_fma_f64 v[56:57], v[26:27], v[40:41], v[56:57]
	v_fma_f64 v[40:41], v[28:29], v[40:41], v[60:61]
	s_waitcnt lgkmcnt(2)
	v_fma_f64 v[18:19], v[26:27], v[44:45], v[18:19]
	v_fma_f64 v[14:15], v[28:29], v[44:45], v[14:15]
	ds_load_2addr_b64 v[26:29], v39 offset0:160 offset1:176
	s_waitcnt lgkmcnt(0)
	v_fma_f64 v[44:45], v[26:27], v[42:43], v[56:57]
	v_fma_f64 v[40:41], v[28:29], v[42:43], v[40:41]
	;; [unrolled: 1-line block ×4, first 2 shown]
	ds_load_2addr_b64 v[26:29], v39 offset0:192 offset1:208
	s_waitcnt lgkmcnt(0)
	v_fma_f64 v[44:45], v[26:27], v[48:49], v[44:45]
	v_fma_f64 v[46:47], v[28:29], v[48:49], v[40:41]
	;; [unrolled: 1-line block ×4, first 2 shown]
	ds_load_2addr_b64 v[40:43], v39 offset0:224 offset1:240
	v_add_nc_u32_e32 v39, 0x800, v39
	s_waitcnt lgkmcnt(0)
	v_fma_f64 v[28:29], v[40:41], v[50:51], v[44:45]
	v_fma_f64 v[26:27], v[42:43], v[50:51], v[46:47]
	v_fma_f64 v[18:19], v[40:41], v[54:55], v[18:19]
	v_fma_f64 v[14:15], v[42:43], v[54:55], v[14:15]
	s_cbranch_scc1 .LBB39_55
; %bb.56:                               ;   in Loop: Header=BB39_6 Depth=2
	v_add_co_u32 v24, s5, v24, s16
	s_delay_alu instid0(VALU_DEP_1) | instskip(SKIP_1) | instid1(VALU_DEP_1)
	v_add_co_ci_u32_e64 v25, s5, s17, v25, s5
	v_add_co_u32 v20, s5, v20, 32
	v_add_co_ci_u32_e64 v21, s5, 0, v21, s5
	v_add_co_u32 v16, s5, 0x100, v16
	s_delay_alu instid0(VALU_DEP_1) | instskip(SKIP_1) | instid1(VALU_DEP_1)
	v_add_co_ci_u32_e64 v17, s5, 0, v17, s5
	v_add_co_u32 v22, s5, v22, 32
	v_add_co_ci_u32_e64 v23, s5, 0, v23, s5
	s_add_i32 s9, s9, 32
	s_delay_alu instid0(SALU_CYCLE_1)
	s_cmp_ge_i32 s9, s26
	s_barrier
	buffer_gl0_inv
	s_cbranch_scc0 .LBB39_6
.LBB39_57:                              ;   in Loop: Header=BB39_4 Depth=1
	v_mul_lo_u32 v20, v38, s40
	v_mul_lo_u32 v21, v37, s41
	v_mad_u64_u32 v[16:17], null, v37, s40, 0
	v_cmp_gt_i32_e32 vcc_lo, s10, v37
	s_delay_alu instid0(VALU_DEP_2) | instskip(NEXT) | instid1(VALU_DEP_1)
	v_add3_u32 v17, v17, v21, v20
	v_lshlrev_b64 v[16:17], 3, v[16:17]
	s_delay_alu instid0(VALU_DEP_1) | instskip(NEXT) | instid1(VALU_DEP_1)
	v_add_co_u32 v16, s4, s24, v16
	v_add_co_ci_u32_e64 v17, s4, s25, v17, s4
	s_and_b32 s4, s1, vcc_lo
	s_delay_alu instid0(SALU_CYCLE_1)
	s_and_saveexec_b32 s5, s4
	s_cbranch_execz .LBB39_59
; %bb.58:                               ;   in Loop: Header=BB39_4 Depth=1
	v_add_co_u32 v20, s4, v16, v8
	s_delay_alu instid0(VALU_DEP_1)
	v_add_co_ci_u32_e64 v21, s4, v17, v9, s4
	global_load_b64 v[22:23], v[20:21], off
	s_waitcnt vmcnt(0)
	v_fma_f64 v[22:23], v[28:29], s[34:35], v[22:23]
	global_store_b64 v[20:21], v[22:23], off
.LBB39_59:                              ;   in Loop: Header=BB39_4 Depth=1
	s_or_b32 exec_lo, exec_lo, s5
	s_and_b32 s5, s2, vcc_lo
	s_delay_alu instid0(SALU_CYCLE_1)
	s_and_saveexec_b32 s4, s5
	s_cbranch_execz .LBB39_61
; %bb.60:                               ;   in Loop: Header=BB39_4 Depth=1
	v_lshlrev_b64 v[20:21], 3, v[4:5]
	s_delay_alu instid0(VALU_DEP_1) | instskip(NEXT) | instid1(VALU_DEP_2)
	v_add_co_u32 v16, vcc_lo, v16, v20
	v_add_co_ci_u32_e32 v17, vcc_lo, v17, v21, vcc_lo
	global_load_b64 v[20:21], v[16:17], off
	s_waitcnt vmcnt(0)
	v_fma_f64 v[20:21], v[26:27], s[34:35], v[20:21]
	global_store_b64 v[16:17], v[20:21], off
.LBB39_61:                              ;   in Loop: Header=BB39_4 Depth=1
	s_or_b32 exec_lo, exec_lo, s4
	v_add_nc_u32_e32 v20, 16, v37
	s_delay_alu instid0(VALU_DEP_1) | instskip(SKIP_3) | instid1(VALU_DEP_4)
	v_ashrrev_i32_e32 v21, 31, v20
	v_mul_lo_u32 v22, v20, s41
	v_mad_u64_u32 v[16:17], null, v20, s40, 0
	v_cmp_gt_i32_e32 vcc_lo, s10, v20
	v_mul_lo_u32 v21, v21, s40
	s_delay_alu instid0(VALU_DEP_1) | instskip(NEXT) | instid1(VALU_DEP_1)
	v_add3_u32 v17, v17, v22, v21
	v_lshlrev_b64 v[16:17], 3, v[16:17]
	s_delay_alu instid0(VALU_DEP_1) | instskip(NEXT) | instid1(VALU_DEP_1)
	v_add_co_u32 v16, s4, s24, v16
	v_add_co_ci_u32_e64 v17, s4, s25, v17, s4
	s_and_b32 s4, s1, vcc_lo
	s_delay_alu instid0(SALU_CYCLE_1)
	s_and_saveexec_b32 s5, s4
	s_cbranch_execnz .LBB39_63
; %bb.62:                               ;   in Loop: Header=BB39_4 Depth=1
	s_or_b32 exec_lo, exec_lo, s5
	s_and_b32 s5, s2, vcc_lo
	s_delay_alu instid0(SALU_CYCLE_1)
	s_and_saveexec_b32 s4, s5
	s_cbranch_execz .LBB39_3
	s_branch .LBB39_64
.LBB39_63:                              ;   in Loop: Header=BB39_4 Depth=1
	v_add_co_u32 v20, s4, v16, v8
	s_delay_alu instid0(VALU_DEP_1)
	v_add_co_ci_u32_e64 v21, s4, v17, v9, s4
	global_load_b64 v[22:23], v[20:21], off
	s_waitcnt vmcnt(0)
	v_fma_f64 v[18:19], v[18:19], s[34:35], v[22:23]
	global_store_b64 v[20:21], v[18:19], off
	s_or_b32 exec_lo, exec_lo, s5
	s_and_b32 s5, s2, vcc_lo
	s_delay_alu instid0(SALU_CYCLE_1)
	s_and_saveexec_b32 s4, s5
	s_cbranch_execz .LBB39_3
.LBB39_64:                              ;   in Loop: Header=BB39_4 Depth=1
	v_lshlrev_b64 v[18:19], 3, v[4:5]
	s_delay_alu instid0(VALU_DEP_1) | instskip(NEXT) | instid1(VALU_DEP_2)
	v_add_co_u32 v16, vcc_lo, v16, v18
	v_add_co_ci_u32_e32 v17, vcc_lo, v17, v19, vcc_lo
	global_load_b64 v[18:19], v[16:17], off
	s_waitcnt vmcnt(0)
	v_fma_f64 v[14:15], v[14:15], s[34:35], v[18:19]
	global_store_b64 v[16:17], v[14:15], off
	s_branch .LBB39_3
.LBB39_65:
	s_nop 0
	s_sendmsg sendmsg(MSG_DEALLOC_VGPRS)
	s_endpgm
	.section	.rodata,"a",@progbits
	.p2align	6, 0x0
	.amdhsa_kernel _ZL30rocblas_trmm_outofplace_kernelIdLi32ELi2ELb1ELb1ELb0ELb0EdKddEv17rocblas_diagonal_iiT6_lPT7_lllS4_lllPT8_llli
		.amdhsa_group_segment_fixed_size 16384
		.amdhsa_private_segment_fixed_size 0
		.amdhsa_kernarg_size 392
		.amdhsa_user_sgpr_count 13
		.amdhsa_user_sgpr_dispatch_ptr 0
		.amdhsa_user_sgpr_queue_ptr 0
		.amdhsa_user_sgpr_kernarg_segment_ptr 1
		.amdhsa_user_sgpr_dispatch_id 0
		.amdhsa_user_sgpr_private_segment_size 0
		.amdhsa_wavefront_size32 1
		.amdhsa_uses_dynamic_stack 0
		.amdhsa_enable_private_segment 0
		.amdhsa_system_sgpr_workgroup_id_x 1
		.amdhsa_system_sgpr_workgroup_id_y 1
		.amdhsa_system_sgpr_workgroup_id_z 1
		.amdhsa_system_sgpr_workgroup_info 0
		.amdhsa_system_vgpr_workitem_id 1
		.amdhsa_next_free_vgpr 63
		.amdhsa_next_free_sgpr 44
		.amdhsa_reserve_vcc 1
		.amdhsa_float_round_mode_32 0
		.amdhsa_float_round_mode_16_64 0
		.amdhsa_float_denorm_mode_32 3
		.amdhsa_float_denorm_mode_16_64 3
		.amdhsa_dx10_clamp 1
		.amdhsa_ieee_mode 1
		.amdhsa_fp16_overflow 0
		.amdhsa_workgroup_processor_mode 1
		.amdhsa_memory_ordered 1
		.amdhsa_forward_progress 0
		.amdhsa_shared_vgpr_count 0
		.amdhsa_exception_fp_ieee_invalid_op 0
		.amdhsa_exception_fp_denorm_src 0
		.amdhsa_exception_fp_ieee_div_zero 0
		.amdhsa_exception_fp_ieee_overflow 0
		.amdhsa_exception_fp_ieee_underflow 0
		.amdhsa_exception_fp_ieee_inexact 0
		.amdhsa_exception_int_div_zero 0
	.end_amdhsa_kernel
	.section	.text._ZL30rocblas_trmm_outofplace_kernelIdLi32ELi2ELb1ELb1ELb0ELb0EdKddEv17rocblas_diagonal_iiT6_lPT7_lllS4_lllPT8_llli,"axG",@progbits,_ZL30rocblas_trmm_outofplace_kernelIdLi32ELi2ELb1ELb1ELb0ELb0EdKddEv17rocblas_diagonal_iiT6_lPT7_lllS4_lllPT8_llli,comdat
.Lfunc_end39:
	.size	_ZL30rocblas_trmm_outofplace_kernelIdLi32ELi2ELb1ELb1ELb0ELb0EdKddEv17rocblas_diagonal_iiT6_lPT7_lllS4_lllPT8_llli, .Lfunc_end39-_ZL30rocblas_trmm_outofplace_kernelIdLi32ELi2ELb1ELb1ELb0ELb0EdKddEv17rocblas_diagonal_iiT6_lPT7_lllS4_lllPT8_llli
                                        ; -- End function
	.section	.AMDGPU.csdata,"",@progbits
; Kernel info:
; codeLenInByte = 2844
; NumSgprs: 46
; NumVgprs: 63
; ScratchSize: 0
; MemoryBound: 1
; FloatMode: 240
; IeeeMode: 1
; LDSByteSize: 16384 bytes/workgroup (compile time only)
; SGPRBlocks: 5
; VGPRBlocks: 7
; NumSGPRsForWavesPerEU: 46
; NumVGPRsForWavesPerEU: 63
; Occupancy: 16
; WaveLimiterHint : 0
; COMPUTE_PGM_RSRC2:SCRATCH_EN: 0
; COMPUTE_PGM_RSRC2:USER_SGPR: 13
; COMPUTE_PGM_RSRC2:TRAP_HANDLER: 0
; COMPUTE_PGM_RSRC2:TGID_X_EN: 1
; COMPUTE_PGM_RSRC2:TGID_Y_EN: 1
; COMPUTE_PGM_RSRC2:TGID_Z_EN: 1
; COMPUTE_PGM_RSRC2:TIDIG_COMP_CNT: 1
	.section	.text._ZL30rocblas_trmm_outofplace_kernelIdLi32ELi2ELb1ELb0ELb1ELb0EPKdS0_dEv17rocblas_diagonal_iiT6_lPT7_lllS5_lllPT8_llli,"axG",@progbits,_ZL30rocblas_trmm_outofplace_kernelIdLi32ELi2ELb1ELb0ELb1ELb0EPKdS0_dEv17rocblas_diagonal_iiT6_lPT7_lllS5_lllPT8_llli,comdat
	.globl	_ZL30rocblas_trmm_outofplace_kernelIdLi32ELi2ELb1ELb0ELb1ELb0EPKdS0_dEv17rocblas_diagonal_iiT6_lPT7_lllS5_lllPT8_llli ; -- Begin function _ZL30rocblas_trmm_outofplace_kernelIdLi32ELi2ELb1ELb0ELb1ELb0EPKdS0_dEv17rocblas_diagonal_iiT6_lPT7_lllS5_lllPT8_llli
	.p2align	8
	.type	_ZL30rocblas_trmm_outofplace_kernelIdLi32ELi2ELb1ELb0ELb1ELb0EPKdS0_dEv17rocblas_diagonal_iiT6_lPT7_lllS5_lllPT8_llli,@function
_ZL30rocblas_trmm_outofplace_kernelIdLi32ELi2ELb1ELb0ELb1ELb0EPKdS0_dEv17rocblas_diagonal_iiT6_lPT7_lllS5_lllPT8_llli: ; @_ZL30rocblas_trmm_outofplace_kernelIdLi32ELi2ELb1ELb0ELb1ELb0EPKdS0_dEv17rocblas_diagonal_iiT6_lPT7_lllS5_lllPT8_llli
; %bb.0:
	s_load_b512 s[16:31], s[0:1], 0x10
	s_waitcnt lgkmcnt(0)
	s_mul_i32 s2, s15, s19
	s_mul_hi_u32 s3, s15, s18
	s_delay_alu instid0(SALU_CYCLE_1) | instskip(SKIP_1) | instid1(SALU_CYCLE_1)
	s_add_i32 s3, s3, s2
	s_mul_i32 s2, s15, s18
	s_lshl_b64 s[2:3], s[2:3], 3
	s_delay_alu instid0(SALU_CYCLE_1) | instskip(SKIP_4) | instid1(VALU_DEP_1)
	s_add_u32 s2, s16, s2
	s_addc_u32 s3, s17, s3
	s_load_b64 s[34:35], s[2:3], 0x0
	s_waitcnt lgkmcnt(0)
	v_cmp_eq_f64_e64 s2, s[34:35], 0
	s_and_b32 vcc_lo, exec_lo, s2
	s_cbranch_vccnz .LBB40_65
; %bb.1:
	s_load_b128 s[8:11], s[0:1], 0x0
	s_waitcnt lgkmcnt(0)
	s_add_i32 s2, s10, -1
	s_delay_alu instid0(SALU_CYCLE_1) | instskip(NEXT) | instid1(SALU_CYCLE_1)
	s_ashr_i32 s3, s2, 31
	s_lshr_b32 s3, s3, 27
	s_delay_alu instid0(SALU_CYCLE_1) | instskip(NEXT) | instid1(SALU_CYCLE_1)
	s_add_i32 s2, s2, s3
	s_ashr_i32 s11, s2, 5
	s_delay_alu instid0(SALU_CYCLE_1)
	s_cmp_gt_i32 s14, s11
	s_cbranch_scc1 .LBB40_65
; %bb.2:
	s_clause 0x1
	s_load_b256 s[36:43], s[0:1], 0x50
	s_load_b128 s[16:19], s[0:1], 0x70
	s_mul_i32 s3, s15, s27
	s_mul_hi_u32 s4, s15, s26
	s_mul_i32 s2, s15, s26
	s_add_i32 s3, s4, s3
	s_load_b32 s26, s[0:1], 0x8c
	s_lshl_b64 s[2:3], s[2:3], 3
	v_and_b32_e32 v1, 0x3ff, v0
	s_add_u32 s4, s20, s2
	s_addc_u32 s5, s21, s3
	s_lshl_b64 s[2:3], s[22:23], 3
	v_bfe_u32 v30, v0, 10, 10
	s_add_u32 s4, s4, s2
	s_addc_u32 s5, s5, s3
	v_lshlrev_b32_e32 v31, 3, v1
	s_delay_alu instid0(VALU_DEP_2)
	v_dual_mov_b32 v13, 0x3ff00000 :: v_dual_lshlrev_b32 v12, 8, v30
	s_waitcnt lgkmcnt(0)
	s_mul_i32 s1, s15, s39
	s_mul_hi_u32 s2, s15, s38
	s_mul_i32 s0, s15, s38
	s_add_i32 s1, s2, s1
	s_mul_i32 s3, s15, s19
	s_lshl_b64 s[0:1], s[0:1], 3
	s_mul_hi_u32 s6, s15, s18
	s_add_u32 s7, s28, s0
	s_addc_u32 s12, s29, s1
	s_lshl_b64 s[0:1], s[30:31], 3
	s_mul_i32 s2, s15, s18
	s_add_u32 s7, s7, s0
	s_addc_u32 s18, s12, s1
	s_add_i32 s3, s6, s3
	v_add_nc_u32_e32 v34, v12, v31
	s_lshl_b64 s[0:1], s[2:3], 3
	v_dual_mov_b32 v12, 0 :: v_dual_add_nc_u32 v35, 0x2000, v12
	s_add_u32 s2, s40, s0
	s_addc_u32 s3, s41, s1
	s_lshl_b64 s[0:1], s[42:43], 3
	s_mov_b32 s12, s9
	s_add_u32 s15, s2, s0
	s_addc_u32 s27, s3, s1
	s_lshl_b32 s0, s13, 5
	v_add_nc_u32_e32 v36, v35, v31
	v_add_nc_u32_e32 v0, s0, v1
	;; [unrolled: 1-line block ×3, first 2 shown]
	s_sub_i32 s28, s9, s0
	s_delay_alu instid0(SALU_CYCLE_1) | instskip(NEXT) | instid1(VALU_DEP_2)
	s_cmp_gt_i32 s28, 0
	v_ashrrev_i32_e32 v1, 31, v0
	v_mul_lo_u32 v4, v0, s25
	v_mad_u64_u32 v[6:7], null, v0, s24, 0
	v_ashrrev_i32_e32 v3, 31, v2
	s_delay_alu instid0(VALU_DEP_4)
	v_mul_lo_u32 v5, v1, s24
	s_cselect_b32 s29, -1, 0
	s_cmpk_eq_i32 s8, 0x84
	v_cmp_le_i32_e64 s0, s9, v0
	v_lshlrev_b64 v[8:9], 3, v[2:3]
	s_cselect_b32 s30, -1, 0
	s_ashr_i32 s13, s9, 31
	v_cmp_gt_i32_e64 s2, s9, v0
	v_add3_u32 v7, v7, v4, v5
	v_lshlrev_b64 v[4:5], 3, v[0:1]
	s_ashr_i32 s31, s10, 31
	s_delay_alu instid0(VALU_DEP_2) | instskip(SKIP_2) | instid1(VALU_DEP_3)
	v_lshlrev_b64 v[10:11], 3, v[6:7]
	v_add_co_u32 v6, vcc_lo, v0, 16
	v_add_co_ci_u32_e32 v7, vcc_lo, 0, v1, vcc_lo
	v_add_co_u32 v10, vcc_lo, s4, v10
	s_delay_alu instid0(VALU_DEP_4) | instskip(SKIP_2) | instid1(VALU_DEP_4)
	v_add_co_ci_u32_e32 v11, vcc_lo, s5, v11, vcc_lo
	v_add_co_u32 v32, vcc_lo, s7, v4
	v_add_co_ci_u32_e32 v33, vcc_lo, s18, v5, vcc_lo
	v_add_co_u32 v8, vcc_lo, v10, v8
	v_add_nc_u32_e32 v10, 16, v0
	v_cmp_le_i64_e64 s1, s[12:13], v[6:7]
	v_add_co_ci_u32_e32 v9, vcc_lo, v11, v9, vcc_lo
	s_lshl_b64 s[18:19], s[24:25], 7
	s_delay_alu instid0(VALU_DEP_3)
	v_cmp_gt_i32_e64 s3, s9, v10
	v_ashrrev_i32_e32 v11, 31, v10
	s_lshl_b64 s[4:5], s[24:25], 4
	s_add_u32 s20, s9, -16
	s_addc_u32 s21, s13, -1
	s_lshl_b64 s[22:23], s[36:37], 4
	s_lshl_b64 s[24:25], s[4:5], 3
	s_branch .LBB40_4
.LBB40_3:                               ;   in Loop: Header=BB40_4 Depth=1
	s_or_b32 exec_lo, exec_lo, s4
	s_add_i32 s14, s26, s14
	s_delay_alu instid0(SALU_CYCLE_1)
	s_cmp_le_i32 s14, s11
	s_cbranch_scc0 .LBB40_65
.LBB40_4:                               ; =>This Loop Header: Depth=1
                                        ;     Child Loop BB40_6 Depth 2
                                        ;       Child Loop BB40_55 Depth 3
	v_mov_b32_e32 v28, 0
	v_mov_b32_e32 v29, 0
	v_lshl_add_u32 v37, s14, 5, v30
	s_delay_alu instid0(VALU_DEP_3) | instskip(SKIP_1) | instid1(VALU_DEP_4)
	v_mov_b32_e32 v26, v28
	v_mov_b32_e32 v18, v28
	v_dual_mov_b32 v14, v28 :: v_dual_mov_b32 v15, v29
	s_delay_alu instid0(VALU_DEP_4)
	v_ashrrev_i32_e32 v38, 31, v37
	v_mov_b32_e32 v27, v29
	v_mov_b32_e32 v19, v29
	s_and_not1_b32 vcc_lo, exec_lo, s29
	s_cbranch_vccnz .LBB40_57
; %bb.5:                                ;   in Loop: Header=BB40_4 Depth=1
	v_mul_lo_u32 v14, v38, s36
	v_mul_lo_u32 v15, v37, s37
	v_mad_u64_u32 v[16:17], null, v37, s36, 0
	v_sub_co_u32 v18, vcc_lo, s10, v37
	v_sub_co_ci_u32_e32 v19, vcc_lo, s31, v38, vcc_lo
	v_dual_mov_b32 v21, v3 :: v_dual_mov_b32 v20, v2
	s_delay_alu instid0(VALU_DEP_4)
	v_add3_u32 v17, v17, v15, v14
	v_mov_b32_e32 v14, 0
	v_mov_b32_e32 v15, 0
	v_cmp_lt_i64_e32 vcc_lo, 0, v[18:19]
	v_cmp_lt_i64_e64 s4, 16, v[18:19]
	v_lshlrev_b64 v[16:17], 3, v[16:17]
	v_dual_mov_b32 v23, v1 :: v_dual_mov_b32 v22, v0
	v_dual_mov_b32 v19, v15 :: v_dual_mov_b32 v18, v14
	;; [unrolled: 1-line block ×3, first 2 shown]
	s_delay_alu instid0(VALU_DEP_4)
	v_add_co_u32 v16, s5, v32, v16
	v_dual_mov_b32 v29, v15 :: v_dual_mov_b32 v28, v14
	v_add_co_ci_u32_e64 v17, s5, v33, v17, s5
	v_dual_mov_b32 v25, v9 :: v_dual_mov_b32 v24, v8
	s_mov_b32 s9, 0
.LBB40_6:                               ;   Parent Loop BB40_4 Depth=1
                                        ; =>  This Loop Header: Depth=2
                                        ;       Child Loop BB40_55 Depth 3
	v_cmp_le_i64_e64 s6, s[12:13], v[20:21]
	v_cmp_eq_u64_e64 s7, v[20:21], v[0:1]
	v_cmp_lt_i64_e64 s5, v[20:21], v[0:1]
	s_delay_alu instid0(VALU_DEP_2) | instskip(NEXT) | instid1(VALU_DEP_1)
	s_and_b32 s38, s30, s7
	s_or_b32 s7, s6, s5
	s_delay_alu instid0(SALU_CYCLE_1) | instskip(NEXT) | instid1(SALU_CYCLE_1)
	s_or_b32 s7, s7, s38
	s_or_b32 s7, s0, s7
	s_delay_alu instid0(SALU_CYCLE_1) | instskip(NEXT) | instid1(SALU_CYCLE_1)
	s_xor_b32 s7, s7, -1
	s_and_saveexec_b32 s8, s7
	s_delay_alu instid0(SALU_CYCLE_1)
	s_xor_b32 s7, exec_lo, s8
	s_cbranch_execz .LBB40_8
; %bb.7:                                ;   in Loop: Header=BB40_6 Depth=2
	global_load_b64 v[39:40], v[24:25], off
	s_waitcnt vmcnt(0)
	ds_store_b64 v34, v[39:40]
.LBB40_8:                               ;   in Loop: Header=BB40_6 Depth=2
	s_or_saveexec_b32 s7, s7
	s_xor_b32 s33, s38, -1
	s_xor_b32 exec_lo, exec_lo, s7
	s_cbranch_execz .LBB40_14
; %bb.9:                                ;   in Loop: Header=BB40_6 Depth=2
	s_and_saveexec_b32 s8, s33
	s_delay_alu instid0(SALU_CYCLE_1)
	s_xor_b32 s8, exec_lo, s8
	s_cbranch_execz .LBB40_11
; %bb.10:                               ;   in Loop: Header=BB40_6 Depth=2
	v_mov_b32_e32 v39, v12
	v_mov_b32_e32 v40, v12
	ds_store_b64 v34, v[39:40]
.LBB40_11:                              ;   in Loop: Header=BB40_6 Depth=2
	s_and_not1_saveexec_b32 s8, s8
	s_cbranch_execz .LBB40_13
; %bb.12:                               ;   in Loop: Header=BB40_6 Depth=2
	ds_store_b64 v34, v[12:13]
.LBB40_13:                              ;   in Loop: Header=BB40_6 Depth=2
	s_or_b32 exec_lo, exec_lo, s8
.LBB40_14:                              ;   in Loop: Header=BB40_6 Depth=2
	s_delay_alu instid0(SALU_CYCLE_1) | instskip(SKIP_2) | instid1(VALU_DEP_2)
	s_or_b32 exec_lo, exec_lo, s7
	v_cmp_eq_u64_e64 s7, v[6:7], v[20:21]
	v_cmp_gt_i64_e64 s8, v[6:7], v[20:21]
	s_and_b32 s7, s30, s7
	s_delay_alu instid0(VALU_DEP_1) | instskip(NEXT) | instid1(SALU_CYCLE_1)
	s_or_b32 s6, s6, s8
	s_or_b32 s6, s6, s7
	s_delay_alu instid0(SALU_CYCLE_1) | instskip(NEXT) | instid1(SALU_CYCLE_1)
	s_or_b32 s6, s1, s6
	s_xor_b32 s6, s6, -1
	s_delay_alu instid0(SALU_CYCLE_1) | instskip(NEXT) | instid1(SALU_CYCLE_1)
	s_and_saveexec_b32 s8, s6
	s_xor_b32 s8, exec_lo, s8
	s_cbranch_execz .LBB40_16
; %bb.15:                               ;   in Loop: Header=BB40_6 Depth=2
	v_add_co_u32 v39, s6, v24, s18
	s_delay_alu instid0(VALU_DEP_1)
	v_add_co_ci_u32_e64 v40, s6, s19, v25, s6
	global_load_b64 v[39:40], v[39:40], off
	s_waitcnt vmcnt(0)
	ds_store_b64 v34, v[39:40] offset:128
.LBB40_16:                              ;   in Loop: Header=BB40_6 Depth=2
	s_and_not1_saveexec_b32 s6, s8
	s_cbranch_execz .LBB40_22
; %bb.17:                               ;   in Loop: Header=BB40_6 Depth=2
	s_xor_b32 s7, s7, -1
	s_delay_alu instid0(SALU_CYCLE_1) | instskip(NEXT) | instid1(SALU_CYCLE_1)
	s_and_saveexec_b32 s8, s7
	s_xor_b32 s7, exec_lo, s8
	s_cbranch_execz .LBB40_19
; %bb.18:                               ;   in Loop: Header=BB40_6 Depth=2
	v_mov_b32_e32 v39, v12
	v_mov_b32_e32 v40, v12
	ds_store_b64 v34, v[39:40] offset:128
.LBB40_19:                              ;   in Loop: Header=BB40_6 Depth=2
	s_and_not1_saveexec_b32 s7, s7
	s_cbranch_execz .LBB40_21
; %bb.20:                               ;   in Loop: Header=BB40_6 Depth=2
	ds_store_b64 v34, v[12:13] offset:128
.LBB40_21:                              ;   in Loop: Header=BB40_6 Depth=2
	s_or_b32 exec_lo, exec_lo, s7
.LBB40_22:                              ;   in Loop: Header=BB40_6 Depth=2
	s_delay_alu instid0(SALU_CYCLE_1) | instskip(SKIP_1) | instid1(VALU_DEP_1)
	s_or_b32 exec_lo, exec_lo, s6
	v_add_co_u32 v39, s6, v20, 16
	v_add_co_ci_u32_e64 v40, s6, 0, v21, s6
	s_delay_alu instid0(VALU_DEP_1) | instskip(SKIP_2) | instid1(VALU_DEP_2)
	v_cmp_le_i64_e64 s6, s[12:13], v[39:40]
	v_cmp_eq_u64_e64 s7, v[39:40], v[0:1]
	v_cmp_lt_i64_e64 s8, v[39:40], v[0:1]
	s_and_b32 s39, s30, s7
	s_delay_alu instid0(VALU_DEP_1) | instskip(NEXT) | instid1(SALU_CYCLE_1)
	s_or_b32 s7, s6, s8
	s_or_b32 s7, s7, s39
	s_delay_alu instid0(SALU_CYCLE_1) | instskip(NEXT) | instid1(SALU_CYCLE_1)
	s_or_b32 s7, s0, s7
	s_xor_b32 s7, s7, -1
	s_delay_alu instid0(SALU_CYCLE_1) | instskip(NEXT) | instid1(SALU_CYCLE_1)
	s_and_saveexec_b32 s8, s7
	s_xor_b32 s7, exec_lo, s8
	s_cbranch_execz .LBB40_24
; %bb.23:                               ;   in Loop: Header=BB40_6 Depth=2
	global_load_b64 v[39:40], v[24:25], off offset:128
	s_waitcnt vmcnt(0)
	ds_store_b64 v34, v[39:40] offset:4096
.LBB40_24:                              ;   in Loop: Header=BB40_6 Depth=2
	s_and_not1_saveexec_b32 s7, s7
	s_cbranch_execz .LBB40_30
; %bb.25:                               ;   in Loop: Header=BB40_6 Depth=2
	s_xor_b32 s8, s39, -1
	s_delay_alu instid0(SALU_CYCLE_1) | instskip(NEXT) | instid1(SALU_CYCLE_1)
	s_and_saveexec_b32 s39, s8
	s_xor_b32 s8, exec_lo, s39
	s_cbranch_execz .LBB40_27
; %bb.26:                               ;   in Loop: Header=BB40_6 Depth=2
	v_mov_b32_e32 v39, v12
	v_mov_b32_e32 v40, v12
	ds_store_b64 v34, v[39:40] offset:4096
.LBB40_27:                              ;   in Loop: Header=BB40_6 Depth=2
	s_and_not1_saveexec_b32 s8, s8
	s_cbranch_execz .LBB40_29
; %bb.28:                               ;   in Loop: Header=BB40_6 Depth=2
	ds_store_b64 v34, v[12:13] offset:4096
.LBB40_29:                              ;   in Loop: Header=BB40_6 Depth=2
	s_or_b32 exec_lo, exec_lo, s8
.LBB40_30:                              ;   in Loop: Header=BB40_6 Depth=2
	s_delay_alu instid0(SALU_CYCLE_1) | instskip(SKIP_1) | instid1(SALU_CYCLE_1)
	s_or_b32 exec_lo, exec_lo, s7
	s_or_b32 s5, s6, s5
	s_or_b32 s5, s5, s38
	s_delay_alu instid0(SALU_CYCLE_1) | instskip(NEXT) | instid1(SALU_CYCLE_1)
	s_or_b32 s5, s1, s5
	s_xor_b32 s5, s5, -1
	s_delay_alu instid0(SALU_CYCLE_1) | instskip(NEXT) | instid1(SALU_CYCLE_1)
	s_and_saveexec_b32 s6, s5
	s_xor_b32 s6, exec_lo, s6
	s_cbranch_execz .LBB40_32
; %bb.31:                               ;   in Loop: Header=BB40_6 Depth=2
	v_add_co_u32 v39, s5, v24, s24
	s_delay_alu instid0(VALU_DEP_1)
	v_add_co_ci_u32_e64 v40, s5, s25, v25, s5
	global_load_b64 v[39:40], v[39:40], off offset:128
	s_waitcnt vmcnt(0)
	ds_store_b64 v34, v[39:40] offset:4224
.LBB40_32:                              ;   in Loop: Header=BB40_6 Depth=2
	s_and_not1_saveexec_b32 s5, s6
	s_cbranch_execz .LBB40_38
; %bb.33:                               ;   in Loop: Header=BB40_6 Depth=2
	s_and_saveexec_b32 s6, s33
	s_delay_alu instid0(SALU_CYCLE_1)
	s_xor_b32 s6, exec_lo, s6
	s_cbranch_execz .LBB40_35
; %bb.34:                               ;   in Loop: Header=BB40_6 Depth=2
	v_mov_b32_e32 v39, v12
	v_mov_b32_e32 v40, v12
	ds_store_b64 v34, v[39:40] offset:4224
.LBB40_35:                              ;   in Loop: Header=BB40_6 Depth=2
	s_and_not1_saveexec_b32 s6, s6
	s_cbranch_execz .LBB40_37
; %bb.36:                               ;   in Loop: Header=BB40_6 Depth=2
	ds_store_b64 v34, v[12:13] offset:4224
.LBB40_37:                              ;   in Loop: Header=BB40_6 Depth=2
	s_or_b32 exec_lo, exec_lo, s6
.LBB40_38:                              ;   in Loop: Header=BB40_6 Depth=2
	s_delay_alu instid0(SALU_CYCLE_1) | instskip(SKIP_1) | instid1(VALU_DEP_1)
	s_or_b32 exec_lo, exec_lo, s5
	v_cmp_gt_i64_e64 s6, s[12:13], v[22:23]
	s_and_b32 s5, vcc_lo, s6
	s_delay_alu instid0(SALU_CYCLE_1) | instskip(NEXT) | instid1(SALU_CYCLE_1)
	s_xor_b32 s5, s5, -1
	s_and_saveexec_b32 s7, s5
	s_delay_alu instid0(SALU_CYCLE_1)
	s_xor_b32 s5, exec_lo, s7
	s_cbranch_execz .LBB40_40
; %bb.39:                               ;   in Loop: Header=BB40_6 Depth=2
	v_mov_b32_e32 v39, v12
	v_mov_b32_e32 v40, v12
	ds_store_b64 v36, v[39:40]
.LBB40_40:                              ;   in Loop: Header=BB40_6 Depth=2
	s_and_not1_saveexec_b32 s5, s5
	s_cbranch_execz .LBB40_42
; %bb.41:                               ;   in Loop: Header=BB40_6 Depth=2
	global_load_b64 v[39:40], v[16:17], off
	s_waitcnt vmcnt(0)
	ds_store_b64 v36, v[39:40]
.LBB40_42:                              ;   in Loop: Header=BB40_6 Depth=2
	s_or_b32 exec_lo, exec_lo, s5
	v_cmp_gt_i64_e64 s5, s[20:21], v[22:23]
	s_delay_alu instid0(VALU_DEP_1) | instskip(NEXT) | instid1(SALU_CYCLE_1)
	s_and_b32 s7, vcc_lo, s5
	s_xor_b32 s7, s7, -1
	s_delay_alu instid0(SALU_CYCLE_1) | instskip(NEXT) | instid1(SALU_CYCLE_1)
	s_and_saveexec_b32 s8, s7
	s_xor_b32 s7, exec_lo, s8
	s_cbranch_execz .LBB40_44
; %bb.43:                               ;   in Loop: Header=BB40_6 Depth=2
	v_mov_b32_e32 v39, v12
	v_mov_b32_e32 v40, v12
	ds_store_b64 v36, v[39:40] offset:128
.LBB40_44:                              ;   in Loop: Header=BB40_6 Depth=2
	s_and_not1_saveexec_b32 s7, s7
	s_cbranch_execz .LBB40_46
; %bb.45:                               ;   in Loop: Header=BB40_6 Depth=2
	global_load_b64 v[39:40], v[16:17], off offset:128
	s_waitcnt vmcnt(0)
	ds_store_b64 v36, v[39:40] offset:128
.LBB40_46:                              ;   in Loop: Header=BB40_6 Depth=2
	s_or_b32 exec_lo, exec_lo, s7
	s_and_b32 s6, s4, s6
	s_delay_alu instid0(SALU_CYCLE_1) | instskip(NEXT) | instid1(SALU_CYCLE_1)
	s_xor_b32 s6, s6, -1
	s_and_saveexec_b32 s7, s6
	s_delay_alu instid0(SALU_CYCLE_1)
	s_xor_b32 s6, exec_lo, s7
	s_cbranch_execz .LBB40_48
; %bb.47:                               ;   in Loop: Header=BB40_6 Depth=2
	v_mov_b32_e32 v39, v12
	v_mov_b32_e32 v40, v12
	ds_store_b64 v36, v[39:40] offset:4096
.LBB40_48:                              ;   in Loop: Header=BB40_6 Depth=2
	s_and_not1_saveexec_b32 s7, s6
	s_cbranch_execz .LBB40_50
; %bb.49:                               ;   in Loop: Header=BB40_6 Depth=2
	s_lshl_b64 s[38:39], s[22:23], 3
	s_delay_alu instid0(SALU_CYCLE_1) | instskip(NEXT) | instid1(VALU_DEP_1)
	v_add_co_u32 v39, s6, v16, s38
	v_add_co_ci_u32_e64 v40, s6, s39, v17, s6
	global_load_b64 v[39:40], v[39:40], off
	s_waitcnt vmcnt(0)
	ds_store_b64 v36, v[39:40] offset:4096
.LBB40_50:                              ;   in Loop: Header=BB40_6 Depth=2
	s_or_b32 exec_lo, exec_lo, s7
	s_and_b32 s5, s4, s5
	s_delay_alu instid0(SALU_CYCLE_1) | instskip(NEXT) | instid1(SALU_CYCLE_1)
	s_xor_b32 s5, s5, -1
	s_and_saveexec_b32 s6, s5
	s_delay_alu instid0(SALU_CYCLE_1)
	s_xor_b32 s5, exec_lo, s6
	s_cbranch_execz .LBB40_52
; %bb.51:                               ;   in Loop: Header=BB40_6 Depth=2
	v_mov_b32_e32 v39, v12
	v_mov_b32_e32 v40, v12
	ds_store_b64 v36, v[39:40] offset:4224
.LBB40_52:                              ;   in Loop: Header=BB40_6 Depth=2
	s_and_not1_saveexec_b32 s6, s5
	s_cbranch_execz .LBB40_54
; %bb.53:                               ;   in Loop: Header=BB40_6 Depth=2
	s_lshl_b64 s[38:39], s[22:23], 3
	s_delay_alu instid0(SALU_CYCLE_1) | instskip(NEXT) | instid1(VALU_DEP_1)
	v_add_co_u32 v39, s5, v16, s38
	v_add_co_ci_u32_e64 v40, s5, s39, v17, s5
	global_load_b64 v[39:40], v[39:40], off offset:128
	s_waitcnt vmcnt(0)
	ds_store_b64 v36, v[39:40] offset:4224
.LBB40_54:                              ;   in Loop: Header=BB40_6 Depth=2
	s_or_b32 exec_lo, exec_lo, s6
	v_mov_b32_e32 v39, v31
	s_mov_b32 s5, 0
	s_waitcnt lgkmcnt(0)
	s_waitcnt_vscnt null, 0x0
	s_barrier
	buffer_gl0_inv
.LBB40_55:                              ;   Parent Loop BB40_4 Depth=1
                                        ;     Parent Loop BB40_6 Depth=2
                                        ; =>    This Inner Loop Header: Depth=3
	v_add_nc_u32_e32 v62, s5, v35
	s_add_i32 s5, s5, 64
	ds_load_2addr_b64 v[40:43], v39 offset1:16
	ds_load_b128 v[44:47], v62
	ds_load_b128 v[48:51], v62 offset:4096
	ds_load_b128 v[52:55], v62 offset:16
	;; [unrolled: 1-line block ×3, first 2 shown]
	s_cmpk_lg_i32 s5, 0x100
	s_waitcnt lgkmcnt(3)
	v_fma_f64 v[60:61], v[40:41], v[44:45], v[28:29]
	v_fma_f64 v[44:45], v[42:43], v[44:45], v[26:27]
	s_waitcnt lgkmcnt(2)
	v_fma_f64 v[18:19], v[40:41], v[48:49], v[18:19]
	v_fma_f64 v[14:15], v[42:43], v[48:49], v[14:15]
	ds_load_2addr_b64 v[26:29], v39 offset0:32 offset1:48
	s_waitcnt lgkmcnt(0)
	v_fma_f64 v[40:41], v[26:27], v[46:47], v[60:61]
	v_fma_f64 v[42:43], v[28:29], v[46:47], v[44:45]
	v_fma_f64 v[18:19], v[26:27], v[50:51], v[18:19]
	v_fma_f64 v[14:15], v[28:29], v[50:51], v[14:15]
	ds_load_2addr_b64 v[26:29], v39 offset0:64 offset1:80
	s_waitcnt lgkmcnt(0)
	v_fma_f64 v[40:41], v[26:27], v[52:53], v[40:41]
	v_fma_f64 v[42:43], v[28:29], v[52:53], v[42:43]
	;; [unrolled: 6-line block ×3, first 2 shown]
	v_fma_f64 v[18:19], v[26:27], v[58:59], v[18:19]
	v_fma_f64 v[14:15], v[28:29], v[58:59], v[14:15]
	ds_load_2addr_b64 v[26:29], v39 offset0:128 offset1:144
	ds_load_b128 v[40:43], v62 offset:32
	ds_load_b128 v[44:47], v62 offset:4128
	;; [unrolled: 1-line block ×4, first 2 shown]
	s_waitcnt lgkmcnt(3)
	v_fma_f64 v[56:57], v[26:27], v[40:41], v[56:57]
	v_fma_f64 v[40:41], v[28:29], v[40:41], v[60:61]
	s_waitcnt lgkmcnt(2)
	v_fma_f64 v[18:19], v[26:27], v[44:45], v[18:19]
	v_fma_f64 v[14:15], v[28:29], v[44:45], v[14:15]
	ds_load_2addr_b64 v[26:29], v39 offset0:160 offset1:176
	s_waitcnt lgkmcnt(0)
	v_fma_f64 v[44:45], v[26:27], v[42:43], v[56:57]
	v_fma_f64 v[40:41], v[28:29], v[42:43], v[40:41]
	;; [unrolled: 1-line block ×4, first 2 shown]
	ds_load_2addr_b64 v[26:29], v39 offset0:192 offset1:208
	s_waitcnt lgkmcnt(0)
	v_fma_f64 v[44:45], v[26:27], v[48:49], v[44:45]
	v_fma_f64 v[46:47], v[28:29], v[48:49], v[40:41]
	;; [unrolled: 1-line block ×4, first 2 shown]
	ds_load_2addr_b64 v[40:43], v39 offset0:224 offset1:240
	v_add_nc_u32_e32 v39, 0x800, v39
	s_waitcnt lgkmcnt(0)
	v_fma_f64 v[28:29], v[40:41], v[50:51], v[44:45]
	v_fma_f64 v[26:27], v[42:43], v[50:51], v[46:47]
	;; [unrolled: 1-line block ×4, first 2 shown]
	s_cbranch_scc1 .LBB40_55
; %bb.56:                               ;   in Loop: Header=BB40_6 Depth=2
	v_add_co_u32 v24, s5, 0x100, v24
	s_delay_alu instid0(VALU_DEP_1) | instskip(SKIP_1) | instid1(VALU_DEP_1)
	v_add_co_ci_u32_e64 v25, s5, 0, v25, s5
	v_add_co_u32 v20, s5, v20, 32
	v_add_co_ci_u32_e64 v21, s5, 0, v21, s5
	v_add_co_u32 v16, s5, 0x100, v16
	s_delay_alu instid0(VALU_DEP_1) | instskip(SKIP_1) | instid1(VALU_DEP_1)
	v_add_co_ci_u32_e64 v17, s5, 0, v17, s5
	v_add_co_u32 v22, s5, v22, 32
	v_add_co_ci_u32_e64 v23, s5, 0, v23, s5
	s_add_i32 s9, s9, 32
	s_delay_alu instid0(SALU_CYCLE_1)
	s_cmp_ge_i32 s9, s28
	s_barrier
	buffer_gl0_inv
	s_cbranch_scc0 .LBB40_6
.LBB40_57:                              ;   in Loop: Header=BB40_4 Depth=1
	v_mul_lo_u32 v20, v38, s16
	v_mul_lo_u32 v21, v37, s17
	v_mad_u64_u32 v[16:17], null, v37, s16, 0
	v_cmp_gt_i32_e32 vcc_lo, s10, v37
	s_delay_alu instid0(VALU_DEP_2) | instskip(NEXT) | instid1(VALU_DEP_1)
	v_add3_u32 v17, v17, v21, v20
	v_lshlrev_b64 v[16:17], 3, v[16:17]
	s_delay_alu instid0(VALU_DEP_1) | instskip(NEXT) | instid1(VALU_DEP_1)
	v_add_co_u32 v16, s4, s15, v16
	v_add_co_ci_u32_e64 v17, s4, s27, v17, s4
	s_and_b32 s4, s2, vcc_lo
	s_delay_alu instid0(SALU_CYCLE_1)
	s_and_saveexec_b32 s5, s4
	s_cbranch_execz .LBB40_59
; %bb.58:                               ;   in Loop: Header=BB40_4 Depth=1
	v_add_co_u32 v20, s4, v16, v4
	s_delay_alu instid0(VALU_DEP_1)
	v_add_co_ci_u32_e64 v21, s4, v17, v5, s4
	global_load_b64 v[22:23], v[20:21], off
	s_waitcnt vmcnt(0)
	v_fma_f64 v[22:23], s[34:35], v[28:29], v[22:23]
	global_store_b64 v[20:21], v[22:23], off
.LBB40_59:                              ;   in Loop: Header=BB40_4 Depth=1
	s_or_b32 exec_lo, exec_lo, s5
	s_and_b32 s5, s3, vcc_lo
	s_delay_alu instid0(SALU_CYCLE_1)
	s_and_saveexec_b32 s4, s5
	s_cbranch_execz .LBB40_61
; %bb.60:                               ;   in Loop: Header=BB40_4 Depth=1
	v_lshlrev_b64 v[20:21], 3, v[10:11]
	s_delay_alu instid0(VALU_DEP_1) | instskip(NEXT) | instid1(VALU_DEP_2)
	v_add_co_u32 v16, vcc_lo, v16, v20
	v_add_co_ci_u32_e32 v17, vcc_lo, v17, v21, vcc_lo
	global_load_b64 v[20:21], v[16:17], off
	s_waitcnt vmcnt(0)
	v_fma_f64 v[20:21], s[34:35], v[26:27], v[20:21]
	global_store_b64 v[16:17], v[20:21], off
.LBB40_61:                              ;   in Loop: Header=BB40_4 Depth=1
	s_or_b32 exec_lo, exec_lo, s4
	v_add_nc_u32_e32 v20, 16, v37
	s_delay_alu instid0(VALU_DEP_1) | instskip(SKIP_3) | instid1(VALU_DEP_4)
	v_ashrrev_i32_e32 v21, 31, v20
	v_mul_lo_u32 v22, v20, s17
	v_mad_u64_u32 v[16:17], null, v20, s16, 0
	v_cmp_gt_i32_e32 vcc_lo, s10, v20
	v_mul_lo_u32 v21, v21, s16
	s_delay_alu instid0(VALU_DEP_1) | instskip(NEXT) | instid1(VALU_DEP_1)
	v_add3_u32 v17, v17, v22, v21
	v_lshlrev_b64 v[16:17], 3, v[16:17]
	s_delay_alu instid0(VALU_DEP_1) | instskip(NEXT) | instid1(VALU_DEP_1)
	v_add_co_u32 v16, s4, s15, v16
	v_add_co_ci_u32_e64 v17, s4, s27, v17, s4
	s_and_b32 s4, s2, vcc_lo
	s_delay_alu instid0(SALU_CYCLE_1)
	s_and_saveexec_b32 s5, s4
	s_cbranch_execnz .LBB40_63
; %bb.62:                               ;   in Loop: Header=BB40_4 Depth=1
	s_or_b32 exec_lo, exec_lo, s5
	s_and_b32 s5, s3, vcc_lo
	s_delay_alu instid0(SALU_CYCLE_1)
	s_and_saveexec_b32 s4, s5
	s_cbranch_execz .LBB40_3
	s_branch .LBB40_64
.LBB40_63:                              ;   in Loop: Header=BB40_4 Depth=1
	v_add_co_u32 v20, s4, v16, v4
	s_delay_alu instid0(VALU_DEP_1)
	v_add_co_ci_u32_e64 v21, s4, v17, v5, s4
	global_load_b64 v[22:23], v[20:21], off
	s_waitcnt vmcnt(0)
	v_fma_f64 v[18:19], s[34:35], v[18:19], v[22:23]
	global_store_b64 v[20:21], v[18:19], off
	s_or_b32 exec_lo, exec_lo, s5
	s_and_b32 s5, s3, vcc_lo
	s_delay_alu instid0(SALU_CYCLE_1)
	s_and_saveexec_b32 s4, s5
	s_cbranch_execz .LBB40_3
.LBB40_64:                              ;   in Loop: Header=BB40_4 Depth=1
	v_lshlrev_b64 v[18:19], 3, v[10:11]
	s_delay_alu instid0(VALU_DEP_1) | instskip(NEXT) | instid1(VALU_DEP_2)
	v_add_co_u32 v16, vcc_lo, v16, v18
	v_add_co_ci_u32_e32 v17, vcc_lo, v17, v19, vcc_lo
	global_load_b64 v[18:19], v[16:17], off
	s_waitcnt vmcnt(0)
	v_fma_f64 v[14:15], s[34:35], v[14:15], v[18:19]
	global_store_b64 v[16:17], v[14:15], off
	s_branch .LBB40_3
.LBB40_65:
	s_nop 0
	s_sendmsg sendmsg(MSG_DEALLOC_VGPRS)
	s_endpgm
	.section	.rodata,"a",@progbits
	.p2align	6, 0x0
	.amdhsa_kernel _ZL30rocblas_trmm_outofplace_kernelIdLi32ELi2ELb1ELb0ELb1ELb0EPKdS0_dEv17rocblas_diagonal_iiT6_lPT7_lllS5_lllPT8_llli
		.amdhsa_group_segment_fixed_size 16384
		.amdhsa_private_segment_fixed_size 0
		.amdhsa_kernarg_size 392
		.amdhsa_user_sgpr_count 13
		.amdhsa_user_sgpr_dispatch_ptr 0
		.amdhsa_user_sgpr_queue_ptr 0
		.amdhsa_user_sgpr_kernarg_segment_ptr 1
		.amdhsa_user_sgpr_dispatch_id 0
		.amdhsa_user_sgpr_private_segment_size 0
		.amdhsa_wavefront_size32 1
		.amdhsa_uses_dynamic_stack 0
		.amdhsa_enable_private_segment 0
		.amdhsa_system_sgpr_workgroup_id_x 1
		.amdhsa_system_sgpr_workgroup_id_y 1
		.amdhsa_system_sgpr_workgroup_id_z 1
		.amdhsa_system_sgpr_workgroup_info 0
		.amdhsa_system_vgpr_workitem_id 1
		.amdhsa_next_free_vgpr 63
		.amdhsa_next_free_sgpr 44
		.amdhsa_reserve_vcc 1
		.amdhsa_float_round_mode_32 0
		.amdhsa_float_round_mode_16_64 0
		.amdhsa_float_denorm_mode_32 3
		.amdhsa_float_denorm_mode_16_64 3
		.amdhsa_dx10_clamp 1
		.amdhsa_ieee_mode 1
		.amdhsa_fp16_overflow 0
		.amdhsa_workgroup_processor_mode 1
		.amdhsa_memory_ordered 1
		.amdhsa_forward_progress 0
		.amdhsa_shared_vgpr_count 0
		.amdhsa_exception_fp_ieee_invalid_op 0
		.amdhsa_exception_fp_denorm_src 0
		.amdhsa_exception_fp_ieee_div_zero 0
		.amdhsa_exception_fp_ieee_overflow 0
		.amdhsa_exception_fp_ieee_underflow 0
		.amdhsa_exception_fp_ieee_inexact 0
		.amdhsa_exception_int_div_zero 0
	.end_amdhsa_kernel
	.section	.text._ZL30rocblas_trmm_outofplace_kernelIdLi32ELi2ELb1ELb0ELb1ELb0EPKdS0_dEv17rocblas_diagonal_iiT6_lPT7_lllS5_lllPT8_llli,"axG",@progbits,_ZL30rocblas_trmm_outofplace_kernelIdLi32ELi2ELb1ELb0ELb1ELb0EPKdS0_dEv17rocblas_diagonal_iiT6_lPT7_lllS5_lllPT8_llli,comdat
.Lfunc_end40:
	.size	_ZL30rocblas_trmm_outofplace_kernelIdLi32ELi2ELb1ELb0ELb1ELb0EPKdS0_dEv17rocblas_diagonal_iiT6_lPT7_lllS5_lllPT8_llli, .Lfunc_end40-_ZL30rocblas_trmm_outofplace_kernelIdLi32ELi2ELb1ELb0ELb1ELb0EPKdS0_dEv17rocblas_diagonal_iiT6_lPT7_lllS5_lllPT8_llli
                                        ; -- End function
	.section	.AMDGPU.csdata,"",@progbits
; Kernel info:
; codeLenInByte = 2888
; NumSgprs: 46
; NumVgprs: 63
; ScratchSize: 0
; MemoryBound: 1
; FloatMode: 240
; IeeeMode: 1
; LDSByteSize: 16384 bytes/workgroup (compile time only)
; SGPRBlocks: 5
; VGPRBlocks: 7
; NumSGPRsForWavesPerEU: 46
; NumVGPRsForWavesPerEU: 63
; Occupancy: 16
; WaveLimiterHint : 0
; COMPUTE_PGM_RSRC2:SCRATCH_EN: 0
; COMPUTE_PGM_RSRC2:USER_SGPR: 13
; COMPUTE_PGM_RSRC2:TRAP_HANDLER: 0
; COMPUTE_PGM_RSRC2:TGID_X_EN: 1
; COMPUTE_PGM_RSRC2:TGID_Y_EN: 1
; COMPUTE_PGM_RSRC2:TGID_Z_EN: 1
; COMPUTE_PGM_RSRC2:TIDIG_COMP_CNT: 1
	.section	.text._ZL30rocblas_trmm_outofplace_kernelIdLi32ELi2ELb1ELb0ELb1ELb0EdKddEv17rocblas_diagonal_iiT6_lPT7_lllS4_lllPT8_llli,"axG",@progbits,_ZL30rocblas_trmm_outofplace_kernelIdLi32ELi2ELb1ELb0ELb1ELb0EdKddEv17rocblas_diagonal_iiT6_lPT7_lllS4_lllPT8_llli,comdat
	.globl	_ZL30rocblas_trmm_outofplace_kernelIdLi32ELi2ELb1ELb0ELb1ELb0EdKddEv17rocblas_diagonal_iiT6_lPT7_lllS4_lllPT8_llli ; -- Begin function _ZL30rocblas_trmm_outofplace_kernelIdLi32ELi2ELb1ELb0ELb1ELb0EdKddEv17rocblas_diagonal_iiT6_lPT7_lllS4_lllPT8_llli
	.p2align	8
	.type	_ZL30rocblas_trmm_outofplace_kernelIdLi32ELi2ELb1ELb0ELb1ELb0EdKddEv17rocblas_diagonal_iiT6_lPT7_lllS4_lllPT8_llli,@function
_ZL30rocblas_trmm_outofplace_kernelIdLi32ELi2ELb1ELb0ELb1ELb0EdKddEv17rocblas_diagonal_iiT6_lPT7_lllS4_lllPT8_llli: ; @_ZL30rocblas_trmm_outofplace_kernelIdLi32ELi2ELb1ELb0ELb1ELb0EdKddEv17rocblas_diagonal_iiT6_lPT7_lllS4_lllPT8_llli
; %bb.0:
	s_load_b64 s[34:35], s[0:1], 0x10
	s_waitcnt lgkmcnt(0)
	v_cmp_eq_f64_e64 s2, s[34:35], 0
	s_delay_alu instid0(VALU_DEP_1)
	s_and_b32 vcc_lo, exec_lo, s2
	s_cbranch_vccnz .LBB41_65
; %bb.1:
	s_load_b128 s[8:11], s[0:1], 0x0
	s_waitcnt lgkmcnt(0)
	s_add_i32 s2, s10, -1
	s_delay_alu instid0(SALU_CYCLE_1) | instskip(NEXT) | instid1(SALU_CYCLE_1)
	s_ashr_i32 s3, s2, 31
	s_lshr_b32 s3, s3, 27
	s_delay_alu instid0(SALU_CYCLE_1) | instskip(NEXT) | instid1(SALU_CYCLE_1)
	s_add_i32 s2, s2, s3
	s_ashr_i32 s11, s2, 5
	s_delay_alu instid0(SALU_CYCLE_1)
	s_cmp_gt_i32 s14, s11
	s_cbranch_scc1 .LBB41_65
; %bb.2:
	s_clause 0x1
	s_load_b512 s[16:31], s[0:1], 0x20
	s_load_b256 s[36:43], s[0:1], 0x60
	v_and_b32_e32 v1, 0x3ff, v0
	v_bfe_u32 v30, v0, 10, 10
	s_mov_b32 s12, s9
	s_delay_alu instid0(VALU_DEP_2) | instskip(NEXT) | instid1(VALU_DEP_2)
	v_lshlrev_b32_e32 v31, 3, v1
	v_lshlrev_b32_e32 v0, 8, v30
	s_delay_alu instid0(VALU_DEP_1) | instskip(SKIP_1) | instid1(VALU_DEP_1)
	v_add_nc_u32_e32 v32, v0, v31
	v_add_nc_u32_e32 v33, 0x2000, v0
	;; [unrolled: 1-line block ×3, first 2 shown]
	s_waitcnt lgkmcnt(0)
	s_mul_i32 s3, s15, s23
	s_mul_hi_u32 s4, s15, s22
	s_mul_i32 s2, s15, s22
	s_add_i32 s3, s4, s3
	s_mul_i32 s5, s15, s31
	s_lshl_b64 s[2:3], s[2:3], 3
	s_mul_hi_u32 s6, s15, s30
	s_add_u32 s7, s16, s2
	s_addc_u32 s16, s17, s3
	s_lshl_b64 s[2:3], s[18:19], 3
	s_mul_i32 s4, s15, s30
	s_add_u32 s7, s7, s2
	s_addc_u32 s19, s16, s3
	s_add_i32 s5, s6, s5
	s_mul_i32 s6, s15, s43
	s_lshl_b64 s[2:3], s[4:5], 3
	s_mul_hi_u32 s5, s15, s42
	s_add_u32 s16, s24, s2
	s_addc_u32 s17, s25, s3
	s_lshl_b64 s[2:3], s[26:27], 3
	s_mul_i32 s4, s15, s42
	s_add_u32 s22, s16, s2
	s_addc_u32 s23, s17, s3
	s_add_i32 s5, s5, s6
	s_load_b32 s15, s[0:1], 0x8c
	s_lshl_b64 s[2:3], s[4:5], 3
	s_delay_alu instid0(SALU_CYCLE_1) | instskip(SKIP_2) | instid1(SALU_CYCLE_1)
	s_add_u32 s2, s36, s2
	s_addc_u32 s3, s37, s3
	s_lshl_b64 s[0:1], s[38:39], 3
	s_add_u32 s24, s2, s0
	s_addc_u32 s25, s3, s1
	s_lshl_b32 s0, s13, 5
	s_delay_alu instid0(SALU_CYCLE_1) | instskip(SKIP_2) | instid1(SALU_CYCLE_1)
	v_add_nc_u32_e32 v2, s0, v1
	v_add_nc_u32_e32 v0, s0, v30
	s_sub_i32 s26, s9, s0
	s_cmp_gt_i32 s26, 0
	s_delay_alu instid0(VALU_DEP_2) | instskip(SKIP_3) | instid1(VALU_DEP_4)
	v_ashrrev_i32_e32 v3, 31, v2
	v_mul_lo_u32 v5, v2, s21
	v_mad_u64_u32 v[8:9], null, v2, s20, 0
	v_ashrrev_i32_e32 v1, 31, v0
	v_mul_lo_u32 v6, v3, s20
	s_cselect_b32 s27, -1, 0
	s_cmpk_eq_i32 s8, 0x84
	v_add_nc_u32_e32 v4, 16, v2
	v_lshlrev_b64 v[12:13], 3, v[0:1]
	s_cselect_b32 s30, -1, 0
	s_ashr_i32 s13, s9, 31
	v_cmp_le_i32_e64 s0, s9, v2
	v_add3_u32 v9, v9, v5, v6
	v_add_co_u32 v6, vcc_lo, v2, 16
	v_add_co_ci_u32_e32 v7, vcc_lo, 0, v3, vcc_lo
	s_delay_alu instid0(VALU_DEP_3) | instskip(SKIP_2) | instid1(VALU_DEP_4)
	v_lshlrev_b64 v[10:11], 3, v[8:9]
	v_lshlrev_b64 v[8:9], 3, v[2:3]
	v_cmp_gt_i32_e64 s2, s9, v2
	v_cmp_le_i64_e64 s1, s[12:13], v[6:7]
	v_cmp_gt_i32_e64 s3, s9, v4
	s_ashr_i32 s31, s10, 31
	v_add_co_u32 v5, vcc_lo, s7, v10
	v_add_co_ci_u32_e32 v11, vcc_lo, s19, v11, vcc_lo
	v_add_co_u32 v35, vcc_lo, s22, v8
	v_add_co_ci_u32_e32 v36, vcc_lo, s23, v9, vcc_lo
	s_delay_alu instid0(VALU_DEP_4) | instskip(NEXT) | instid1(VALU_DEP_4)
	v_add_co_u32 v10, vcc_lo, v5, v12
	v_add_co_ci_u32_e32 v11, vcc_lo, v11, v13, vcc_lo
	v_mov_b32_e32 v13, 0x3ff00000
	v_ashrrev_i32_e32 v5, 31, v4
	v_mov_b32_e32 v12, 0
	s_lshl_b64 s[16:17], s[20:21], 7
	s_lshl_b64 s[4:5], s[20:21], 4
	s_add_u32 s18, s9, -16
	s_addc_u32 s19, s13, -1
	s_lshl_b64 s[20:21], s[28:29], 4
	s_lshl_b64 s[22:23], s[4:5], 3
	s_branch .LBB41_4
.LBB41_3:                               ;   in Loop: Header=BB41_4 Depth=1
	s_or_b32 exec_lo, exec_lo, s4
	s_waitcnt lgkmcnt(0)
	s_add_i32 s14, s15, s14
	s_delay_alu instid0(SALU_CYCLE_1)
	s_cmp_le_i32 s14, s11
	s_cbranch_scc0 .LBB41_65
.LBB41_4:                               ; =>This Loop Header: Depth=1
                                        ;     Child Loop BB41_6 Depth 2
                                        ;       Child Loop BB41_55 Depth 3
	v_mov_b32_e32 v28, 0
	v_mov_b32_e32 v29, 0
	v_lshl_add_u32 v37, s14, 5, v30
	s_delay_alu instid0(VALU_DEP_3) | instskip(SKIP_1) | instid1(VALU_DEP_4)
	v_mov_b32_e32 v26, v28
	v_mov_b32_e32 v18, v28
	v_dual_mov_b32 v14, v28 :: v_dual_mov_b32 v15, v29
	s_delay_alu instid0(VALU_DEP_4)
	v_ashrrev_i32_e32 v38, 31, v37
	v_mov_b32_e32 v27, v29
	v_mov_b32_e32 v19, v29
	s_and_not1_b32 vcc_lo, exec_lo, s27
	s_cbranch_vccnz .LBB41_57
; %bb.5:                                ;   in Loop: Header=BB41_4 Depth=1
	v_mul_lo_u32 v14, v38, s28
	v_mul_lo_u32 v15, v37, s29
	v_mad_u64_u32 v[16:17], null, v37, s28, 0
	v_sub_co_u32 v18, vcc_lo, s10, v37
	v_sub_co_ci_u32_e32 v19, vcc_lo, s31, v38, vcc_lo
	v_dual_mov_b32 v21, v1 :: v_dual_mov_b32 v20, v0
	s_delay_alu instid0(VALU_DEP_4)
	v_add3_u32 v17, v17, v15, v14
	v_mov_b32_e32 v14, 0
	v_mov_b32_e32 v15, 0
	v_cmp_lt_i64_e32 vcc_lo, 0, v[18:19]
	v_cmp_lt_i64_e64 s4, 16, v[18:19]
	v_lshlrev_b64 v[16:17], 3, v[16:17]
	v_dual_mov_b32 v23, v3 :: v_dual_mov_b32 v22, v2
	v_dual_mov_b32 v19, v15 :: v_dual_mov_b32 v18, v14
	;; [unrolled: 1-line block ×3, first 2 shown]
	s_delay_alu instid0(VALU_DEP_4)
	v_add_co_u32 v16, s5, v35, v16
	v_dual_mov_b32 v29, v15 :: v_dual_mov_b32 v28, v14
	v_add_co_ci_u32_e64 v17, s5, v36, v17, s5
	v_dual_mov_b32 v25, v11 :: v_dual_mov_b32 v24, v10
	s_mov_b32 s9, 0
.LBB41_6:                               ;   Parent Loop BB41_4 Depth=1
                                        ; =>  This Loop Header: Depth=2
                                        ;       Child Loop BB41_55 Depth 3
	v_cmp_le_i64_e64 s6, s[12:13], v[20:21]
	v_cmp_eq_u64_e64 s7, v[20:21], v[2:3]
	v_cmp_lt_i64_e64 s5, v[20:21], v[2:3]
	s_delay_alu instid0(VALU_DEP_2) | instskip(NEXT) | instid1(VALU_DEP_1)
	s_and_b32 s36, s30, s7
	s_or_b32 s7, s6, s5
	s_delay_alu instid0(SALU_CYCLE_1) | instskip(NEXT) | instid1(SALU_CYCLE_1)
	s_or_b32 s7, s7, s36
	s_or_b32 s7, s0, s7
	s_delay_alu instid0(SALU_CYCLE_1) | instskip(NEXT) | instid1(SALU_CYCLE_1)
	s_xor_b32 s7, s7, -1
	s_and_saveexec_b32 s8, s7
	s_delay_alu instid0(SALU_CYCLE_1)
	s_xor_b32 s7, exec_lo, s8
	s_cbranch_execz .LBB41_8
; %bb.7:                                ;   in Loop: Header=BB41_6 Depth=2
	global_load_b64 v[39:40], v[24:25], off
	s_waitcnt vmcnt(0)
	ds_store_b64 v32, v[39:40]
.LBB41_8:                               ;   in Loop: Header=BB41_6 Depth=2
	s_or_saveexec_b32 s7, s7
	s_xor_b32 s33, s36, -1
	s_xor_b32 exec_lo, exec_lo, s7
	s_cbranch_execz .LBB41_14
; %bb.9:                                ;   in Loop: Header=BB41_6 Depth=2
	s_and_saveexec_b32 s8, s33
	s_delay_alu instid0(SALU_CYCLE_1)
	s_xor_b32 s8, exec_lo, s8
	s_cbranch_execz .LBB41_11
; %bb.10:                               ;   in Loop: Header=BB41_6 Depth=2
	v_mov_b32_e32 v39, v12
	v_mov_b32_e32 v40, v12
	ds_store_b64 v32, v[39:40]
.LBB41_11:                              ;   in Loop: Header=BB41_6 Depth=2
	s_and_not1_saveexec_b32 s8, s8
	s_cbranch_execz .LBB41_13
; %bb.12:                               ;   in Loop: Header=BB41_6 Depth=2
	ds_store_b64 v32, v[12:13]
.LBB41_13:                              ;   in Loop: Header=BB41_6 Depth=2
	s_or_b32 exec_lo, exec_lo, s8
.LBB41_14:                              ;   in Loop: Header=BB41_6 Depth=2
	s_delay_alu instid0(SALU_CYCLE_1) | instskip(SKIP_2) | instid1(VALU_DEP_2)
	s_or_b32 exec_lo, exec_lo, s7
	v_cmp_eq_u64_e64 s7, v[6:7], v[20:21]
	v_cmp_gt_i64_e64 s8, v[6:7], v[20:21]
	s_and_b32 s7, s30, s7
	s_delay_alu instid0(VALU_DEP_1) | instskip(NEXT) | instid1(SALU_CYCLE_1)
	s_or_b32 s6, s6, s8
	s_or_b32 s6, s6, s7
	s_delay_alu instid0(SALU_CYCLE_1) | instskip(NEXT) | instid1(SALU_CYCLE_1)
	s_or_b32 s6, s1, s6
	s_xor_b32 s6, s6, -1
	s_delay_alu instid0(SALU_CYCLE_1) | instskip(NEXT) | instid1(SALU_CYCLE_1)
	s_and_saveexec_b32 s8, s6
	s_xor_b32 s8, exec_lo, s8
	s_cbranch_execz .LBB41_16
; %bb.15:                               ;   in Loop: Header=BB41_6 Depth=2
	v_add_co_u32 v39, s6, v24, s16
	s_delay_alu instid0(VALU_DEP_1)
	v_add_co_ci_u32_e64 v40, s6, s17, v25, s6
	global_load_b64 v[39:40], v[39:40], off
	s_waitcnt vmcnt(0)
	ds_store_b64 v32, v[39:40] offset:128
.LBB41_16:                              ;   in Loop: Header=BB41_6 Depth=2
	s_and_not1_saveexec_b32 s6, s8
	s_cbranch_execz .LBB41_22
; %bb.17:                               ;   in Loop: Header=BB41_6 Depth=2
	s_xor_b32 s7, s7, -1
	s_delay_alu instid0(SALU_CYCLE_1) | instskip(NEXT) | instid1(SALU_CYCLE_1)
	s_and_saveexec_b32 s8, s7
	s_xor_b32 s7, exec_lo, s8
	s_cbranch_execz .LBB41_19
; %bb.18:                               ;   in Loop: Header=BB41_6 Depth=2
	v_mov_b32_e32 v39, v12
	v_mov_b32_e32 v40, v12
	ds_store_b64 v32, v[39:40] offset:128
.LBB41_19:                              ;   in Loop: Header=BB41_6 Depth=2
	s_and_not1_saveexec_b32 s7, s7
	s_cbranch_execz .LBB41_21
; %bb.20:                               ;   in Loop: Header=BB41_6 Depth=2
	ds_store_b64 v32, v[12:13] offset:128
.LBB41_21:                              ;   in Loop: Header=BB41_6 Depth=2
	s_or_b32 exec_lo, exec_lo, s7
.LBB41_22:                              ;   in Loop: Header=BB41_6 Depth=2
	s_delay_alu instid0(SALU_CYCLE_1) | instskip(SKIP_1) | instid1(VALU_DEP_1)
	s_or_b32 exec_lo, exec_lo, s6
	v_add_co_u32 v39, s6, v20, 16
	v_add_co_ci_u32_e64 v40, s6, 0, v21, s6
	s_delay_alu instid0(VALU_DEP_1) | instskip(SKIP_2) | instid1(VALU_DEP_2)
	v_cmp_le_i64_e64 s6, s[12:13], v[39:40]
	v_cmp_eq_u64_e64 s7, v[39:40], v[2:3]
	v_cmp_lt_i64_e64 s8, v[39:40], v[2:3]
	s_and_b32 s37, s30, s7
	s_delay_alu instid0(VALU_DEP_1) | instskip(NEXT) | instid1(SALU_CYCLE_1)
	s_or_b32 s7, s6, s8
	s_or_b32 s7, s7, s37
	s_delay_alu instid0(SALU_CYCLE_1) | instskip(NEXT) | instid1(SALU_CYCLE_1)
	s_or_b32 s7, s0, s7
	s_xor_b32 s7, s7, -1
	s_delay_alu instid0(SALU_CYCLE_1) | instskip(NEXT) | instid1(SALU_CYCLE_1)
	s_and_saveexec_b32 s8, s7
	s_xor_b32 s7, exec_lo, s8
	s_cbranch_execz .LBB41_24
; %bb.23:                               ;   in Loop: Header=BB41_6 Depth=2
	global_load_b64 v[39:40], v[24:25], off offset:128
	s_waitcnt vmcnt(0)
	ds_store_b64 v32, v[39:40] offset:4096
.LBB41_24:                              ;   in Loop: Header=BB41_6 Depth=2
	s_and_not1_saveexec_b32 s7, s7
	s_cbranch_execz .LBB41_30
; %bb.25:                               ;   in Loop: Header=BB41_6 Depth=2
	s_xor_b32 s8, s37, -1
	s_delay_alu instid0(SALU_CYCLE_1) | instskip(NEXT) | instid1(SALU_CYCLE_1)
	s_and_saveexec_b32 s37, s8
	s_xor_b32 s8, exec_lo, s37
	s_cbranch_execz .LBB41_27
; %bb.26:                               ;   in Loop: Header=BB41_6 Depth=2
	v_mov_b32_e32 v39, v12
	v_mov_b32_e32 v40, v12
	ds_store_b64 v32, v[39:40] offset:4096
.LBB41_27:                              ;   in Loop: Header=BB41_6 Depth=2
	s_and_not1_saveexec_b32 s8, s8
	s_cbranch_execz .LBB41_29
; %bb.28:                               ;   in Loop: Header=BB41_6 Depth=2
	ds_store_b64 v32, v[12:13] offset:4096
.LBB41_29:                              ;   in Loop: Header=BB41_6 Depth=2
	s_or_b32 exec_lo, exec_lo, s8
.LBB41_30:                              ;   in Loop: Header=BB41_6 Depth=2
	s_delay_alu instid0(SALU_CYCLE_1) | instskip(SKIP_1) | instid1(SALU_CYCLE_1)
	s_or_b32 exec_lo, exec_lo, s7
	s_or_b32 s5, s6, s5
	s_or_b32 s5, s5, s36
	s_delay_alu instid0(SALU_CYCLE_1) | instskip(NEXT) | instid1(SALU_CYCLE_1)
	s_or_b32 s5, s1, s5
	s_xor_b32 s5, s5, -1
	s_delay_alu instid0(SALU_CYCLE_1) | instskip(NEXT) | instid1(SALU_CYCLE_1)
	s_and_saveexec_b32 s6, s5
	s_xor_b32 s6, exec_lo, s6
	s_cbranch_execz .LBB41_32
; %bb.31:                               ;   in Loop: Header=BB41_6 Depth=2
	v_add_co_u32 v39, s5, v24, s22
	s_delay_alu instid0(VALU_DEP_1)
	v_add_co_ci_u32_e64 v40, s5, s23, v25, s5
	global_load_b64 v[39:40], v[39:40], off offset:128
	s_waitcnt vmcnt(0)
	ds_store_b64 v32, v[39:40] offset:4224
.LBB41_32:                              ;   in Loop: Header=BB41_6 Depth=2
	s_and_not1_saveexec_b32 s5, s6
	s_cbranch_execz .LBB41_38
; %bb.33:                               ;   in Loop: Header=BB41_6 Depth=2
	s_and_saveexec_b32 s6, s33
	s_delay_alu instid0(SALU_CYCLE_1)
	s_xor_b32 s6, exec_lo, s6
	s_cbranch_execz .LBB41_35
; %bb.34:                               ;   in Loop: Header=BB41_6 Depth=2
	v_mov_b32_e32 v39, v12
	v_mov_b32_e32 v40, v12
	ds_store_b64 v32, v[39:40] offset:4224
.LBB41_35:                              ;   in Loop: Header=BB41_6 Depth=2
	s_and_not1_saveexec_b32 s6, s6
	s_cbranch_execz .LBB41_37
; %bb.36:                               ;   in Loop: Header=BB41_6 Depth=2
	ds_store_b64 v32, v[12:13] offset:4224
.LBB41_37:                              ;   in Loop: Header=BB41_6 Depth=2
	s_or_b32 exec_lo, exec_lo, s6
.LBB41_38:                              ;   in Loop: Header=BB41_6 Depth=2
	s_delay_alu instid0(SALU_CYCLE_1) | instskip(SKIP_1) | instid1(VALU_DEP_1)
	s_or_b32 exec_lo, exec_lo, s5
	v_cmp_gt_i64_e64 s6, s[12:13], v[22:23]
	s_and_b32 s5, vcc_lo, s6
	s_delay_alu instid0(SALU_CYCLE_1) | instskip(NEXT) | instid1(SALU_CYCLE_1)
	s_xor_b32 s5, s5, -1
	s_and_saveexec_b32 s7, s5
	s_delay_alu instid0(SALU_CYCLE_1)
	s_xor_b32 s5, exec_lo, s7
	s_cbranch_execz .LBB41_40
; %bb.39:                               ;   in Loop: Header=BB41_6 Depth=2
	v_mov_b32_e32 v39, v12
	v_mov_b32_e32 v40, v12
	ds_store_b64 v34, v[39:40]
.LBB41_40:                              ;   in Loop: Header=BB41_6 Depth=2
	s_and_not1_saveexec_b32 s5, s5
	s_cbranch_execz .LBB41_42
; %bb.41:                               ;   in Loop: Header=BB41_6 Depth=2
	global_load_b64 v[39:40], v[16:17], off
	s_waitcnt vmcnt(0)
	ds_store_b64 v34, v[39:40]
.LBB41_42:                              ;   in Loop: Header=BB41_6 Depth=2
	s_or_b32 exec_lo, exec_lo, s5
	v_cmp_gt_i64_e64 s5, s[18:19], v[22:23]
	s_delay_alu instid0(VALU_DEP_1) | instskip(NEXT) | instid1(SALU_CYCLE_1)
	s_and_b32 s7, vcc_lo, s5
	s_xor_b32 s7, s7, -1
	s_delay_alu instid0(SALU_CYCLE_1) | instskip(NEXT) | instid1(SALU_CYCLE_1)
	s_and_saveexec_b32 s8, s7
	s_xor_b32 s7, exec_lo, s8
	s_cbranch_execz .LBB41_44
; %bb.43:                               ;   in Loop: Header=BB41_6 Depth=2
	v_mov_b32_e32 v39, v12
	v_mov_b32_e32 v40, v12
	ds_store_b64 v34, v[39:40] offset:128
.LBB41_44:                              ;   in Loop: Header=BB41_6 Depth=2
	s_and_not1_saveexec_b32 s7, s7
	s_cbranch_execz .LBB41_46
; %bb.45:                               ;   in Loop: Header=BB41_6 Depth=2
	global_load_b64 v[39:40], v[16:17], off offset:128
	s_waitcnt vmcnt(0)
	ds_store_b64 v34, v[39:40] offset:128
.LBB41_46:                              ;   in Loop: Header=BB41_6 Depth=2
	s_or_b32 exec_lo, exec_lo, s7
	s_and_b32 s6, s4, s6
	s_delay_alu instid0(SALU_CYCLE_1) | instskip(NEXT) | instid1(SALU_CYCLE_1)
	s_xor_b32 s6, s6, -1
	s_and_saveexec_b32 s7, s6
	s_delay_alu instid0(SALU_CYCLE_1)
	s_xor_b32 s6, exec_lo, s7
	s_cbranch_execz .LBB41_48
; %bb.47:                               ;   in Loop: Header=BB41_6 Depth=2
	v_mov_b32_e32 v39, v12
	v_mov_b32_e32 v40, v12
	ds_store_b64 v34, v[39:40] offset:4096
.LBB41_48:                              ;   in Loop: Header=BB41_6 Depth=2
	s_and_not1_saveexec_b32 s7, s6
	s_cbranch_execz .LBB41_50
; %bb.49:                               ;   in Loop: Header=BB41_6 Depth=2
	s_lshl_b64 s[36:37], s[20:21], 3
	s_delay_alu instid0(SALU_CYCLE_1) | instskip(NEXT) | instid1(VALU_DEP_1)
	v_add_co_u32 v39, s6, v16, s36
	v_add_co_ci_u32_e64 v40, s6, s37, v17, s6
	global_load_b64 v[39:40], v[39:40], off
	s_waitcnt vmcnt(0)
	ds_store_b64 v34, v[39:40] offset:4096
.LBB41_50:                              ;   in Loop: Header=BB41_6 Depth=2
	s_or_b32 exec_lo, exec_lo, s7
	s_and_b32 s5, s4, s5
	s_delay_alu instid0(SALU_CYCLE_1) | instskip(NEXT) | instid1(SALU_CYCLE_1)
	s_xor_b32 s5, s5, -1
	s_and_saveexec_b32 s6, s5
	s_delay_alu instid0(SALU_CYCLE_1)
	s_xor_b32 s5, exec_lo, s6
	s_cbranch_execz .LBB41_52
; %bb.51:                               ;   in Loop: Header=BB41_6 Depth=2
	v_mov_b32_e32 v39, v12
	v_mov_b32_e32 v40, v12
	ds_store_b64 v34, v[39:40] offset:4224
.LBB41_52:                              ;   in Loop: Header=BB41_6 Depth=2
	s_and_not1_saveexec_b32 s6, s5
	s_cbranch_execz .LBB41_54
; %bb.53:                               ;   in Loop: Header=BB41_6 Depth=2
	s_lshl_b64 s[36:37], s[20:21], 3
	s_delay_alu instid0(SALU_CYCLE_1) | instskip(NEXT) | instid1(VALU_DEP_1)
	v_add_co_u32 v39, s5, v16, s36
	v_add_co_ci_u32_e64 v40, s5, s37, v17, s5
	global_load_b64 v[39:40], v[39:40], off offset:128
	s_waitcnt vmcnt(0)
	ds_store_b64 v34, v[39:40] offset:4224
.LBB41_54:                              ;   in Loop: Header=BB41_6 Depth=2
	s_or_b32 exec_lo, exec_lo, s6
	v_mov_b32_e32 v39, v31
	s_mov_b32 s5, 0
	s_waitcnt lgkmcnt(0)
	s_waitcnt_vscnt null, 0x0
	s_barrier
	buffer_gl0_inv
.LBB41_55:                              ;   Parent Loop BB41_4 Depth=1
                                        ;     Parent Loop BB41_6 Depth=2
                                        ; =>    This Inner Loop Header: Depth=3
	v_add_nc_u32_e32 v62, s5, v33
	s_add_i32 s5, s5, 64
	ds_load_2addr_b64 v[40:43], v39 offset1:16
	ds_load_b128 v[44:47], v62
	ds_load_b128 v[48:51], v62 offset:4096
	ds_load_b128 v[52:55], v62 offset:16
	;; [unrolled: 1-line block ×3, first 2 shown]
	s_cmpk_lg_i32 s5, 0x100
	s_waitcnt lgkmcnt(3)
	v_fma_f64 v[60:61], v[40:41], v[44:45], v[28:29]
	v_fma_f64 v[44:45], v[42:43], v[44:45], v[26:27]
	s_waitcnt lgkmcnt(2)
	v_fma_f64 v[18:19], v[40:41], v[48:49], v[18:19]
	v_fma_f64 v[14:15], v[42:43], v[48:49], v[14:15]
	ds_load_2addr_b64 v[26:29], v39 offset0:32 offset1:48
	s_waitcnt lgkmcnt(0)
	v_fma_f64 v[40:41], v[26:27], v[46:47], v[60:61]
	v_fma_f64 v[42:43], v[28:29], v[46:47], v[44:45]
	v_fma_f64 v[18:19], v[26:27], v[50:51], v[18:19]
	v_fma_f64 v[14:15], v[28:29], v[50:51], v[14:15]
	ds_load_2addr_b64 v[26:29], v39 offset0:64 offset1:80
	s_waitcnt lgkmcnt(0)
	v_fma_f64 v[40:41], v[26:27], v[52:53], v[40:41]
	v_fma_f64 v[42:43], v[28:29], v[52:53], v[42:43]
	v_fma_f64 v[18:19], v[26:27], v[56:57], v[18:19]
	v_fma_f64 v[14:15], v[28:29], v[56:57], v[14:15]
	ds_load_2addr_b64 v[26:29], v39 offset0:96 offset1:112
	s_waitcnt lgkmcnt(0)
	v_fma_f64 v[56:57], v[26:27], v[54:55], v[40:41]
	v_fma_f64 v[60:61], v[28:29], v[54:55], v[42:43]
	v_fma_f64 v[18:19], v[26:27], v[58:59], v[18:19]
	v_fma_f64 v[14:15], v[28:29], v[58:59], v[14:15]
	ds_load_2addr_b64 v[26:29], v39 offset0:128 offset1:144
	ds_load_b128 v[40:43], v62 offset:32
	ds_load_b128 v[44:47], v62 offset:4128
	;; [unrolled: 1-line block ×4, first 2 shown]
	s_waitcnt lgkmcnt(3)
	v_fma_f64 v[56:57], v[26:27], v[40:41], v[56:57]
	v_fma_f64 v[40:41], v[28:29], v[40:41], v[60:61]
	s_waitcnt lgkmcnt(2)
	v_fma_f64 v[18:19], v[26:27], v[44:45], v[18:19]
	v_fma_f64 v[14:15], v[28:29], v[44:45], v[14:15]
	ds_load_2addr_b64 v[26:29], v39 offset0:160 offset1:176
	s_waitcnt lgkmcnt(0)
	v_fma_f64 v[44:45], v[26:27], v[42:43], v[56:57]
	v_fma_f64 v[40:41], v[28:29], v[42:43], v[40:41]
	;; [unrolled: 1-line block ×4, first 2 shown]
	ds_load_2addr_b64 v[26:29], v39 offset0:192 offset1:208
	s_waitcnt lgkmcnt(0)
	v_fma_f64 v[44:45], v[26:27], v[48:49], v[44:45]
	v_fma_f64 v[46:47], v[28:29], v[48:49], v[40:41]
	;; [unrolled: 1-line block ×4, first 2 shown]
	ds_load_2addr_b64 v[40:43], v39 offset0:224 offset1:240
	v_add_nc_u32_e32 v39, 0x800, v39
	s_waitcnt lgkmcnt(0)
	v_fma_f64 v[28:29], v[40:41], v[50:51], v[44:45]
	v_fma_f64 v[26:27], v[42:43], v[50:51], v[46:47]
	v_fma_f64 v[18:19], v[40:41], v[54:55], v[18:19]
	v_fma_f64 v[14:15], v[42:43], v[54:55], v[14:15]
	s_cbranch_scc1 .LBB41_55
; %bb.56:                               ;   in Loop: Header=BB41_6 Depth=2
	v_add_co_u32 v24, s5, 0x100, v24
	s_delay_alu instid0(VALU_DEP_1) | instskip(SKIP_1) | instid1(VALU_DEP_1)
	v_add_co_ci_u32_e64 v25, s5, 0, v25, s5
	v_add_co_u32 v20, s5, v20, 32
	v_add_co_ci_u32_e64 v21, s5, 0, v21, s5
	v_add_co_u32 v16, s5, 0x100, v16
	s_delay_alu instid0(VALU_DEP_1) | instskip(SKIP_1) | instid1(VALU_DEP_1)
	v_add_co_ci_u32_e64 v17, s5, 0, v17, s5
	v_add_co_u32 v22, s5, v22, 32
	v_add_co_ci_u32_e64 v23, s5, 0, v23, s5
	s_add_i32 s9, s9, 32
	s_delay_alu instid0(SALU_CYCLE_1)
	s_cmp_ge_i32 s9, s26
	s_barrier
	buffer_gl0_inv
	s_cbranch_scc0 .LBB41_6
.LBB41_57:                              ;   in Loop: Header=BB41_4 Depth=1
	v_mul_lo_u32 v20, v38, s40
	v_mul_lo_u32 v21, v37, s41
	v_mad_u64_u32 v[16:17], null, v37, s40, 0
	v_cmp_gt_i32_e32 vcc_lo, s10, v37
	s_delay_alu instid0(VALU_DEP_2) | instskip(NEXT) | instid1(VALU_DEP_1)
	v_add3_u32 v17, v17, v21, v20
	v_lshlrev_b64 v[16:17], 3, v[16:17]
	s_delay_alu instid0(VALU_DEP_1) | instskip(NEXT) | instid1(VALU_DEP_1)
	v_add_co_u32 v16, s4, s24, v16
	v_add_co_ci_u32_e64 v17, s4, s25, v17, s4
	s_and_b32 s4, s2, vcc_lo
	s_delay_alu instid0(SALU_CYCLE_1)
	s_and_saveexec_b32 s5, s4
	s_cbranch_execz .LBB41_59
; %bb.58:                               ;   in Loop: Header=BB41_4 Depth=1
	v_add_co_u32 v20, s4, v16, v8
	s_delay_alu instid0(VALU_DEP_1)
	v_add_co_ci_u32_e64 v21, s4, v17, v9, s4
	global_load_b64 v[22:23], v[20:21], off
	s_waitcnt vmcnt(0)
	v_fma_f64 v[22:23], v[28:29], s[34:35], v[22:23]
	global_store_b64 v[20:21], v[22:23], off
.LBB41_59:                              ;   in Loop: Header=BB41_4 Depth=1
	s_or_b32 exec_lo, exec_lo, s5
	s_and_b32 s5, s3, vcc_lo
	s_delay_alu instid0(SALU_CYCLE_1)
	s_and_saveexec_b32 s4, s5
	s_cbranch_execz .LBB41_61
; %bb.60:                               ;   in Loop: Header=BB41_4 Depth=1
	v_lshlrev_b64 v[20:21], 3, v[4:5]
	s_delay_alu instid0(VALU_DEP_1) | instskip(NEXT) | instid1(VALU_DEP_2)
	v_add_co_u32 v16, vcc_lo, v16, v20
	v_add_co_ci_u32_e32 v17, vcc_lo, v17, v21, vcc_lo
	global_load_b64 v[20:21], v[16:17], off
	s_waitcnt vmcnt(0)
	v_fma_f64 v[20:21], v[26:27], s[34:35], v[20:21]
	global_store_b64 v[16:17], v[20:21], off
.LBB41_61:                              ;   in Loop: Header=BB41_4 Depth=1
	s_or_b32 exec_lo, exec_lo, s4
	v_add_nc_u32_e32 v20, 16, v37
	s_delay_alu instid0(VALU_DEP_1) | instskip(SKIP_3) | instid1(VALU_DEP_4)
	v_ashrrev_i32_e32 v21, 31, v20
	v_mul_lo_u32 v22, v20, s41
	v_mad_u64_u32 v[16:17], null, v20, s40, 0
	v_cmp_gt_i32_e32 vcc_lo, s10, v20
	v_mul_lo_u32 v21, v21, s40
	s_delay_alu instid0(VALU_DEP_1) | instskip(NEXT) | instid1(VALU_DEP_1)
	v_add3_u32 v17, v17, v22, v21
	v_lshlrev_b64 v[16:17], 3, v[16:17]
	s_delay_alu instid0(VALU_DEP_1) | instskip(NEXT) | instid1(VALU_DEP_1)
	v_add_co_u32 v16, s4, s24, v16
	v_add_co_ci_u32_e64 v17, s4, s25, v17, s4
	s_and_b32 s4, s2, vcc_lo
	s_delay_alu instid0(SALU_CYCLE_1)
	s_and_saveexec_b32 s5, s4
	s_cbranch_execnz .LBB41_63
; %bb.62:                               ;   in Loop: Header=BB41_4 Depth=1
	s_or_b32 exec_lo, exec_lo, s5
	s_and_b32 s5, s3, vcc_lo
	s_delay_alu instid0(SALU_CYCLE_1)
	s_and_saveexec_b32 s4, s5
	s_cbranch_execz .LBB41_3
	s_branch .LBB41_64
.LBB41_63:                              ;   in Loop: Header=BB41_4 Depth=1
	v_add_co_u32 v20, s4, v16, v8
	s_delay_alu instid0(VALU_DEP_1)
	v_add_co_ci_u32_e64 v21, s4, v17, v9, s4
	global_load_b64 v[22:23], v[20:21], off
	s_waitcnt vmcnt(0)
	v_fma_f64 v[18:19], v[18:19], s[34:35], v[22:23]
	global_store_b64 v[20:21], v[18:19], off
	s_or_b32 exec_lo, exec_lo, s5
	s_and_b32 s5, s3, vcc_lo
	s_delay_alu instid0(SALU_CYCLE_1)
	s_and_saveexec_b32 s4, s5
	s_cbranch_execz .LBB41_3
.LBB41_64:                              ;   in Loop: Header=BB41_4 Depth=1
	v_lshlrev_b64 v[18:19], 3, v[4:5]
	s_delay_alu instid0(VALU_DEP_1) | instskip(NEXT) | instid1(VALU_DEP_2)
	v_add_co_u32 v16, vcc_lo, v16, v18
	v_add_co_ci_u32_e32 v17, vcc_lo, v17, v19, vcc_lo
	global_load_b64 v[18:19], v[16:17], off
	s_waitcnt vmcnt(0)
	v_fma_f64 v[14:15], v[14:15], s[34:35], v[18:19]
	global_store_b64 v[16:17], v[14:15], off
	s_branch .LBB41_3
.LBB41_65:
	s_nop 0
	s_sendmsg sendmsg(MSG_DEALLOC_VGPRS)
	s_endpgm
	.section	.rodata,"a",@progbits
	.p2align	6, 0x0
	.amdhsa_kernel _ZL30rocblas_trmm_outofplace_kernelIdLi32ELi2ELb1ELb0ELb1ELb0EdKddEv17rocblas_diagonal_iiT6_lPT7_lllS4_lllPT8_llli
		.amdhsa_group_segment_fixed_size 16384
		.amdhsa_private_segment_fixed_size 0
		.amdhsa_kernarg_size 392
		.amdhsa_user_sgpr_count 13
		.amdhsa_user_sgpr_dispatch_ptr 0
		.amdhsa_user_sgpr_queue_ptr 0
		.amdhsa_user_sgpr_kernarg_segment_ptr 1
		.amdhsa_user_sgpr_dispatch_id 0
		.amdhsa_user_sgpr_private_segment_size 0
		.amdhsa_wavefront_size32 1
		.amdhsa_uses_dynamic_stack 0
		.amdhsa_enable_private_segment 0
		.amdhsa_system_sgpr_workgroup_id_x 1
		.amdhsa_system_sgpr_workgroup_id_y 1
		.amdhsa_system_sgpr_workgroup_id_z 1
		.amdhsa_system_sgpr_workgroup_info 0
		.amdhsa_system_vgpr_workitem_id 1
		.amdhsa_next_free_vgpr 63
		.amdhsa_next_free_sgpr 44
		.amdhsa_reserve_vcc 1
		.amdhsa_float_round_mode_32 0
		.amdhsa_float_round_mode_16_64 0
		.amdhsa_float_denorm_mode_32 3
		.amdhsa_float_denorm_mode_16_64 3
		.amdhsa_dx10_clamp 1
		.amdhsa_ieee_mode 1
		.amdhsa_fp16_overflow 0
		.amdhsa_workgroup_processor_mode 1
		.amdhsa_memory_ordered 1
		.amdhsa_forward_progress 0
		.amdhsa_shared_vgpr_count 0
		.amdhsa_exception_fp_ieee_invalid_op 0
		.amdhsa_exception_fp_denorm_src 0
		.amdhsa_exception_fp_ieee_div_zero 0
		.amdhsa_exception_fp_ieee_overflow 0
		.amdhsa_exception_fp_ieee_underflow 0
		.amdhsa_exception_fp_ieee_inexact 0
		.amdhsa_exception_int_div_zero 0
	.end_amdhsa_kernel
	.section	.text._ZL30rocblas_trmm_outofplace_kernelIdLi32ELi2ELb1ELb0ELb1ELb0EdKddEv17rocblas_diagonal_iiT6_lPT7_lllS4_lllPT8_llli,"axG",@progbits,_ZL30rocblas_trmm_outofplace_kernelIdLi32ELi2ELb1ELb0ELb1ELb0EdKddEv17rocblas_diagonal_iiT6_lPT7_lllS4_lllPT8_llli,comdat
.Lfunc_end41:
	.size	_ZL30rocblas_trmm_outofplace_kernelIdLi32ELi2ELb1ELb0ELb1ELb0EdKddEv17rocblas_diagonal_iiT6_lPT7_lllS4_lllPT8_llli, .Lfunc_end41-_ZL30rocblas_trmm_outofplace_kernelIdLi32ELi2ELb1ELb0ELb1ELb0EdKddEv17rocblas_diagonal_iiT6_lPT7_lllS4_lllPT8_llli
                                        ; -- End function
	.section	.AMDGPU.csdata,"",@progbits
; Kernel info:
; codeLenInByte = 2852
; NumSgprs: 46
; NumVgprs: 63
; ScratchSize: 0
; MemoryBound: 1
; FloatMode: 240
; IeeeMode: 1
; LDSByteSize: 16384 bytes/workgroup (compile time only)
; SGPRBlocks: 5
; VGPRBlocks: 7
; NumSGPRsForWavesPerEU: 46
; NumVGPRsForWavesPerEU: 63
; Occupancy: 16
; WaveLimiterHint : 0
; COMPUTE_PGM_RSRC2:SCRATCH_EN: 0
; COMPUTE_PGM_RSRC2:USER_SGPR: 13
; COMPUTE_PGM_RSRC2:TRAP_HANDLER: 0
; COMPUTE_PGM_RSRC2:TGID_X_EN: 1
; COMPUTE_PGM_RSRC2:TGID_Y_EN: 1
; COMPUTE_PGM_RSRC2:TGID_Z_EN: 1
; COMPUTE_PGM_RSRC2:TIDIG_COMP_CNT: 1
	.section	.text._ZL30rocblas_trmm_outofplace_kernelIdLi32ELi2ELb1ELb1ELb1ELb0EPKdS0_dEv17rocblas_diagonal_iiT6_lPT7_lllS5_lllPT8_llli,"axG",@progbits,_ZL30rocblas_trmm_outofplace_kernelIdLi32ELi2ELb1ELb1ELb1ELb0EPKdS0_dEv17rocblas_diagonal_iiT6_lPT7_lllS5_lllPT8_llli,comdat
	.globl	_ZL30rocblas_trmm_outofplace_kernelIdLi32ELi2ELb1ELb1ELb1ELb0EPKdS0_dEv17rocblas_diagonal_iiT6_lPT7_lllS5_lllPT8_llli ; -- Begin function _ZL30rocblas_trmm_outofplace_kernelIdLi32ELi2ELb1ELb1ELb1ELb0EPKdS0_dEv17rocblas_diagonal_iiT6_lPT7_lllS5_lllPT8_llli
	.p2align	8
	.type	_ZL30rocblas_trmm_outofplace_kernelIdLi32ELi2ELb1ELb1ELb1ELb0EPKdS0_dEv17rocblas_diagonal_iiT6_lPT7_lllS5_lllPT8_llli,@function
_ZL30rocblas_trmm_outofplace_kernelIdLi32ELi2ELb1ELb1ELb1ELb0EPKdS0_dEv17rocblas_diagonal_iiT6_lPT7_lllS5_lllPT8_llli: ; @_ZL30rocblas_trmm_outofplace_kernelIdLi32ELi2ELb1ELb1ELb1ELb0EPKdS0_dEv17rocblas_diagonal_iiT6_lPT7_lllS5_lllPT8_llli
; %bb.0:
	s_load_b512 s[16:31], s[0:1], 0x10
	s_waitcnt lgkmcnt(0)
	s_mul_i32 s2, s15, s19
	s_mul_hi_u32 s3, s15, s18
	s_delay_alu instid0(SALU_CYCLE_1) | instskip(SKIP_1) | instid1(SALU_CYCLE_1)
	s_add_i32 s3, s3, s2
	s_mul_i32 s2, s15, s18
	s_lshl_b64 s[2:3], s[2:3], 3
	s_delay_alu instid0(SALU_CYCLE_1) | instskip(SKIP_4) | instid1(VALU_DEP_1)
	s_add_u32 s2, s16, s2
	s_addc_u32 s3, s17, s3
	s_load_b64 s[34:35], s[2:3], 0x0
	s_waitcnt lgkmcnt(0)
	v_cmp_eq_f64_e64 s2, s[34:35], 0
	s_and_b32 vcc_lo, exec_lo, s2
	s_cbranch_vccnz .LBB42_66
; %bb.1:
	s_load_b128 s[8:11], s[0:1], 0x0
	s_waitcnt lgkmcnt(0)
	s_add_i32 s2, s10, -1
	s_delay_alu instid0(SALU_CYCLE_1) | instskip(NEXT) | instid1(SALU_CYCLE_1)
	s_ashr_i32 s3, s2, 31
	s_lshr_b32 s3, s3, 27
	s_delay_alu instid0(SALU_CYCLE_1) | instskip(NEXT) | instid1(SALU_CYCLE_1)
	s_add_i32 s2, s2, s3
	s_ashr_i32 s11, s2, 5
	s_delay_alu instid0(SALU_CYCLE_1)
	s_cmp_gt_i32 s14, s11
	s_cbranch_scc1 .LBB42_66
; %bb.2:
	s_clause 0x1
	s_load_b256 s[36:43], s[0:1], 0x50
	s_load_b128 s[16:19], s[0:1], 0x70
	s_mul_i32 s3, s15, s27
	s_mul_hi_u32 s4, s15, s26
	s_mul_i32 s2, s15, s26
	s_add_i32 s3, s4, s3
	s_load_b32 s26, s[0:1], 0x8c
	s_lshl_b64 s[2:3], s[2:3], 3
	v_mov_b32_e32 v7, 0
	s_add_u32 s4, s20, s2
	s_addc_u32 s5, s21, s3
	s_lshl_b64 s[2:3], s[22:23], 3
	s_delay_alu instid0(VALU_DEP_1) | instskip(SKIP_3) | instid1(VALU_DEP_2)
	v_dual_mov_b32 v6, v7 :: v_dual_and_b32 v1, 0x3ff, v0
	s_add_u32 s4, s4, s2
	s_addc_u32 s5, s5, s3
	v_bfe_u32 v5, v0, 10, 10
	v_lshlrev_b32_e32 v0, 3, v1
	v_mov_b32_e32 v2, v7
	s_waitcnt lgkmcnt(0)
	s_mul_i32 s1, s15, s39
	s_mul_hi_u32 s2, s15, s38
	s_mul_i32 s0, s15, s38
	s_add_i32 s1, s2, s1
	s_mul_i32 s3, s15, s19
	s_lshl_b64 s[0:1], s[0:1], 3
	s_mul_hi_u32 s6, s15, s18
	s_add_u32 s7, s28, s0
	s_addc_u32 s12, s29, s1
	s_lshl_b64 s[0:1], s[30:31], 3
	s_mul_i32 s2, s15, s18
	s_add_u32 s7, s7, s0
	s_addc_u32 s18, s12, s1
	s_add_i32 s3, s6, s3
	v_lshlrev_b32_e32 v13, 8, v5
	s_lshl_b64 s[0:1], s[2:3], 3
	v_lshlrev_b32_e32 v12, 3, v5
	s_add_u32 s2, s40, s0
	s_addc_u32 s3, s41, s1
	s_lshl_b64 s[0:1], s[42:43], 3
	s_mov_b32 s12, s9
	s_add_u32 s15, s2, s0
	s_addc_u32 s27, s3, s1
	s_lshl_b32 s28, s13, 5
	s_cmp_gt_i32 s13, -1
	v_add_nc_u32_e32 v3, s28, v1
	s_cselect_b32 s29, -1, 0
	s_cmpk_eq_i32 s8, 0x84
	v_add_co_u32 v32, s0, s7, v0
	s_delay_alu instid0(VALU_DEP_2) | instskip(SKIP_3) | instid1(VALU_DEP_3)
	v_ashrrev_i32_e32 v4, 31, v3
	v_mul_lo_u32 v10, v3, s25
	v_mad_u64_u32 v[8:9], null, v3, s24, 0
	s_cselect_b32 s30, -1, 0
	v_mul_lo_u32 v11, v4, s24
	s_ashr_i32 s13, s9, 31
	v_add_co_ci_u32_e64 v33, null, s18, 0, s0
	v_cmp_le_i32_e64 s0, s9, v3
	v_cmp_gt_i32_e64 s2, s9, v3
	s_ashr_i32 s31, s10, 31
	s_lshl_b64 s[18:19], s[24:25], 7
	s_delay_alu instid0(VALU_DEP_4) | instskip(NEXT) | instid1(VALU_DEP_1)
	v_add3_u32 v9, v9, v10, v11
	v_lshlrev_b64 v[8:9], 3, v[8:9]
	s_delay_alu instid0(VALU_DEP_1) | instskip(NEXT) | instid1(VALU_DEP_2)
	v_add_co_u32 v8, vcc_lo, s4, v8
	v_add_co_ci_u32_e32 v14, vcc_lo, s5, v9, vcc_lo
	v_add_co_u32 v9, vcc_lo, v3, 16
	v_add_co_ci_u32_e32 v10, vcc_lo, 0, v4, vcc_lo
	s_delay_alu instid0(VALU_DEP_4)
	v_add_co_u32 v11, vcc_lo, v8, v12
	v_dual_mov_b32 v8, 0x3ff00000 :: v_dual_add_nc_u32 v31, v13, v0
	v_add_nc_u32_e32 v34, 0x2000, v13
	v_add_nc_u32_e32 v13, 16, v3
	v_cmp_le_i64_e64 s1, s[12:13], v[9:10]
	v_add_co_ci_u32_e32 v12, vcc_lo, 0, v14, vcc_lo
	s_delay_alu instid0(VALU_DEP_4) | instskip(NEXT) | instid1(VALU_DEP_4)
	v_add_nc_u32_e32 v35, v34, v0
	v_cmp_gt_i32_e64 s3, s9, v13
	v_ashrrev_i32_e32 v14, 31, v13
	s_lshl_b64 s[4:5], s[24:25], 4
	s_add_u32 s20, s9, -16
	s_addc_u32 s21, s13, -1
	s_lshl_b64 s[22:23], s[36:37], 4
	s_lshl_b64 s[24:25], s[4:5], 3
	s_branch .LBB42_4
.LBB42_3:                               ;   in Loop: Header=BB42_4 Depth=1
	s_or_b32 exec_lo, exec_lo, s4
	s_add_i32 s14, s26, s14
	s_delay_alu instid0(SALU_CYCLE_1)
	s_cmp_le_i32 s14, s11
	s_cbranch_scc0 .LBB42_66
.LBB42_4:                               ; =>This Loop Header: Depth=1
                                        ;     Child Loop BB42_6 Depth 2
                                        ;       Child Loop BB42_55 Depth 3
	v_mov_b32_e32 v29, 0
	v_mov_b32_e32 v30, 0
	v_lshl_add_u32 v36, s14, 5, v5
	s_delay_alu instid0(VALU_DEP_3) | instskip(SKIP_1) | instid1(VALU_DEP_4)
	v_mov_b32_e32 v27, v29
	v_mov_b32_e32 v17, v29
	v_dual_mov_b32 v15, v29 :: v_dual_mov_b32 v16, v30
	s_delay_alu instid0(VALU_DEP_4)
	v_ashrrev_i32_e32 v37, 31, v36
	v_mov_b32_e32 v28, v30
	v_mov_b32_e32 v18, v30
	s_and_not1_b32 vcc_lo, exec_lo, s29
	s_cbranch_vccnz .LBB42_58
; %bb.5:                                ;   in Loop: Header=BB42_4 Depth=1
	v_mul_lo_u32 v15, v37, s36
	v_mul_lo_u32 v16, v36, s37
	v_mad_u64_u32 v[17:18], null, v36, s36, 0
	v_sub_co_u32 v19, vcc_lo, s10, v36
	v_sub_co_ci_u32_e32 v20, vcc_lo, s31, v37, vcc_lo
	v_dual_mov_b32 v24, v2 :: v_dual_mov_b32 v23, v1
	s_delay_alu instid0(VALU_DEP_4)
	v_add3_u32 v18, v18, v16, v15
	v_mov_b32_e32 v15, 0
	v_mov_b32_e32 v16, 0
	v_cmp_lt_i64_e32 vcc_lo, 0, v[19:20]
	v_cmp_lt_i64_e64 s4, 16, v[19:20]
	v_lshlrev_b64 v[21:22], 3, v[17:18]
	v_dual_mov_b32 v26, v12 :: v_dual_mov_b32 v25, v11
	s_mov_b32 s9, 0
	s_delay_alu instid0(VALU_DEP_2) | instskip(NEXT) | instid1(VALU_DEP_1)
	v_add_co_u32 v19, s5, v32, v21
	v_add_co_ci_u32_e64 v20, s5, v33, v22, s5
	v_dual_mov_b32 v22, v6 :: v_dual_mov_b32 v21, v5
	v_dual_mov_b32 v18, v16 :: v_dual_mov_b32 v17, v15
	;; [unrolled: 1-line block ×4, first 2 shown]
.LBB42_6:                               ;   Parent Loop BB42_4 Depth=1
                                        ; =>  This Loop Header: Depth=2
                                        ;       Child Loop BB42_55 Depth 3
	s_delay_alu instid0(VALU_DEP_4) | instskip(SKIP_2) | instid1(VALU_DEP_2)
	v_cmp_le_i64_e64 s6, s[12:13], v[21:22]
	v_cmp_eq_u64_e64 s7, v[21:22], v[3:4]
	v_cmp_gt_i64_e64 s5, v[21:22], v[3:4]
	s_and_b32 s38, s30, s7
	s_delay_alu instid0(VALU_DEP_1) | instskip(NEXT) | instid1(SALU_CYCLE_1)
	s_or_b32 s7, s6, s5
	s_or_b32 s7, s7, s38
	s_delay_alu instid0(SALU_CYCLE_1) | instskip(NEXT) | instid1(SALU_CYCLE_1)
	s_or_b32 s7, s0, s7
	s_xor_b32 s7, s7, -1
	s_delay_alu instid0(SALU_CYCLE_1) | instskip(NEXT) | instid1(SALU_CYCLE_1)
	s_and_saveexec_b32 s8, s7
	s_xor_b32 s7, exec_lo, s8
	s_cbranch_execz .LBB42_8
; %bb.7:                                ;   in Loop: Header=BB42_6 Depth=2
	global_load_b64 v[38:39], v[25:26], off
	s_waitcnt vmcnt(0)
	ds_store_b64 v31, v[38:39]
.LBB42_8:                               ;   in Loop: Header=BB42_6 Depth=2
	s_or_saveexec_b32 s7, s7
	s_xor_b32 s33, s38, -1
	s_xor_b32 exec_lo, exec_lo, s7
	s_cbranch_execz .LBB42_14
; %bb.9:                                ;   in Loop: Header=BB42_6 Depth=2
	s_and_saveexec_b32 s8, s33
	s_delay_alu instid0(SALU_CYCLE_1)
	s_xor_b32 s8, exec_lo, s8
	s_cbranch_execz .LBB42_11
; %bb.10:                               ;   in Loop: Header=BB42_6 Depth=2
	v_mov_b32_e32 v38, v7
	v_mov_b32_e32 v39, v7
	ds_store_b64 v31, v[38:39]
.LBB42_11:                              ;   in Loop: Header=BB42_6 Depth=2
	s_and_not1_saveexec_b32 s8, s8
	s_cbranch_execz .LBB42_13
; %bb.12:                               ;   in Loop: Header=BB42_6 Depth=2
	ds_store_b64 v31, v[7:8]
.LBB42_13:                              ;   in Loop: Header=BB42_6 Depth=2
	s_or_b32 exec_lo, exec_lo, s8
.LBB42_14:                              ;   in Loop: Header=BB42_6 Depth=2
	s_delay_alu instid0(SALU_CYCLE_1) | instskip(SKIP_2) | instid1(VALU_DEP_2)
	s_or_b32 exec_lo, exec_lo, s7
	v_cmp_eq_u64_e64 s7, v[9:10], v[21:22]
	v_cmp_lt_i64_e64 s8, v[9:10], v[21:22]
	s_and_b32 s7, s30, s7
	s_delay_alu instid0(VALU_DEP_1) | instskip(NEXT) | instid1(SALU_CYCLE_1)
	s_or_b32 s6, s6, s8
	s_or_b32 s6, s6, s7
	s_delay_alu instid0(SALU_CYCLE_1) | instskip(NEXT) | instid1(SALU_CYCLE_1)
	s_or_b32 s6, s1, s6
	s_xor_b32 s6, s6, -1
	s_delay_alu instid0(SALU_CYCLE_1) | instskip(NEXT) | instid1(SALU_CYCLE_1)
	s_and_saveexec_b32 s8, s6
	s_xor_b32 s8, exec_lo, s8
	s_cbranch_execz .LBB42_16
; %bb.15:                               ;   in Loop: Header=BB42_6 Depth=2
	v_add_co_u32 v38, s6, v25, s18
	s_delay_alu instid0(VALU_DEP_1)
	v_add_co_ci_u32_e64 v39, s6, s19, v26, s6
	global_load_b64 v[38:39], v[38:39], off
	s_waitcnt vmcnt(0)
	ds_store_b64 v31, v[38:39] offset:128
.LBB42_16:                              ;   in Loop: Header=BB42_6 Depth=2
	s_and_not1_saveexec_b32 s6, s8
	s_cbranch_execz .LBB42_22
; %bb.17:                               ;   in Loop: Header=BB42_6 Depth=2
	s_xor_b32 s7, s7, -1
	s_delay_alu instid0(SALU_CYCLE_1) | instskip(NEXT) | instid1(SALU_CYCLE_1)
	s_and_saveexec_b32 s8, s7
	s_xor_b32 s7, exec_lo, s8
	s_cbranch_execz .LBB42_19
; %bb.18:                               ;   in Loop: Header=BB42_6 Depth=2
	v_mov_b32_e32 v38, v7
	v_mov_b32_e32 v39, v7
	ds_store_b64 v31, v[38:39] offset:128
.LBB42_19:                              ;   in Loop: Header=BB42_6 Depth=2
	s_and_not1_saveexec_b32 s7, s7
	s_cbranch_execz .LBB42_21
; %bb.20:                               ;   in Loop: Header=BB42_6 Depth=2
	ds_store_b64 v31, v[7:8] offset:128
.LBB42_21:                              ;   in Loop: Header=BB42_6 Depth=2
	s_or_b32 exec_lo, exec_lo, s7
.LBB42_22:                              ;   in Loop: Header=BB42_6 Depth=2
	s_delay_alu instid0(SALU_CYCLE_1) | instskip(SKIP_1) | instid1(VALU_DEP_1)
	s_or_b32 exec_lo, exec_lo, s6
	v_add_co_u32 v38, s6, v21, 16
	v_add_co_ci_u32_e64 v39, s6, 0, v22, s6
	s_delay_alu instid0(VALU_DEP_1) | instskip(SKIP_2) | instid1(VALU_DEP_2)
	v_cmp_le_i64_e64 s6, s[12:13], v[38:39]
	v_cmp_eq_u64_e64 s7, v[38:39], v[3:4]
	v_cmp_gt_i64_e64 s8, v[38:39], v[3:4]
	s_and_b32 s39, s30, s7
	s_delay_alu instid0(VALU_DEP_1) | instskip(NEXT) | instid1(SALU_CYCLE_1)
	s_or_b32 s7, s6, s8
	s_or_b32 s7, s7, s39
	s_delay_alu instid0(SALU_CYCLE_1) | instskip(NEXT) | instid1(SALU_CYCLE_1)
	s_or_b32 s7, s0, s7
	s_xor_b32 s7, s7, -1
	s_delay_alu instid0(SALU_CYCLE_1) | instskip(NEXT) | instid1(SALU_CYCLE_1)
	s_and_saveexec_b32 s8, s7
	s_xor_b32 s7, exec_lo, s8
	s_cbranch_execz .LBB42_24
; %bb.23:                               ;   in Loop: Header=BB42_6 Depth=2
	global_load_b64 v[38:39], v[25:26], off offset:128
	s_waitcnt vmcnt(0)
	ds_store_b64 v31, v[38:39] offset:4096
.LBB42_24:                              ;   in Loop: Header=BB42_6 Depth=2
	s_and_not1_saveexec_b32 s7, s7
	s_cbranch_execz .LBB42_30
; %bb.25:                               ;   in Loop: Header=BB42_6 Depth=2
	s_xor_b32 s8, s39, -1
	s_delay_alu instid0(SALU_CYCLE_1) | instskip(NEXT) | instid1(SALU_CYCLE_1)
	s_and_saveexec_b32 s39, s8
	s_xor_b32 s8, exec_lo, s39
	s_cbranch_execz .LBB42_27
; %bb.26:                               ;   in Loop: Header=BB42_6 Depth=2
	v_mov_b32_e32 v38, v7
	v_mov_b32_e32 v39, v7
	ds_store_b64 v31, v[38:39] offset:4096
.LBB42_27:                              ;   in Loop: Header=BB42_6 Depth=2
	s_and_not1_saveexec_b32 s8, s8
	s_cbranch_execz .LBB42_29
; %bb.28:                               ;   in Loop: Header=BB42_6 Depth=2
	ds_store_b64 v31, v[7:8] offset:4096
.LBB42_29:                              ;   in Loop: Header=BB42_6 Depth=2
	s_or_b32 exec_lo, exec_lo, s8
.LBB42_30:                              ;   in Loop: Header=BB42_6 Depth=2
	s_delay_alu instid0(SALU_CYCLE_1) | instskip(SKIP_1) | instid1(SALU_CYCLE_1)
	s_or_b32 exec_lo, exec_lo, s7
	s_or_b32 s5, s6, s5
	s_or_b32 s5, s5, s38
	s_delay_alu instid0(SALU_CYCLE_1) | instskip(NEXT) | instid1(SALU_CYCLE_1)
	s_or_b32 s5, s1, s5
	s_xor_b32 s5, s5, -1
	s_delay_alu instid0(SALU_CYCLE_1) | instskip(NEXT) | instid1(SALU_CYCLE_1)
	s_and_saveexec_b32 s6, s5
	s_xor_b32 s6, exec_lo, s6
	s_cbranch_execz .LBB42_32
; %bb.31:                               ;   in Loop: Header=BB42_6 Depth=2
	v_add_co_u32 v38, s5, v25, s24
	s_delay_alu instid0(VALU_DEP_1)
	v_add_co_ci_u32_e64 v39, s5, s25, v26, s5
	global_load_b64 v[38:39], v[38:39], off offset:128
	s_waitcnt vmcnt(0)
	ds_store_b64 v31, v[38:39] offset:4224
.LBB42_32:                              ;   in Loop: Header=BB42_6 Depth=2
	s_and_not1_saveexec_b32 s5, s6
	s_cbranch_execz .LBB42_38
; %bb.33:                               ;   in Loop: Header=BB42_6 Depth=2
	s_and_saveexec_b32 s6, s33
	s_delay_alu instid0(SALU_CYCLE_1)
	s_xor_b32 s6, exec_lo, s6
	s_cbranch_execz .LBB42_35
; %bb.34:                               ;   in Loop: Header=BB42_6 Depth=2
	v_mov_b32_e32 v38, v7
	v_mov_b32_e32 v39, v7
	ds_store_b64 v31, v[38:39] offset:4224
.LBB42_35:                              ;   in Loop: Header=BB42_6 Depth=2
	s_and_not1_saveexec_b32 s6, s6
	s_cbranch_execz .LBB42_37
; %bb.36:                               ;   in Loop: Header=BB42_6 Depth=2
	ds_store_b64 v31, v[7:8] offset:4224
.LBB42_37:                              ;   in Loop: Header=BB42_6 Depth=2
	s_or_b32 exec_lo, exec_lo, s6
.LBB42_38:                              ;   in Loop: Header=BB42_6 Depth=2
	s_delay_alu instid0(SALU_CYCLE_1) | instskip(SKIP_1) | instid1(VALU_DEP_1)
	s_or_b32 exec_lo, exec_lo, s5
	v_cmp_gt_i64_e64 s6, s[12:13], v[23:24]
	s_and_b32 s5, vcc_lo, s6
	s_delay_alu instid0(SALU_CYCLE_1) | instskip(NEXT) | instid1(SALU_CYCLE_1)
	s_xor_b32 s5, s5, -1
	s_and_saveexec_b32 s7, s5
	s_delay_alu instid0(SALU_CYCLE_1)
	s_xor_b32 s5, exec_lo, s7
	s_cbranch_execz .LBB42_40
; %bb.39:                               ;   in Loop: Header=BB42_6 Depth=2
	v_mov_b32_e32 v38, v7
	v_mov_b32_e32 v39, v7
	ds_store_b64 v35, v[38:39]
.LBB42_40:                              ;   in Loop: Header=BB42_6 Depth=2
	s_and_not1_saveexec_b32 s5, s5
	s_cbranch_execz .LBB42_42
; %bb.41:                               ;   in Loop: Header=BB42_6 Depth=2
	global_load_b64 v[38:39], v[19:20], off
	s_waitcnt vmcnt(0)
	ds_store_b64 v35, v[38:39]
.LBB42_42:                              ;   in Loop: Header=BB42_6 Depth=2
	s_or_b32 exec_lo, exec_lo, s5
	v_cmp_gt_i64_e64 s5, s[20:21], v[23:24]
	s_delay_alu instid0(VALU_DEP_1) | instskip(NEXT) | instid1(SALU_CYCLE_1)
	s_and_b32 s7, vcc_lo, s5
	s_xor_b32 s7, s7, -1
	s_delay_alu instid0(SALU_CYCLE_1) | instskip(NEXT) | instid1(SALU_CYCLE_1)
	s_and_saveexec_b32 s8, s7
	s_xor_b32 s7, exec_lo, s8
	s_cbranch_execz .LBB42_44
; %bb.43:                               ;   in Loop: Header=BB42_6 Depth=2
	v_mov_b32_e32 v38, v7
	v_mov_b32_e32 v39, v7
	ds_store_b64 v35, v[38:39] offset:128
.LBB42_44:                              ;   in Loop: Header=BB42_6 Depth=2
	s_and_not1_saveexec_b32 s7, s7
	s_cbranch_execz .LBB42_46
; %bb.45:                               ;   in Loop: Header=BB42_6 Depth=2
	global_load_b64 v[38:39], v[19:20], off offset:128
	s_waitcnt vmcnt(0)
	ds_store_b64 v35, v[38:39] offset:128
.LBB42_46:                              ;   in Loop: Header=BB42_6 Depth=2
	s_or_b32 exec_lo, exec_lo, s7
	s_and_b32 s6, s4, s6
	s_delay_alu instid0(SALU_CYCLE_1) | instskip(NEXT) | instid1(SALU_CYCLE_1)
	s_xor_b32 s6, s6, -1
	s_and_saveexec_b32 s7, s6
	s_delay_alu instid0(SALU_CYCLE_1)
	s_xor_b32 s6, exec_lo, s7
	s_cbranch_execz .LBB42_48
; %bb.47:                               ;   in Loop: Header=BB42_6 Depth=2
	v_mov_b32_e32 v38, v7
	v_mov_b32_e32 v39, v7
	ds_store_b64 v35, v[38:39] offset:4096
.LBB42_48:                              ;   in Loop: Header=BB42_6 Depth=2
	s_and_not1_saveexec_b32 s7, s6
	s_cbranch_execz .LBB42_50
; %bb.49:                               ;   in Loop: Header=BB42_6 Depth=2
	s_lshl_b64 s[38:39], s[22:23], 3
	s_delay_alu instid0(SALU_CYCLE_1) | instskip(NEXT) | instid1(VALU_DEP_1)
	v_add_co_u32 v38, s6, v19, s38
	v_add_co_ci_u32_e64 v39, s6, s39, v20, s6
	global_load_b64 v[38:39], v[38:39], off
	s_waitcnt vmcnt(0)
	ds_store_b64 v35, v[38:39] offset:4096
.LBB42_50:                              ;   in Loop: Header=BB42_6 Depth=2
	s_or_b32 exec_lo, exec_lo, s7
	s_and_b32 s5, s4, s5
	s_delay_alu instid0(SALU_CYCLE_1) | instskip(NEXT) | instid1(SALU_CYCLE_1)
	s_xor_b32 s5, s5, -1
	s_and_saveexec_b32 s6, s5
	s_delay_alu instid0(SALU_CYCLE_1)
	s_xor_b32 s5, exec_lo, s6
	s_cbranch_execz .LBB42_52
; %bb.51:                               ;   in Loop: Header=BB42_6 Depth=2
	v_mov_b32_e32 v38, v7
	v_mov_b32_e32 v39, v7
	ds_store_b64 v35, v[38:39] offset:4224
.LBB42_52:                              ;   in Loop: Header=BB42_6 Depth=2
	s_and_not1_saveexec_b32 s6, s5
	s_cbranch_execz .LBB42_54
; %bb.53:                               ;   in Loop: Header=BB42_6 Depth=2
	s_lshl_b64 s[38:39], s[22:23], 3
	s_delay_alu instid0(SALU_CYCLE_1) | instskip(NEXT) | instid1(VALU_DEP_1)
	v_add_co_u32 v38, s5, v19, s38
	v_add_co_ci_u32_e64 v39, s5, s39, v20, s5
	global_load_b64 v[38:39], v[38:39], off offset:128
	s_waitcnt vmcnt(0)
	ds_store_b64 v35, v[38:39] offset:4224
.LBB42_54:                              ;   in Loop: Header=BB42_6 Depth=2
	s_or_b32 exec_lo, exec_lo, s6
	v_mov_b32_e32 v38, v0
	s_mov_b32 s5, 0
	s_waitcnt lgkmcnt(0)
	s_waitcnt_vscnt null, 0x0
	s_barrier
	buffer_gl0_inv
.LBB42_55:                              ;   Parent Loop BB42_4 Depth=1
                                        ;     Parent Loop BB42_6 Depth=2
                                        ; =>    This Inner Loop Header: Depth=3
	v_add_nc_u32_e32 v59, s5, v34
	s_add_i32 s5, s5, 64
	ds_load_2addr_b64 v[39:42], v38 offset1:16
	ds_load_b128 v[43:46], v59
	ds_load_b128 v[47:50], v59 offset:4096
	ds_load_b128 v[51:54], v59 offset:16
	;; [unrolled: 1-line block ×3, first 2 shown]
	s_cmpk_lg_i32 s5, 0x100
	s_waitcnt lgkmcnt(3)
	v_fma_f64 v[29:30], v[39:40], v[43:44], v[29:30]
	v_fma_f64 v[27:28], v[41:42], v[43:44], v[27:28]
	s_waitcnt lgkmcnt(2)
	v_fma_f64 v[39:40], v[39:40], v[47:48], v[17:18]
	v_fma_f64 v[41:42], v[41:42], v[47:48], v[15:16]
	ds_load_2addr_b64 v[15:18], v38 offset0:32 offset1:48
	s_waitcnt lgkmcnt(0)
	v_fma_f64 v[29:30], v[15:16], v[45:46], v[29:30]
	v_fma_f64 v[27:28], v[17:18], v[45:46], v[27:28]
	v_fma_f64 v[39:40], v[15:16], v[49:50], v[39:40]
	v_fma_f64 v[41:42], v[17:18], v[49:50], v[41:42]
	ds_load_2addr_b64 v[15:18], v38 offset0:64 offset1:80
	s_waitcnt lgkmcnt(0)
	v_fma_f64 v[29:30], v[15:16], v[51:52], v[29:30]
	v_fma_f64 v[27:28], v[17:18], v[51:52], v[27:28]
	;; [unrolled: 6-line block ×3, first 2 shown]
	v_fma_f64 v[55:56], v[15:16], v[57:58], v[39:40]
	v_fma_f64 v[57:58], v[17:18], v[57:58], v[41:42]
	ds_load_2addr_b64 v[15:18], v38 offset0:128 offset1:144
	ds_load_b128 v[27:30], v59 offset:32
	ds_load_b128 v[39:42], v59 offset:4128
	;; [unrolled: 1-line block ×4, first 2 shown]
	s_waitcnt lgkmcnt(3)
	v_fma_f64 v[51:52], v[15:16], v[27:28], v[51:52]
	v_fma_f64 v[27:28], v[17:18], v[27:28], v[53:54]
	s_waitcnt lgkmcnt(2)
	v_fma_f64 v[53:54], v[15:16], v[39:40], v[55:56]
	v_fma_f64 v[39:40], v[17:18], v[39:40], v[57:58]
	ds_load_2addr_b64 v[15:18], v38 offset0:160 offset1:176
	s_waitcnt lgkmcnt(0)
	v_fma_f64 v[51:52], v[15:16], v[29:30], v[51:52]
	v_fma_f64 v[27:28], v[17:18], v[29:30], v[27:28]
	;; [unrolled: 1-line block ×4, first 2 shown]
	ds_load_2addr_b64 v[15:18], v38 offset0:192 offset1:208
	s_waitcnt lgkmcnt(0)
	v_fma_f64 v[51:52], v[15:16], v[43:44], v[51:52]
	v_fma_f64 v[27:28], v[17:18], v[43:44], v[27:28]
	;; [unrolled: 1-line block ×4, first 2 shown]
	ds_load_2addr_b64 v[39:42], v38 offset0:224 offset1:240
	v_add_nc_u32_e32 v38, 0x800, v38
	s_waitcnt lgkmcnt(0)
	v_fma_f64 v[29:30], v[39:40], v[45:46], v[51:52]
	v_fma_f64 v[27:28], v[41:42], v[45:46], v[27:28]
	v_fma_f64 v[17:18], v[39:40], v[49:50], v[15:16]
	v_fma_f64 v[15:16], v[41:42], v[49:50], v[43:44]
	s_cbranch_scc1 .LBB42_55
; %bb.56:                               ;   in Loop: Header=BB42_6 Depth=2
	v_add_co_u32 v25, s5, 0x100, v25
	s_delay_alu instid0(VALU_DEP_1) | instskip(SKIP_1) | instid1(VALU_DEP_1)
	v_add_co_ci_u32_e64 v26, s5, 0, v26, s5
	v_add_co_u32 v21, s5, v21, 32
	v_add_co_ci_u32_e64 v22, s5, 0, v22, s5
	v_add_co_u32 v19, s5, 0x100, v19
	s_delay_alu instid0(VALU_DEP_1) | instskip(SKIP_1) | instid1(VALU_DEP_1)
	v_add_co_ci_u32_e64 v20, s5, 0, v20, s5
	v_add_co_u32 v23, s5, v23, 32
	v_add_co_ci_u32_e64 v24, s5, 0, v24, s5
	s_add_i32 s5, s9, 32
	s_cmp_ge_i32 s9, s28
	s_barrier
	buffer_gl0_inv
	s_cbranch_scc1 .LBB42_58
; %bb.57:                               ;   in Loop: Header=BB42_6 Depth=2
	s_mov_b32 s9, s5
	s_branch .LBB42_6
.LBB42_58:                              ;   in Loop: Header=BB42_4 Depth=1
	v_mul_lo_u32 v21, v37, s16
	v_mul_lo_u32 v22, v36, s17
	v_mad_u64_u32 v[19:20], null, v36, s16, 0
	v_cmp_gt_i32_e32 vcc_lo, s10, v36
	s_delay_alu instid0(VALU_DEP_2) | instskip(NEXT) | instid1(VALU_DEP_1)
	v_add3_u32 v20, v20, v22, v21
	v_lshlrev_b64 v[19:20], 3, v[19:20]
	s_delay_alu instid0(VALU_DEP_1) | instskip(NEXT) | instid1(VALU_DEP_1)
	v_add_co_u32 v19, s4, s15, v19
	v_add_co_ci_u32_e64 v20, s4, s27, v20, s4
	s_and_b32 s4, s2, vcc_lo
	s_delay_alu instid0(SALU_CYCLE_1)
	s_and_saveexec_b32 s5, s4
	s_cbranch_execz .LBB42_60
; %bb.59:                               ;   in Loop: Header=BB42_4 Depth=1
	v_lshlrev_b64 v[21:22], 3, v[3:4]
	s_delay_alu instid0(VALU_DEP_1) | instskip(NEXT) | instid1(VALU_DEP_1)
	v_add_co_u32 v21, s4, v19, v21
	v_add_co_ci_u32_e64 v22, s4, v20, v22, s4
	global_load_b64 v[23:24], v[21:22], off
	s_waitcnt vmcnt(0)
	v_fma_f64 v[23:24], s[34:35], v[29:30], v[23:24]
	global_store_b64 v[21:22], v[23:24], off
.LBB42_60:                              ;   in Loop: Header=BB42_4 Depth=1
	s_or_b32 exec_lo, exec_lo, s5
	s_and_b32 s5, s3, vcc_lo
	s_delay_alu instid0(SALU_CYCLE_1)
	s_and_saveexec_b32 s4, s5
	s_cbranch_execz .LBB42_62
; %bb.61:                               ;   in Loop: Header=BB42_4 Depth=1
	v_lshlrev_b64 v[21:22], 3, v[13:14]
	s_delay_alu instid0(VALU_DEP_1) | instskip(NEXT) | instid1(VALU_DEP_2)
	v_add_co_u32 v19, vcc_lo, v19, v21
	v_add_co_ci_u32_e32 v20, vcc_lo, v20, v22, vcc_lo
	global_load_b64 v[21:22], v[19:20], off
	s_waitcnt vmcnt(0)
	v_fma_f64 v[21:22], s[34:35], v[27:28], v[21:22]
	global_store_b64 v[19:20], v[21:22], off
.LBB42_62:                              ;   in Loop: Header=BB42_4 Depth=1
	s_or_b32 exec_lo, exec_lo, s4
	v_add_nc_u32_e32 v21, 16, v36
	s_delay_alu instid0(VALU_DEP_1) | instskip(SKIP_3) | instid1(VALU_DEP_4)
	v_ashrrev_i32_e32 v22, 31, v21
	v_mul_lo_u32 v23, v21, s17
	v_mad_u64_u32 v[19:20], null, v21, s16, 0
	v_cmp_gt_i32_e32 vcc_lo, s10, v21
	v_mul_lo_u32 v22, v22, s16
	s_delay_alu instid0(VALU_DEP_1) | instskip(NEXT) | instid1(VALU_DEP_1)
	v_add3_u32 v20, v20, v23, v22
	v_lshlrev_b64 v[19:20], 3, v[19:20]
	s_delay_alu instid0(VALU_DEP_1) | instskip(NEXT) | instid1(VALU_DEP_1)
	v_add_co_u32 v19, s4, s15, v19
	v_add_co_ci_u32_e64 v20, s4, s27, v20, s4
	s_and_b32 s4, s2, vcc_lo
	s_delay_alu instid0(SALU_CYCLE_1)
	s_and_saveexec_b32 s5, s4
	s_cbranch_execnz .LBB42_64
; %bb.63:                               ;   in Loop: Header=BB42_4 Depth=1
	s_or_b32 exec_lo, exec_lo, s5
	s_and_b32 s5, s3, vcc_lo
	s_delay_alu instid0(SALU_CYCLE_1)
	s_and_saveexec_b32 s4, s5
	s_cbranch_execz .LBB42_3
	s_branch .LBB42_65
.LBB42_64:                              ;   in Loop: Header=BB42_4 Depth=1
	v_lshlrev_b64 v[21:22], 3, v[3:4]
	s_delay_alu instid0(VALU_DEP_1) | instskip(NEXT) | instid1(VALU_DEP_1)
	v_add_co_u32 v21, s4, v19, v21
	v_add_co_ci_u32_e64 v22, s4, v20, v22, s4
	global_load_b64 v[23:24], v[21:22], off
	s_waitcnt vmcnt(0)
	v_fma_f64 v[17:18], s[34:35], v[17:18], v[23:24]
	global_store_b64 v[21:22], v[17:18], off
	s_or_b32 exec_lo, exec_lo, s5
	s_and_b32 s5, s3, vcc_lo
	s_delay_alu instid0(SALU_CYCLE_1)
	s_and_saveexec_b32 s4, s5
	s_cbranch_execz .LBB42_3
.LBB42_65:                              ;   in Loop: Header=BB42_4 Depth=1
	v_lshlrev_b64 v[17:18], 3, v[13:14]
	s_delay_alu instid0(VALU_DEP_1) | instskip(NEXT) | instid1(VALU_DEP_2)
	v_add_co_u32 v17, vcc_lo, v19, v17
	v_add_co_ci_u32_e32 v18, vcc_lo, v20, v18, vcc_lo
	global_load_b64 v[19:20], v[17:18], off
	s_waitcnt vmcnt(0)
	v_fma_f64 v[15:16], s[34:35], v[15:16], v[19:20]
	global_store_b64 v[17:18], v[15:16], off
	s_branch .LBB42_3
.LBB42_66:
	s_nop 0
	s_sendmsg sendmsg(MSG_DEALLOC_VGPRS)
	s_endpgm
	.section	.rodata,"a",@progbits
	.p2align	6, 0x0
	.amdhsa_kernel _ZL30rocblas_trmm_outofplace_kernelIdLi32ELi2ELb1ELb1ELb1ELb0EPKdS0_dEv17rocblas_diagonal_iiT6_lPT7_lllS5_lllPT8_llli
		.amdhsa_group_segment_fixed_size 16384
		.amdhsa_private_segment_fixed_size 0
		.amdhsa_kernarg_size 392
		.amdhsa_user_sgpr_count 13
		.amdhsa_user_sgpr_dispatch_ptr 0
		.amdhsa_user_sgpr_queue_ptr 0
		.amdhsa_user_sgpr_kernarg_segment_ptr 1
		.amdhsa_user_sgpr_dispatch_id 0
		.amdhsa_user_sgpr_private_segment_size 0
		.amdhsa_wavefront_size32 1
		.amdhsa_uses_dynamic_stack 0
		.amdhsa_enable_private_segment 0
		.amdhsa_system_sgpr_workgroup_id_x 1
		.amdhsa_system_sgpr_workgroup_id_y 1
		.amdhsa_system_sgpr_workgroup_id_z 1
		.amdhsa_system_sgpr_workgroup_info 0
		.amdhsa_system_vgpr_workitem_id 1
		.amdhsa_next_free_vgpr 60
		.amdhsa_next_free_sgpr 44
		.amdhsa_reserve_vcc 1
		.amdhsa_float_round_mode_32 0
		.amdhsa_float_round_mode_16_64 0
		.amdhsa_float_denorm_mode_32 3
		.amdhsa_float_denorm_mode_16_64 3
		.amdhsa_dx10_clamp 1
		.amdhsa_ieee_mode 1
		.amdhsa_fp16_overflow 0
		.amdhsa_workgroup_processor_mode 1
		.amdhsa_memory_ordered 1
		.amdhsa_forward_progress 0
		.amdhsa_shared_vgpr_count 0
		.amdhsa_exception_fp_ieee_invalid_op 0
		.amdhsa_exception_fp_denorm_src 0
		.amdhsa_exception_fp_ieee_div_zero 0
		.amdhsa_exception_fp_ieee_overflow 0
		.amdhsa_exception_fp_ieee_underflow 0
		.amdhsa_exception_fp_ieee_inexact 0
		.amdhsa_exception_int_div_zero 0
	.end_amdhsa_kernel
	.section	.text._ZL30rocblas_trmm_outofplace_kernelIdLi32ELi2ELb1ELb1ELb1ELb0EPKdS0_dEv17rocblas_diagonal_iiT6_lPT7_lllS5_lllPT8_llli,"axG",@progbits,_ZL30rocblas_trmm_outofplace_kernelIdLi32ELi2ELb1ELb1ELb1ELb0EPKdS0_dEv17rocblas_diagonal_iiT6_lPT7_lllS5_lllPT8_llli,comdat
.Lfunc_end42:
	.size	_ZL30rocblas_trmm_outofplace_kernelIdLi32ELi2ELb1ELb1ELb1ELb0EPKdS0_dEv17rocblas_diagonal_iiT6_lPT7_lllS5_lllPT8_llli, .Lfunc_end42-_ZL30rocblas_trmm_outofplace_kernelIdLi32ELi2ELb1ELb1ELb1ELb0EPKdS0_dEv17rocblas_diagonal_iiT6_lPT7_lllS5_lllPT8_llli
                                        ; -- End function
	.section	.AMDGPU.csdata,"",@progbits
; Kernel info:
; codeLenInByte = 2896
; NumSgprs: 46
; NumVgprs: 60
; ScratchSize: 0
; MemoryBound: 1
; FloatMode: 240
; IeeeMode: 1
; LDSByteSize: 16384 bytes/workgroup (compile time only)
; SGPRBlocks: 5
; VGPRBlocks: 7
; NumSGPRsForWavesPerEU: 46
; NumVGPRsForWavesPerEU: 60
; Occupancy: 16
; WaveLimiterHint : 0
; COMPUTE_PGM_RSRC2:SCRATCH_EN: 0
; COMPUTE_PGM_RSRC2:USER_SGPR: 13
; COMPUTE_PGM_RSRC2:TRAP_HANDLER: 0
; COMPUTE_PGM_RSRC2:TGID_X_EN: 1
; COMPUTE_PGM_RSRC2:TGID_Y_EN: 1
; COMPUTE_PGM_RSRC2:TGID_Z_EN: 1
; COMPUTE_PGM_RSRC2:TIDIG_COMP_CNT: 1
	.section	.text._ZL30rocblas_trmm_outofplace_kernelIdLi32ELi2ELb1ELb1ELb1ELb0EdKddEv17rocblas_diagonal_iiT6_lPT7_lllS4_lllPT8_llli,"axG",@progbits,_ZL30rocblas_trmm_outofplace_kernelIdLi32ELi2ELb1ELb1ELb1ELb0EdKddEv17rocblas_diagonal_iiT6_lPT7_lllS4_lllPT8_llli,comdat
	.globl	_ZL30rocblas_trmm_outofplace_kernelIdLi32ELi2ELb1ELb1ELb1ELb0EdKddEv17rocblas_diagonal_iiT6_lPT7_lllS4_lllPT8_llli ; -- Begin function _ZL30rocblas_trmm_outofplace_kernelIdLi32ELi2ELb1ELb1ELb1ELb0EdKddEv17rocblas_diagonal_iiT6_lPT7_lllS4_lllPT8_llli
	.p2align	8
	.type	_ZL30rocblas_trmm_outofplace_kernelIdLi32ELi2ELb1ELb1ELb1ELb0EdKddEv17rocblas_diagonal_iiT6_lPT7_lllS4_lllPT8_llli,@function
_ZL30rocblas_trmm_outofplace_kernelIdLi32ELi2ELb1ELb1ELb1ELb0EdKddEv17rocblas_diagonal_iiT6_lPT7_lllS4_lllPT8_llli: ; @_ZL30rocblas_trmm_outofplace_kernelIdLi32ELi2ELb1ELb1ELb1ELb0EdKddEv17rocblas_diagonal_iiT6_lPT7_lllS4_lllPT8_llli
; %bb.0:
	s_load_b64 s[34:35], s[0:1], 0x10
	s_waitcnt lgkmcnt(0)
	v_cmp_eq_f64_e64 s2, s[34:35], 0
	s_delay_alu instid0(VALU_DEP_1)
	s_and_b32 vcc_lo, exec_lo, s2
	s_cbranch_vccnz .LBB43_66
; %bb.1:
	s_load_b128 s[8:11], s[0:1], 0x0
	s_waitcnt lgkmcnt(0)
	s_add_i32 s2, s10, -1
	s_delay_alu instid0(SALU_CYCLE_1) | instskip(NEXT) | instid1(SALU_CYCLE_1)
	s_ashr_i32 s3, s2, 31
	s_lshr_b32 s3, s3, 27
	s_delay_alu instid0(SALU_CYCLE_1) | instskip(NEXT) | instid1(SALU_CYCLE_1)
	s_add_i32 s2, s2, s3
	s_ashr_i32 s11, s2, 5
	s_delay_alu instid0(SALU_CYCLE_1)
	s_cmp_gt_i32 s14, s11
	s_cbranch_scc1 .LBB43_66
; %bb.2:
	s_clause 0x2
	s_load_b512 s[16:31], s[0:1], 0x20
	s_load_b256 s[36:43], s[0:1], 0x60
	s_load_b32 s33, s[0:1], 0x8c
	v_bfe_u32 v1, v0, 10, 10
	v_mov_b32_e32 v3, 0
	s_mov_b32 s12, s9
	s_delay_alu instid0(VALU_DEP_2) | instskip(NEXT) | instid1(VALU_DEP_2)
	v_lshlrev_b32_e32 v4, 8, v1
	v_dual_mov_b32 v2, v3 :: v_dual_and_b32 v5, 0x3ff, v0
	v_dual_mov_b32 v6, v3 :: v_dual_lshlrev_b32 v15, 3, v1
	s_delay_alu instid0(VALU_DEP_3) | instskip(NEXT) | instid1(VALU_DEP_3)
	v_add_nc_u32_e32 v31, 0x2000, v4
	v_lshlrev_b32_e32 v0, 3, v5
	s_delay_alu instid0(VALU_DEP_1)
	v_add_nc_u32_e32 v32, v4, v0
	s_waitcnt lgkmcnt(0)
	s_mul_i32 s1, s15, s23
	s_mul_hi_u32 s2, s15, s22
	s_mul_i32 s0, s15, s22
	s_add_i32 s1, s2, s1
	s_mul_i32 s3, s15, s31
	s_lshl_b64 s[0:1], s[0:1], 3
	s_mul_hi_u32 s4, s15, s30
	s_add_u32 s5, s16, s0
	s_addc_u32 s6, s17, s1
	s_lshl_b64 s[0:1], s[18:19], 3
	s_mul_i32 s2, s15, s30
	s_add_u32 s7, s5, s0
	s_addc_u32 s6, s6, s1
	s_add_i32 s3, s4, s3
	s_mul_i32 s4, s15, s43
	s_lshl_b64 s[0:1], s[2:3], 3
	s_mul_hi_u32 s3, s15, s42
	s_add_u32 s5, s24, s0
	s_addc_u32 s16, s25, s1
	s_lshl_b64 s[0:1], s[26:27], 3
	s_mul_i32 s2, s15, s42
	s_add_u32 s5, s5, s0
	s_addc_u32 s16, s16, s1
	s_add_i32 s3, s3, s4
	v_add_nc_u32_e32 v33, v31, v0
	s_lshl_b64 s[0:1], s[2:3], 3
	s_delay_alu instid0(SALU_CYCLE_1) | instskip(SKIP_2) | instid1(SALU_CYCLE_1)
	s_add_u32 s2, s36, s0
	s_addc_u32 s3, s37, s1
	s_lshl_b64 s[0:1], s[38:39], 3
	s_add_u32 s15, s2, s0
	s_addc_u32 s24, s3, s1
	s_lshl_b32 s25, s13, 5
	s_cmp_gt_i32 s13, -1
	v_add_nc_u32_e32 v7, s25, v5
	s_cselect_b32 s26, -1, 0
	s_cmpk_eq_i32 s8, 0x84
	v_add_co_u32 v34, s0, s5, v0
	s_delay_alu instid0(VALU_DEP_2) | instskip(SKIP_3) | instid1(VALU_DEP_3)
	v_ashrrev_i32_e32 v8, 31, v7
	v_mul_lo_u32 v4, v7, s21
	v_mad_u64_u32 v[10:11], null, v7, s20, 0
	s_cselect_b32 s27, -1, 0
	v_mul_lo_u32 v9, v8, s20
	s_ashr_i32 s13, s9, 31
	v_add_co_ci_u32_e64 v35, null, s16, 0, s0
	v_cmp_le_i32_e64 s0, s9, v7
	v_cmp_gt_i32_e64 s1, s9, v7
	s_ashr_i32 s30, s10, 31
	s_lshl_b64 s[16:17], s[20:21], 7
	s_delay_alu instid0(VALU_DEP_4)
	v_add3_u32 v11, v11, v4, v9
	v_add_nc_u32_e32 v9, 16, v7
	s_lshl_b64 s[4:5], s[20:21], 4
	s_add_u32 s18, s9, -16
	s_addc_u32 s19, s13, -1
	v_lshlrev_b64 v[13:14], 3, v[10:11]
	v_add_co_u32 v11, vcc_lo, v7, 16
	v_add_co_ci_u32_e32 v12, vcc_lo, 0, v8, vcc_lo
	v_cmp_gt_i32_e64 s3, s9, v9
	s_delay_alu instid0(VALU_DEP_4) | instskip(SKIP_1) | instid1(VALU_DEP_4)
	v_add_co_u32 v4, vcc_lo, s7, v13
	v_add_co_ci_u32_e32 v10, vcc_lo, s6, v14, vcc_lo
	v_cmp_le_i64_e64 s2, s[12:13], v[11:12]
	s_delay_alu instid0(VALU_DEP_3) | instskip(SKIP_1) | instid1(VALU_DEP_4)
	v_add_co_u32 v13, vcc_lo, v4, v15
	v_mov_b32_e32 v4, 0x3ff00000
	v_add_co_ci_u32_e32 v14, vcc_lo, 0, v10, vcc_lo
	v_ashrrev_i32_e32 v10, 31, v9
	s_lshl_b64 s[20:21], s[28:29], 4
	s_lshl_b64 s[22:23], s[4:5], 3
	s_branch .LBB43_4
.LBB43_3:                               ;   in Loop: Header=BB43_4 Depth=1
	s_or_b32 exec_lo, exec_lo, s4
	s_add_i32 s14, s33, s14
	s_delay_alu instid0(SALU_CYCLE_1)
	s_cmp_le_i32 s14, s11
	s_cbranch_scc0 .LBB43_66
.LBB43_4:                               ; =>This Loop Header: Depth=1
                                        ;     Child Loop BB43_6 Depth 2
                                        ;       Child Loop BB43_55 Depth 3
	v_mov_b32_e32 v29, 0
	v_mov_b32_e32 v30, 0
	v_lshl_add_u32 v36, s14, 5, v1
	s_delay_alu instid0(VALU_DEP_3) | instskip(SKIP_1) | instid1(VALU_DEP_4)
	v_mov_b32_e32 v27, v29
	v_mov_b32_e32 v17, v29
	v_dual_mov_b32 v15, v29 :: v_dual_mov_b32 v16, v30
	s_delay_alu instid0(VALU_DEP_4)
	v_ashrrev_i32_e32 v37, 31, v36
	v_mov_b32_e32 v28, v30
	v_mov_b32_e32 v18, v30
	s_and_not1_b32 vcc_lo, exec_lo, s26
	s_cbranch_vccnz .LBB43_58
; %bb.5:                                ;   in Loop: Header=BB43_4 Depth=1
	v_mul_lo_u32 v15, v37, s28
	v_mul_lo_u32 v16, v36, s29
	v_mad_u64_u32 v[17:18], null, v36, s28, 0
	v_sub_co_u32 v19, vcc_lo, s10, v36
	v_sub_co_ci_u32_e32 v20, vcc_lo, s30, v37, vcc_lo
	v_dual_mov_b32 v24, v6 :: v_dual_mov_b32 v23, v5
	s_delay_alu instid0(VALU_DEP_4)
	v_add3_u32 v18, v18, v16, v15
	v_mov_b32_e32 v15, 0
	v_mov_b32_e32 v16, 0
	v_cmp_lt_i64_e32 vcc_lo, 0, v[19:20]
	v_cmp_lt_i64_e64 s4, 16, v[19:20]
	v_lshlrev_b64 v[21:22], 3, v[17:18]
	v_dual_mov_b32 v26, v14 :: v_dual_mov_b32 v25, v13
	s_mov_b32 s9, 0
	s_delay_alu instid0(VALU_DEP_2) | instskip(NEXT) | instid1(VALU_DEP_1)
	v_add_co_u32 v19, s5, v34, v21
	v_add_co_ci_u32_e64 v20, s5, v35, v22, s5
	v_dual_mov_b32 v22, v2 :: v_dual_mov_b32 v21, v1
	v_dual_mov_b32 v18, v16 :: v_dual_mov_b32 v17, v15
	;; [unrolled: 1-line block ×4, first 2 shown]
.LBB43_6:                               ;   Parent Loop BB43_4 Depth=1
                                        ; =>  This Loop Header: Depth=2
                                        ;       Child Loop BB43_55 Depth 3
	s_delay_alu instid0(VALU_DEP_4) | instskip(SKIP_2) | instid1(VALU_DEP_2)
	v_cmp_le_i64_e64 s6, s[12:13], v[21:22]
	v_cmp_eq_u64_e64 s7, v[21:22], v[7:8]
	v_cmp_gt_i64_e64 s5, v[21:22], v[7:8]
	s_and_b32 s36, s27, s7
	s_delay_alu instid0(VALU_DEP_1) | instskip(NEXT) | instid1(SALU_CYCLE_1)
	s_or_b32 s7, s6, s5
	s_or_b32 s7, s7, s36
	s_delay_alu instid0(SALU_CYCLE_1) | instskip(NEXT) | instid1(SALU_CYCLE_1)
	s_or_b32 s7, s0, s7
	s_xor_b32 s7, s7, -1
	s_delay_alu instid0(SALU_CYCLE_1) | instskip(NEXT) | instid1(SALU_CYCLE_1)
	s_and_saveexec_b32 s8, s7
	s_xor_b32 s7, exec_lo, s8
	s_cbranch_execz .LBB43_8
; %bb.7:                                ;   in Loop: Header=BB43_6 Depth=2
	global_load_b64 v[38:39], v[25:26], off
	s_waitcnt vmcnt(0)
	ds_store_b64 v32, v[38:39]
.LBB43_8:                               ;   in Loop: Header=BB43_6 Depth=2
	s_or_saveexec_b32 s7, s7
	s_xor_b32 s31, s36, -1
	s_xor_b32 exec_lo, exec_lo, s7
	s_cbranch_execz .LBB43_14
; %bb.9:                                ;   in Loop: Header=BB43_6 Depth=2
	s_and_saveexec_b32 s8, s31
	s_delay_alu instid0(SALU_CYCLE_1)
	s_xor_b32 s8, exec_lo, s8
	s_cbranch_execz .LBB43_11
; %bb.10:                               ;   in Loop: Header=BB43_6 Depth=2
	v_mov_b32_e32 v38, v3
	v_mov_b32_e32 v39, v3
	ds_store_b64 v32, v[38:39]
.LBB43_11:                              ;   in Loop: Header=BB43_6 Depth=2
	s_and_not1_saveexec_b32 s8, s8
	s_cbranch_execz .LBB43_13
; %bb.12:                               ;   in Loop: Header=BB43_6 Depth=2
	ds_store_b64 v32, v[3:4]
.LBB43_13:                              ;   in Loop: Header=BB43_6 Depth=2
	s_or_b32 exec_lo, exec_lo, s8
.LBB43_14:                              ;   in Loop: Header=BB43_6 Depth=2
	s_delay_alu instid0(SALU_CYCLE_1) | instskip(SKIP_2) | instid1(VALU_DEP_2)
	s_or_b32 exec_lo, exec_lo, s7
	v_cmp_eq_u64_e64 s7, v[11:12], v[21:22]
	v_cmp_lt_i64_e64 s8, v[11:12], v[21:22]
	s_and_b32 s7, s27, s7
	s_delay_alu instid0(VALU_DEP_1) | instskip(NEXT) | instid1(SALU_CYCLE_1)
	s_or_b32 s6, s6, s8
	s_or_b32 s6, s6, s7
	s_delay_alu instid0(SALU_CYCLE_1) | instskip(NEXT) | instid1(SALU_CYCLE_1)
	s_or_b32 s6, s2, s6
	s_xor_b32 s6, s6, -1
	s_delay_alu instid0(SALU_CYCLE_1) | instskip(NEXT) | instid1(SALU_CYCLE_1)
	s_and_saveexec_b32 s8, s6
	s_xor_b32 s8, exec_lo, s8
	s_cbranch_execz .LBB43_16
; %bb.15:                               ;   in Loop: Header=BB43_6 Depth=2
	v_add_co_u32 v38, s6, v25, s16
	s_delay_alu instid0(VALU_DEP_1)
	v_add_co_ci_u32_e64 v39, s6, s17, v26, s6
	global_load_b64 v[38:39], v[38:39], off
	s_waitcnt vmcnt(0)
	ds_store_b64 v32, v[38:39] offset:128
.LBB43_16:                              ;   in Loop: Header=BB43_6 Depth=2
	s_and_not1_saveexec_b32 s6, s8
	s_cbranch_execz .LBB43_22
; %bb.17:                               ;   in Loop: Header=BB43_6 Depth=2
	s_xor_b32 s7, s7, -1
	s_delay_alu instid0(SALU_CYCLE_1) | instskip(NEXT) | instid1(SALU_CYCLE_1)
	s_and_saveexec_b32 s8, s7
	s_xor_b32 s7, exec_lo, s8
	s_cbranch_execz .LBB43_19
; %bb.18:                               ;   in Loop: Header=BB43_6 Depth=2
	v_mov_b32_e32 v38, v3
	v_mov_b32_e32 v39, v3
	ds_store_b64 v32, v[38:39] offset:128
.LBB43_19:                              ;   in Loop: Header=BB43_6 Depth=2
	s_and_not1_saveexec_b32 s7, s7
	s_cbranch_execz .LBB43_21
; %bb.20:                               ;   in Loop: Header=BB43_6 Depth=2
	ds_store_b64 v32, v[3:4] offset:128
.LBB43_21:                              ;   in Loop: Header=BB43_6 Depth=2
	s_or_b32 exec_lo, exec_lo, s7
.LBB43_22:                              ;   in Loop: Header=BB43_6 Depth=2
	s_delay_alu instid0(SALU_CYCLE_1) | instskip(SKIP_1) | instid1(VALU_DEP_1)
	s_or_b32 exec_lo, exec_lo, s6
	v_add_co_u32 v38, s6, v21, 16
	v_add_co_ci_u32_e64 v39, s6, 0, v22, s6
	s_delay_alu instid0(VALU_DEP_1) | instskip(SKIP_2) | instid1(VALU_DEP_2)
	v_cmp_le_i64_e64 s6, s[12:13], v[38:39]
	v_cmp_eq_u64_e64 s7, v[38:39], v[7:8]
	v_cmp_gt_i64_e64 s8, v[38:39], v[7:8]
	s_and_b32 s37, s27, s7
	s_delay_alu instid0(VALU_DEP_1) | instskip(NEXT) | instid1(SALU_CYCLE_1)
	s_or_b32 s7, s6, s8
	s_or_b32 s7, s7, s37
	s_delay_alu instid0(SALU_CYCLE_1) | instskip(NEXT) | instid1(SALU_CYCLE_1)
	s_or_b32 s7, s0, s7
	s_xor_b32 s7, s7, -1
	s_delay_alu instid0(SALU_CYCLE_1) | instskip(NEXT) | instid1(SALU_CYCLE_1)
	s_and_saveexec_b32 s8, s7
	s_xor_b32 s7, exec_lo, s8
	s_cbranch_execz .LBB43_24
; %bb.23:                               ;   in Loop: Header=BB43_6 Depth=2
	global_load_b64 v[38:39], v[25:26], off offset:128
	s_waitcnt vmcnt(0)
	ds_store_b64 v32, v[38:39] offset:4096
.LBB43_24:                              ;   in Loop: Header=BB43_6 Depth=2
	s_and_not1_saveexec_b32 s7, s7
	s_cbranch_execz .LBB43_30
; %bb.25:                               ;   in Loop: Header=BB43_6 Depth=2
	s_xor_b32 s8, s37, -1
	s_delay_alu instid0(SALU_CYCLE_1) | instskip(NEXT) | instid1(SALU_CYCLE_1)
	s_and_saveexec_b32 s37, s8
	s_xor_b32 s8, exec_lo, s37
	s_cbranch_execz .LBB43_27
; %bb.26:                               ;   in Loop: Header=BB43_6 Depth=2
	v_mov_b32_e32 v38, v3
	v_mov_b32_e32 v39, v3
	ds_store_b64 v32, v[38:39] offset:4096
.LBB43_27:                              ;   in Loop: Header=BB43_6 Depth=2
	s_and_not1_saveexec_b32 s8, s8
	s_cbranch_execz .LBB43_29
; %bb.28:                               ;   in Loop: Header=BB43_6 Depth=2
	ds_store_b64 v32, v[3:4] offset:4096
.LBB43_29:                              ;   in Loop: Header=BB43_6 Depth=2
	s_or_b32 exec_lo, exec_lo, s8
.LBB43_30:                              ;   in Loop: Header=BB43_6 Depth=2
	s_delay_alu instid0(SALU_CYCLE_1) | instskip(SKIP_1) | instid1(SALU_CYCLE_1)
	s_or_b32 exec_lo, exec_lo, s7
	s_or_b32 s5, s6, s5
	s_or_b32 s5, s5, s36
	s_delay_alu instid0(SALU_CYCLE_1) | instskip(NEXT) | instid1(SALU_CYCLE_1)
	s_or_b32 s5, s2, s5
	s_xor_b32 s5, s5, -1
	s_delay_alu instid0(SALU_CYCLE_1) | instskip(NEXT) | instid1(SALU_CYCLE_1)
	s_and_saveexec_b32 s6, s5
	s_xor_b32 s6, exec_lo, s6
	s_cbranch_execz .LBB43_32
; %bb.31:                               ;   in Loop: Header=BB43_6 Depth=2
	v_add_co_u32 v38, s5, v25, s22
	s_delay_alu instid0(VALU_DEP_1)
	v_add_co_ci_u32_e64 v39, s5, s23, v26, s5
	global_load_b64 v[38:39], v[38:39], off offset:128
	s_waitcnt vmcnt(0)
	ds_store_b64 v32, v[38:39] offset:4224
.LBB43_32:                              ;   in Loop: Header=BB43_6 Depth=2
	s_and_not1_saveexec_b32 s5, s6
	s_cbranch_execz .LBB43_38
; %bb.33:                               ;   in Loop: Header=BB43_6 Depth=2
	s_and_saveexec_b32 s6, s31
	s_delay_alu instid0(SALU_CYCLE_1)
	s_xor_b32 s6, exec_lo, s6
	s_cbranch_execz .LBB43_35
; %bb.34:                               ;   in Loop: Header=BB43_6 Depth=2
	v_mov_b32_e32 v38, v3
	v_mov_b32_e32 v39, v3
	ds_store_b64 v32, v[38:39] offset:4224
.LBB43_35:                              ;   in Loop: Header=BB43_6 Depth=2
	s_and_not1_saveexec_b32 s6, s6
	s_cbranch_execz .LBB43_37
; %bb.36:                               ;   in Loop: Header=BB43_6 Depth=2
	ds_store_b64 v32, v[3:4] offset:4224
.LBB43_37:                              ;   in Loop: Header=BB43_6 Depth=2
	s_or_b32 exec_lo, exec_lo, s6
.LBB43_38:                              ;   in Loop: Header=BB43_6 Depth=2
	s_delay_alu instid0(SALU_CYCLE_1) | instskip(SKIP_1) | instid1(VALU_DEP_1)
	s_or_b32 exec_lo, exec_lo, s5
	v_cmp_gt_i64_e64 s6, s[12:13], v[23:24]
	s_and_b32 s5, vcc_lo, s6
	s_delay_alu instid0(SALU_CYCLE_1) | instskip(NEXT) | instid1(SALU_CYCLE_1)
	s_xor_b32 s5, s5, -1
	s_and_saveexec_b32 s7, s5
	s_delay_alu instid0(SALU_CYCLE_1)
	s_xor_b32 s5, exec_lo, s7
	s_cbranch_execz .LBB43_40
; %bb.39:                               ;   in Loop: Header=BB43_6 Depth=2
	v_mov_b32_e32 v38, v3
	v_mov_b32_e32 v39, v3
	ds_store_b64 v33, v[38:39]
.LBB43_40:                              ;   in Loop: Header=BB43_6 Depth=2
	s_and_not1_saveexec_b32 s5, s5
	s_cbranch_execz .LBB43_42
; %bb.41:                               ;   in Loop: Header=BB43_6 Depth=2
	global_load_b64 v[38:39], v[19:20], off
	s_waitcnt vmcnt(0)
	ds_store_b64 v33, v[38:39]
.LBB43_42:                              ;   in Loop: Header=BB43_6 Depth=2
	s_or_b32 exec_lo, exec_lo, s5
	v_cmp_gt_i64_e64 s5, s[18:19], v[23:24]
	s_delay_alu instid0(VALU_DEP_1) | instskip(NEXT) | instid1(SALU_CYCLE_1)
	s_and_b32 s7, vcc_lo, s5
	s_xor_b32 s7, s7, -1
	s_delay_alu instid0(SALU_CYCLE_1) | instskip(NEXT) | instid1(SALU_CYCLE_1)
	s_and_saveexec_b32 s8, s7
	s_xor_b32 s7, exec_lo, s8
	s_cbranch_execz .LBB43_44
; %bb.43:                               ;   in Loop: Header=BB43_6 Depth=2
	v_mov_b32_e32 v38, v3
	v_mov_b32_e32 v39, v3
	ds_store_b64 v33, v[38:39] offset:128
.LBB43_44:                              ;   in Loop: Header=BB43_6 Depth=2
	s_and_not1_saveexec_b32 s7, s7
	s_cbranch_execz .LBB43_46
; %bb.45:                               ;   in Loop: Header=BB43_6 Depth=2
	global_load_b64 v[38:39], v[19:20], off offset:128
	s_waitcnt vmcnt(0)
	ds_store_b64 v33, v[38:39] offset:128
.LBB43_46:                              ;   in Loop: Header=BB43_6 Depth=2
	s_or_b32 exec_lo, exec_lo, s7
	s_and_b32 s6, s4, s6
	s_delay_alu instid0(SALU_CYCLE_1) | instskip(NEXT) | instid1(SALU_CYCLE_1)
	s_xor_b32 s6, s6, -1
	s_and_saveexec_b32 s7, s6
	s_delay_alu instid0(SALU_CYCLE_1)
	s_xor_b32 s6, exec_lo, s7
	s_cbranch_execz .LBB43_48
; %bb.47:                               ;   in Loop: Header=BB43_6 Depth=2
	v_mov_b32_e32 v38, v3
	v_mov_b32_e32 v39, v3
	ds_store_b64 v33, v[38:39] offset:4096
.LBB43_48:                              ;   in Loop: Header=BB43_6 Depth=2
	s_and_not1_saveexec_b32 s7, s6
	s_cbranch_execz .LBB43_50
; %bb.49:                               ;   in Loop: Header=BB43_6 Depth=2
	s_lshl_b64 s[36:37], s[20:21], 3
	s_delay_alu instid0(SALU_CYCLE_1) | instskip(NEXT) | instid1(VALU_DEP_1)
	v_add_co_u32 v38, s6, v19, s36
	v_add_co_ci_u32_e64 v39, s6, s37, v20, s6
	global_load_b64 v[38:39], v[38:39], off
	s_waitcnt vmcnt(0)
	ds_store_b64 v33, v[38:39] offset:4096
.LBB43_50:                              ;   in Loop: Header=BB43_6 Depth=2
	s_or_b32 exec_lo, exec_lo, s7
	s_and_b32 s5, s4, s5
	s_delay_alu instid0(SALU_CYCLE_1) | instskip(NEXT) | instid1(SALU_CYCLE_1)
	s_xor_b32 s5, s5, -1
	s_and_saveexec_b32 s6, s5
	s_delay_alu instid0(SALU_CYCLE_1)
	s_xor_b32 s5, exec_lo, s6
	s_cbranch_execz .LBB43_52
; %bb.51:                               ;   in Loop: Header=BB43_6 Depth=2
	v_mov_b32_e32 v38, v3
	v_mov_b32_e32 v39, v3
	ds_store_b64 v33, v[38:39] offset:4224
.LBB43_52:                              ;   in Loop: Header=BB43_6 Depth=2
	s_and_not1_saveexec_b32 s6, s5
	s_cbranch_execz .LBB43_54
; %bb.53:                               ;   in Loop: Header=BB43_6 Depth=2
	s_lshl_b64 s[36:37], s[20:21], 3
	s_delay_alu instid0(SALU_CYCLE_1) | instskip(NEXT) | instid1(VALU_DEP_1)
	v_add_co_u32 v38, s5, v19, s36
	v_add_co_ci_u32_e64 v39, s5, s37, v20, s5
	global_load_b64 v[38:39], v[38:39], off offset:128
	s_waitcnt vmcnt(0)
	ds_store_b64 v33, v[38:39] offset:4224
.LBB43_54:                              ;   in Loop: Header=BB43_6 Depth=2
	s_or_b32 exec_lo, exec_lo, s6
	v_mov_b32_e32 v38, v0
	s_mov_b32 s5, 0
	s_waitcnt lgkmcnt(0)
	s_waitcnt_vscnt null, 0x0
	s_barrier
	buffer_gl0_inv
.LBB43_55:                              ;   Parent Loop BB43_4 Depth=1
                                        ;     Parent Loop BB43_6 Depth=2
                                        ; =>    This Inner Loop Header: Depth=3
	v_add_nc_u32_e32 v59, s5, v31
	s_add_i32 s5, s5, 64
	ds_load_2addr_b64 v[39:42], v38 offset1:16
	ds_load_b128 v[43:46], v59
	ds_load_b128 v[47:50], v59 offset:4096
	ds_load_b128 v[51:54], v59 offset:16
	ds_load_b128 v[55:58], v59 offset:4112
	s_cmpk_lg_i32 s5, 0x100
	s_waitcnt lgkmcnt(3)
	v_fma_f64 v[29:30], v[39:40], v[43:44], v[29:30]
	v_fma_f64 v[27:28], v[41:42], v[43:44], v[27:28]
	s_waitcnt lgkmcnt(2)
	v_fma_f64 v[39:40], v[39:40], v[47:48], v[17:18]
	v_fma_f64 v[41:42], v[41:42], v[47:48], v[15:16]
	ds_load_2addr_b64 v[15:18], v38 offset0:32 offset1:48
	s_waitcnt lgkmcnt(0)
	v_fma_f64 v[29:30], v[15:16], v[45:46], v[29:30]
	v_fma_f64 v[27:28], v[17:18], v[45:46], v[27:28]
	v_fma_f64 v[39:40], v[15:16], v[49:50], v[39:40]
	v_fma_f64 v[41:42], v[17:18], v[49:50], v[41:42]
	ds_load_2addr_b64 v[15:18], v38 offset0:64 offset1:80
	s_waitcnt lgkmcnt(0)
	v_fma_f64 v[29:30], v[15:16], v[51:52], v[29:30]
	v_fma_f64 v[27:28], v[17:18], v[51:52], v[27:28]
	;; [unrolled: 6-line block ×3, first 2 shown]
	v_fma_f64 v[55:56], v[15:16], v[57:58], v[39:40]
	v_fma_f64 v[57:58], v[17:18], v[57:58], v[41:42]
	ds_load_2addr_b64 v[15:18], v38 offset0:128 offset1:144
	ds_load_b128 v[27:30], v59 offset:32
	ds_load_b128 v[39:42], v59 offset:4128
	;; [unrolled: 1-line block ×4, first 2 shown]
	s_waitcnt lgkmcnt(3)
	v_fma_f64 v[51:52], v[15:16], v[27:28], v[51:52]
	v_fma_f64 v[27:28], v[17:18], v[27:28], v[53:54]
	s_waitcnt lgkmcnt(2)
	v_fma_f64 v[53:54], v[15:16], v[39:40], v[55:56]
	v_fma_f64 v[39:40], v[17:18], v[39:40], v[57:58]
	ds_load_2addr_b64 v[15:18], v38 offset0:160 offset1:176
	s_waitcnt lgkmcnt(0)
	v_fma_f64 v[51:52], v[15:16], v[29:30], v[51:52]
	v_fma_f64 v[27:28], v[17:18], v[29:30], v[27:28]
	;; [unrolled: 1-line block ×4, first 2 shown]
	ds_load_2addr_b64 v[15:18], v38 offset0:192 offset1:208
	s_waitcnt lgkmcnt(0)
	v_fma_f64 v[51:52], v[15:16], v[43:44], v[51:52]
	v_fma_f64 v[27:28], v[17:18], v[43:44], v[27:28]
	v_fma_f64 v[15:16], v[15:16], v[47:48], v[29:30]
	v_fma_f64 v[43:44], v[17:18], v[47:48], v[39:40]
	ds_load_2addr_b64 v[39:42], v38 offset0:224 offset1:240
	v_add_nc_u32_e32 v38, 0x800, v38
	s_waitcnt lgkmcnt(0)
	v_fma_f64 v[29:30], v[39:40], v[45:46], v[51:52]
	v_fma_f64 v[27:28], v[41:42], v[45:46], v[27:28]
	;; [unrolled: 1-line block ×4, first 2 shown]
	s_cbranch_scc1 .LBB43_55
; %bb.56:                               ;   in Loop: Header=BB43_6 Depth=2
	v_add_co_u32 v25, s5, 0x100, v25
	s_delay_alu instid0(VALU_DEP_1) | instskip(SKIP_1) | instid1(VALU_DEP_1)
	v_add_co_ci_u32_e64 v26, s5, 0, v26, s5
	v_add_co_u32 v21, s5, v21, 32
	v_add_co_ci_u32_e64 v22, s5, 0, v22, s5
	v_add_co_u32 v19, s5, 0x100, v19
	s_delay_alu instid0(VALU_DEP_1) | instskip(SKIP_1) | instid1(VALU_DEP_1)
	v_add_co_ci_u32_e64 v20, s5, 0, v20, s5
	v_add_co_u32 v23, s5, v23, 32
	v_add_co_ci_u32_e64 v24, s5, 0, v24, s5
	s_add_i32 s5, s9, 32
	s_cmp_ge_i32 s9, s25
	s_barrier
	buffer_gl0_inv
	s_cbranch_scc1 .LBB43_58
; %bb.57:                               ;   in Loop: Header=BB43_6 Depth=2
	s_mov_b32 s9, s5
	s_branch .LBB43_6
.LBB43_58:                              ;   in Loop: Header=BB43_4 Depth=1
	v_mul_lo_u32 v21, v37, s40
	v_mul_lo_u32 v22, v36, s41
	v_mad_u64_u32 v[19:20], null, v36, s40, 0
	v_cmp_gt_i32_e32 vcc_lo, s10, v36
	s_delay_alu instid0(VALU_DEP_2) | instskip(NEXT) | instid1(VALU_DEP_1)
	v_add3_u32 v20, v20, v22, v21
	v_lshlrev_b64 v[19:20], 3, v[19:20]
	s_delay_alu instid0(VALU_DEP_1) | instskip(NEXT) | instid1(VALU_DEP_1)
	v_add_co_u32 v19, s4, s15, v19
	v_add_co_ci_u32_e64 v20, s4, s24, v20, s4
	s_and_b32 s4, s1, vcc_lo
	s_delay_alu instid0(SALU_CYCLE_1)
	s_and_saveexec_b32 s5, s4
	s_cbranch_execz .LBB43_60
; %bb.59:                               ;   in Loop: Header=BB43_4 Depth=1
	v_lshlrev_b64 v[21:22], 3, v[7:8]
	s_delay_alu instid0(VALU_DEP_1) | instskip(NEXT) | instid1(VALU_DEP_1)
	v_add_co_u32 v21, s4, v19, v21
	v_add_co_ci_u32_e64 v22, s4, v20, v22, s4
	global_load_b64 v[23:24], v[21:22], off
	s_waitcnt vmcnt(0)
	v_fma_f64 v[23:24], v[29:30], s[34:35], v[23:24]
	global_store_b64 v[21:22], v[23:24], off
.LBB43_60:                              ;   in Loop: Header=BB43_4 Depth=1
	s_or_b32 exec_lo, exec_lo, s5
	s_and_b32 s5, s3, vcc_lo
	s_delay_alu instid0(SALU_CYCLE_1)
	s_and_saveexec_b32 s4, s5
	s_cbranch_execz .LBB43_62
; %bb.61:                               ;   in Loop: Header=BB43_4 Depth=1
	v_lshlrev_b64 v[21:22], 3, v[9:10]
	s_delay_alu instid0(VALU_DEP_1) | instskip(NEXT) | instid1(VALU_DEP_2)
	v_add_co_u32 v19, vcc_lo, v19, v21
	v_add_co_ci_u32_e32 v20, vcc_lo, v20, v22, vcc_lo
	global_load_b64 v[21:22], v[19:20], off
	s_waitcnt vmcnt(0)
	v_fma_f64 v[21:22], v[27:28], s[34:35], v[21:22]
	global_store_b64 v[19:20], v[21:22], off
.LBB43_62:                              ;   in Loop: Header=BB43_4 Depth=1
	s_or_b32 exec_lo, exec_lo, s4
	v_add_nc_u32_e32 v21, 16, v36
	s_delay_alu instid0(VALU_DEP_1) | instskip(SKIP_3) | instid1(VALU_DEP_4)
	v_ashrrev_i32_e32 v22, 31, v21
	v_mul_lo_u32 v23, v21, s41
	v_mad_u64_u32 v[19:20], null, v21, s40, 0
	v_cmp_gt_i32_e32 vcc_lo, s10, v21
	v_mul_lo_u32 v22, v22, s40
	s_delay_alu instid0(VALU_DEP_1) | instskip(NEXT) | instid1(VALU_DEP_1)
	v_add3_u32 v20, v20, v23, v22
	v_lshlrev_b64 v[19:20], 3, v[19:20]
	s_delay_alu instid0(VALU_DEP_1) | instskip(NEXT) | instid1(VALU_DEP_1)
	v_add_co_u32 v19, s4, s15, v19
	v_add_co_ci_u32_e64 v20, s4, s24, v20, s4
	s_and_b32 s4, s1, vcc_lo
	s_delay_alu instid0(SALU_CYCLE_1)
	s_and_saveexec_b32 s5, s4
	s_cbranch_execnz .LBB43_64
; %bb.63:                               ;   in Loop: Header=BB43_4 Depth=1
	s_or_b32 exec_lo, exec_lo, s5
	s_and_b32 s5, s3, vcc_lo
	s_delay_alu instid0(SALU_CYCLE_1)
	s_and_saveexec_b32 s4, s5
	s_cbranch_execz .LBB43_3
	s_branch .LBB43_65
.LBB43_64:                              ;   in Loop: Header=BB43_4 Depth=1
	v_lshlrev_b64 v[21:22], 3, v[7:8]
	s_delay_alu instid0(VALU_DEP_1) | instskip(NEXT) | instid1(VALU_DEP_1)
	v_add_co_u32 v21, s4, v19, v21
	v_add_co_ci_u32_e64 v22, s4, v20, v22, s4
	global_load_b64 v[23:24], v[21:22], off
	s_waitcnt vmcnt(0)
	v_fma_f64 v[17:18], v[17:18], s[34:35], v[23:24]
	global_store_b64 v[21:22], v[17:18], off
	s_or_b32 exec_lo, exec_lo, s5
	s_and_b32 s5, s3, vcc_lo
	s_delay_alu instid0(SALU_CYCLE_1)
	s_and_saveexec_b32 s4, s5
	s_cbranch_execz .LBB43_3
.LBB43_65:                              ;   in Loop: Header=BB43_4 Depth=1
	v_lshlrev_b64 v[17:18], 3, v[9:10]
	s_delay_alu instid0(VALU_DEP_1) | instskip(NEXT) | instid1(VALU_DEP_2)
	v_add_co_u32 v17, vcc_lo, v19, v17
	v_add_co_ci_u32_e32 v18, vcc_lo, v20, v18, vcc_lo
	global_load_b64 v[19:20], v[17:18], off
	s_waitcnt vmcnt(0)
	v_fma_f64 v[15:16], v[15:16], s[34:35], v[19:20]
	global_store_b64 v[17:18], v[15:16], off
	s_branch .LBB43_3
.LBB43_66:
	s_nop 0
	s_sendmsg sendmsg(MSG_DEALLOC_VGPRS)
	s_endpgm
	.section	.rodata,"a",@progbits
	.p2align	6, 0x0
	.amdhsa_kernel _ZL30rocblas_trmm_outofplace_kernelIdLi32ELi2ELb1ELb1ELb1ELb0EdKddEv17rocblas_diagonal_iiT6_lPT7_lllS4_lllPT8_llli
		.amdhsa_group_segment_fixed_size 16384
		.amdhsa_private_segment_fixed_size 0
		.amdhsa_kernarg_size 392
		.amdhsa_user_sgpr_count 13
		.amdhsa_user_sgpr_dispatch_ptr 0
		.amdhsa_user_sgpr_queue_ptr 0
		.amdhsa_user_sgpr_kernarg_segment_ptr 1
		.amdhsa_user_sgpr_dispatch_id 0
		.amdhsa_user_sgpr_private_segment_size 0
		.amdhsa_wavefront_size32 1
		.amdhsa_uses_dynamic_stack 0
		.amdhsa_enable_private_segment 0
		.amdhsa_system_sgpr_workgroup_id_x 1
		.amdhsa_system_sgpr_workgroup_id_y 1
		.amdhsa_system_sgpr_workgroup_id_z 1
		.amdhsa_system_sgpr_workgroup_info 0
		.amdhsa_system_vgpr_workitem_id 1
		.amdhsa_next_free_vgpr 60
		.amdhsa_next_free_sgpr 44
		.amdhsa_reserve_vcc 1
		.amdhsa_float_round_mode_32 0
		.amdhsa_float_round_mode_16_64 0
		.amdhsa_float_denorm_mode_32 3
		.amdhsa_float_denorm_mode_16_64 3
		.amdhsa_dx10_clamp 1
		.amdhsa_ieee_mode 1
		.amdhsa_fp16_overflow 0
		.amdhsa_workgroup_processor_mode 1
		.amdhsa_memory_ordered 1
		.amdhsa_forward_progress 0
		.amdhsa_shared_vgpr_count 0
		.amdhsa_exception_fp_ieee_invalid_op 0
		.amdhsa_exception_fp_denorm_src 0
		.amdhsa_exception_fp_ieee_div_zero 0
		.amdhsa_exception_fp_ieee_overflow 0
		.amdhsa_exception_fp_ieee_underflow 0
		.amdhsa_exception_fp_ieee_inexact 0
		.amdhsa_exception_int_div_zero 0
	.end_amdhsa_kernel
	.section	.text._ZL30rocblas_trmm_outofplace_kernelIdLi32ELi2ELb1ELb1ELb1ELb0EdKddEv17rocblas_diagonal_iiT6_lPT7_lllS4_lllPT8_llli,"axG",@progbits,_ZL30rocblas_trmm_outofplace_kernelIdLi32ELi2ELb1ELb1ELb1ELb0EdKddEv17rocblas_diagonal_iiT6_lPT7_lllS4_lllPT8_llli,comdat
.Lfunc_end43:
	.size	_ZL30rocblas_trmm_outofplace_kernelIdLi32ELi2ELb1ELb1ELb1ELb0EdKddEv17rocblas_diagonal_iiT6_lPT7_lllS4_lllPT8_llli, .Lfunc_end43-_ZL30rocblas_trmm_outofplace_kernelIdLi32ELi2ELb1ELb1ELb1ELb0EdKddEv17rocblas_diagonal_iiT6_lPT7_lllS4_lllPT8_llli
                                        ; -- End function
	.section	.AMDGPU.csdata,"",@progbits
; Kernel info:
; codeLenInByte = 2860
; NumSgprs: 46
; NumVgprs: 60
; ScratchSize: 0
; MemoryBound: 1
; FloatMode: 240
; IeeeMode: 1
; LDSByteSize: 16384 bytes/workgroup (compile time only)
; SGPRBlocks: 5
; VGPRBlocks: 7
; NumSGPRsForWavesPerEU: 46
; NumVGPRsForWavesPerEU: 60
; Occupancy: 16
; WaveLimiterHint : 0
; COMPUTE_PGM_RSRC2:SCRATCH_EN: 0
; COMPUTE_PGM_RSRC2:USER_SGPR: 13
; COMPUTE_PGM_RSRC2:TRAP_HANDLER: 0
; COMPUTE_PGM_RSRC2:TGID_X_EN: 1
; COMPUTE_PGM_RSRC2:TGID_Y_EN: 1
; COMPUTE_PGM_RSRC2:TGID_Z_EN: 1
; COMPUTE_PGM_RSRC2:TIDIG_COMP_CNT: 1
	.section	.text._ZL30rocblas_trmm_outofplace_kernelIdLi32ELi2ELb1ELb0ELb1ELb1EPKdS0_dEv17rocblas_diagonal_iiT6_lPT7_lllS5_lllPT8_llli,"axG",@progbits,_ZL30rocblas_trmm_outofplace_kernelIdLi32ELi2ELb1ELb0ELb1ELb1EPKdS0_dEv17rocblas_diagonal_iiT6_lPT7_lllS5_lllPT8_llli,comdat
	.globl	_ZL30rocblas_trmm_outofplace_kernelIdLi32ELi2ELb1ELb0ELb1ELb1EPKdS0_dEv17rocblas_diagonal_iiT6_lPT7_lllS5_lllPT8_llli ; -- Begin function _ZL30rocblas_trmm_outofplace_kernelIdLi32ELi2ELb1ELb0ELb1ELb1EPKdS0_dEv17rocblas_diagonal_iiT6_lPT7_lllS5_lllPT8_llli
	.p2align	8
	.type	_ZL30rocblas_trmm_outofplace_kernelIdLi32ELi2ELb1ELb0ELb1ELb1EPKdS0_dEv17rocblas_diagonal_iiT6_lPT7_lllS5_lllPT8_llli,@function
_ZL30rocblas_trmm_outofplace_kernelIdLi32ELi2ELb1ELb0ELb1ELb1EPKdS0_dEv17rocblas_diagonal_iiT6_lPT7_lllS5_lllPT8_llli: ; @_ZL30rocblas_trmm_outofplace_kernelIdLi32ELi2ELb1ELb0ELb1ELb1EPKdS0_dEv17rocblas_diagonal_iiT6_lPT7_lllS5_lllPT8_llli
; %bb.0:
	s_load_b512 s[16:31], s[0:1], 0x10
	s_waitcnt lgkmcnt(0)
	s_mul_i32 s2, s15, s19
	s_mul_hi_u32 s3, s15, s18
	s_delay_alu instid0(SALU_CYCLE_1) | instskip(SKIP_1) | instid1(SALU_CYCLE_1)
	s_add_i32 s3, s3, s2
	s_mul_i32 s2, s15, s18
	s_lshl_b64 s[2:3], s[2:3], 3
	s_delay_alu instid0(SALU_CYCLE_1) | instskip(SKIP_4) | instid1(VALU_DEP_1)
	s_add_u32 s2, s16, s2
	s_addc_u32 s3, s17, s3
	s_load_b64 s[34:35], s[2:3], 0x0
	s_waitcnt lgkmcnt(0)
	v_cmp_eq_f64_e64 s2, s[34:35], 0
	s_and_b32 vcc_lo, exec_lo, s2
	s_cbranch_vccnz .LBB44_65
; %bb.1:
	s_load_b128 s[8:11], s[0:1], 0x0
	s_waitcnt lgkmcnt(0)
	s_add_i32 s2, s10, -1
	s_delay_alu instid0(SALU_CYCLE_1) | instskip(NEXT) | instid1(SALU_CYCLE_1)
	s_ashr_i32 s3, s2, 31
	s_lshr_b32 s3, s3, 27
	s_delay_alu instid0(SALU_CYCLE_1) | instskip(NEXT) | instid1(SALU_CYCLE_1)
	s_add_i32 s2, s2, s3
	s_ashr_i32 s11, s2, 5
	s_delay_alu instid0(SALU_CYCLE_1)
	s_cmp_gt_i32 s14, s11
	s_cbranch_scc1 .LBB44_65
; %bb.2:
	s_clause 0x1
	s_load_b256 s[36:43], s[0:1], 0x50
	s_load_b128 s[16:19], s[0:1], 0x70
	s_mul_i32 s3, s15, s27
	s_mul_hi_u32 s4, s15, s26
	s_mul_i32 s2, s15, s26
	s_add_i32 s3, s4, s3
	s_load_b32 s26, s[0:1], 0x8c
	s_lshl_b64 s[2:3], s[2:3], 3
	v_and_b32_e32 v1, 0x3ff, v0
	s_add_u32 s4, s20, s2
	s_addc_u32 s5, s21, s3
	s_lshl_b64 s[2:3], s[22:23], 3
	v_bfe_u32 v30, v0, 10, 10
	s_add_u32 s4, s4, s2
	s_addc_u32 s5, s5, s3
	v_lshlrev_b32_e32 v31, 3, v1
	s_delay_alu instid0(VALU_DEP_2)
	v_dual_mov_b32 v13, 0x3ff00000 :: v_dual_lshlrev_b32 v12, 8, v30
	s_waitcnt lgkmcnt(0)
	s_mul_i32 s1, s15, s39
	s_mul_hi_u32 s2, s15, s38
	s_mul_i32 s0, s15, s38
	s_add_i32 s1, s2, s1
	s_mul_i32 s3, s15, s19
	s_lshl_b64 s[0:1], s[0:1], 3
	s_mul_hi_u32 s6, s15, s18
	s_add_u32 s7, s28, s0
	s_addc_u32 s12, s29, s1
	s_lshl_b64 s[0:1], s[30:31], 3
	s_mul_i32 s2, s15, s18
	s_add_u32 s7, s7, s0
	s_addc_u32 s18, s12, s1
	s_add_i32 s3, s6, s3
	v_add_nc_u32_e32 v34, v12, v31
	s_lshl_b64 s[0:1], s[2:3], 3
	v_dual_mov_b32 v12, 0 :: v_dual_add_nc_u32 v35, 0x2000, v12
	s_add_u32 s2, s40, s0
	s_addc_u32 s3, s41, s1
	s_lshl_b64 s[0:1], s[42:43], 3
	s_mov_b32 s12, s9
	s_add_u32 s15, s2, s0
	s_addc_u32 s27, s3, s1
	s_lshl_b32 s0, s13, 5
	v_add_nc_u32_e32 v36, v35, v31
	v_add_nc_u32_e32 v0, s0, v1
	;; [unrolled: 1-line block ×3, first 2 shown]
	s_sub_i32 s28, s9, s0
	s_delay_alu instid0(SALU_CYCLE_1) | instskip(NEXT) | instid1(VALU_DEP_2)
	s_cmp_gt_i32 s28, 0
	v_ashrrev_i32_e32 v1, 31, v0
	v_mul_lo_u32 v4, v0, s25
	v_mad_u64_u32 v[6:7], null, v0, s24, 0
	v_ashrrev_i32_e32 v3, 31, v2
	s_delay_alu instid0(VALU_DEP_4)
	v_mul_lo_u32 v5, v1, s24
	s_cselect_b32 s29, -1, 0
	s_cmpk_eq_i32 s8, 0x84
	v_cmp_le_i32_e64 s0, s9, v0
	v_lshlrev_b64 v[8:9], 3, v[2:3]
	s_cselect_b32 s30, -1, 0
	s_ashr_i32 s13, s9, 31
	v_cmp_gt_i32_e64 s2, s9, v0
	v_add3_u32 v7, v7, v4, v5
	v_lshlrev_b64 v[4:5], 3, v[0:1]
	s_ashr_i32 s31, s10, 31
	s_delay_alu instid0(VALU_DEP_2) | instskip(SKIP_2) | instid1(VALU_DEP_3)
	v_lshlrev_b64 v[10:11], 3, v[6:7]
	v_add_co_u32 v6, vcc_lo, v0, 16
	v_add_co_ci_u32_e32 v7, vcc_lo, 0, v1, vcc_lo
	v_add_co_u32 v10, vcc_lo, s4, v10
	s_delay_alu instid0(VALU_DEP_4) | instskip(SKIP_2) | instid1(VALU_DEP_4)
	v_add_co_ci_u32_e32 v11, vcc_lo, s5, v11, vcc_lo
	v_add_co_u32 v32, vcc_lo, s7, v4
	v_add_co_ci_u32_e32 v33, vcc_lo, s18, v5, vcc_lo
	v_add_co_u32 v8, vcc_lo, v10, v8
	v_add_nc_u32_e32 v10, 16, v0
	v_cmp_le_i64_e64 s1, s[12:13], v[6:7]
	v_add_co_ci_u32_e32 v9, vcc_lo, v11, v9, vcc_lo
	s_lshl_b64 s[18:19], s[24:25], 7
	s_delay_alu instid0(VALU_DEP_3)
	v_cmp_gt_i32_e64 s3, s9, v10
	v_ashrrev_i32_e32 v11, 31, v10
	s_lshl_b64 s[4:5], s[24:25], 4
	s_add_u32 s20, s9, -16
	s_addc_u32 s21, s13, -1
	s_lshl_b64 s[22:23], s[36:37], 4
	s_lshl_b64 s[24:25], s[4:5], 3
	s_branch .LBB44_4
.LBB44_3:                               ;   in Loop: Header=BB44_4 Depth=1
	s_or_b32 exec_lo, exec_lo, s4
	s_add_i32 s14, s26, s14
	s_delay_alu instid0(SALU_CYCLE_1)
	s_cmp_le_i32 s14, s11
	s_cbranch_scc0 .LBB44_65
.LBB44_4:                               ; =>This Loop Header: Depth=1
                                        ;     Child Loop BB44_6 Depth 2
                                        ;       Child Loop BB44_55 Depth 3
	v_mov_b32_e32 v28, 0
	v_mov_b32_e32 v29, 0
	v_lshl_add_u32 v37, s14, 5, v30
	s_delay_alu instid0(VALU_DEP_3) | instskip(SKIP_1) | instid1(VALU_DEP_4)
	v_mov_b32_e32 v26, v28
	v_mov_b32_e32 v18, v28
	v_dual_mov_b32 v14, v28 :: v_dual_mov_b32 v15, v29
	s_delay_alu instid0(VALU_DEP_4)
	v_ashrrev_i32_e32 v38, 31, v37
	v_mov_b32_e32 v27, v29
	v_mov_b32_e32 v19, v29
	s_and_not1_b32 vcc_lo, exec_lo, s29
	s_cbranch_vccnz .LBB44_57
; %bb.5:                                ;   in Loop: Header=BB44_4 Depth=1
	v_mul_lo_u32 v14, v38, s36
	v_mul_lo_u32 v15, v37, s37
	v_mad_u64_u32 v[16:17], null, v37, s36, 0
	v_sub_co_u32 v18, vcc_lo, s10, v37
	v_sub_co_ci_u32_e32 v19, vcc_lo, s31, v38, vcc_lo
	v_dual_mov_b32 v21, v3 :: v_dual_mov_b32 v20, v2
	s_delay_alu instid0(VALU_DEP_4)
	v_add3_u32 v17, v17, v15, v14
	v_mov_b32_e32 v14, 0
	v_mov_b32_e32 v15, 0
	v_cmp_lt_i64_e32 vcc_lo, 0, v[18:19]
	v_cmp_lt_i64_e64 s4, 16, v[18:19]
	v_lshlrev_b64 v[16:17], 3, v[16:17]
	v_dual_mov_b32 v23, v1 :: v_dual_mov_b32 v22, v0
	v_dual_mov_b32 v19, v15 :: v_dual_mov_b32 v18, v14
	;; [unrolled: 1-line block ×3, first 2 shown]
	s_delay_alu instid0(VALU_DEP_4)
	v_add_co_u32 v16, s5, v32, v16
	v_dual_mov_b32 v29, v15 :: v_dual_mov_b32 v28, v14
	v_add_co_ci_u32_e64 v17, s5, v33, v17, s5
	v_dual_mov_b32 v25, v9 :: v_dual_mov_b32 v24, v8
	s_mov_b32 s9, 0
.LBB44_6:                               ;   Parent Loop BB44_4 Depth=1
                                        ; =>  This Loop Header: Depth=2
                                        ;       Child Loop BB44_55 Depth 3
	v_cmp_le_i64_e64 s6, s[12:13], v[20:21]
	v_cmp_eq_u64_e64 s7, v[20:21], v[0:1]
	v_cmp_lt_i64_e64 s5, v[20:21], v[0:1]
	s_delay_alu instid0(VALU_DEP_2) | instskip(NEXT) | instid1(VALU_DEP_1)
	s_and_b32 s38, s30, s7
	s_or_b32 s7, s6, s5
	s_delay_alu instid0(SALU_CYCLE_1) | instskip(NEXT) | instid1(SALU_CYCLE_1)
	s_or_b32 s7, s7, s38
	s_or_b32 s7, s0, s7
	s_delay_alu instid0(SALU_CYCLE_1) | instskip(NEXT) | instid1(SALU_CYCLE_1)
	s_xor_b32 s7, s7, -1
	s_and_saveexec_b32 s8, s7
	s_delay_alu instid0(SALU_CYCLE_1)
	s_xor_b32 s7, exec_lo, s8
	s_cbranch_execz .LBB44_8
; %bb.7:                                ;   in Loop: Header=BB44_6 Depth=2
	global_load_b64 v[39:40], v[24:25], off
	s_waitcnt vmcnt(0)
	ds_store_b64 v34, v[39:40]
.LBB44_8:                               ;   in Loop: Header=BB44_6 Depth=2
	s_or_saveexec_b32 s7, s7
	s_xor_b32 s33, s38, -1
	s_xor_b32 exec_lo, exec_lo, s7
	s_cbranch_execz .LBB44_14
; %bb.9:                                ;   in Loop: Header=BB44_6 Depth=2
	s_and_saveexec_b32 s8, s33
	s_delay_alu instid0(SALU_CYCLE_1)
	s_xor_b32 s8, exec_lo, s8
	s_cbranch_execz .LBB44_11
; %bb.10:                               ;   in Loop: Header=BB44_6 Depth=2
	v_mov_b32_e32 v39, v12
	v_mov_b32_e32 v40, v12
	ds_store_b64 v34, v[39:40]
.LBB44_11:                              ;   in Loop: Header=BB44_6 Depth=2
	s_and_not1_saveexec_b32 s8, s8
	s_cbranch_execz .LBB44_13
; %bb.12:                               ;   in Loop: Header=BB44_6 Depth=2
	ds_store_b64 v34, v[12:13]
.LBB44_13:                              ;   in Loop: Header=BB44_6 Depth=2
	s_or_b32 exec_lo, exec_lo, s8
.LBB44_14:                              ;   in Loop: Header=BB44_6 Depth=2
	s_delay_alu instid0(SALU_CYCLE_1) | instskip(SKIP_2) | instid1(VALU_DEP_2)
	s_or_b32 exec_lo, exec_lo, s7
	v_cmp_eq_u64_e64 s7, v[6:7], v[20:21]
	v_cmp_gt_i64_e64 s8, v[6:7], v[20:21]
	s_and_b32 s7, s30, s7
	s_delay_alu instid0(VALU_DEP_1) | instskip(NEXT) | instid1(SALU_CYCLE_1)
	s_or_b32 s6, s6, s8
	s_or_b32 s6, s6, s7
	s_delay_alu instid0(SALU_CYCLE_1) | instskip(NEXT) | instid1(SALU_CYCLE_1)
	s_or_b32 s6, s1, s6
	s_xor_b32 s6, s6, -1
	s_delay_alu instid0(SALU_CYCLE_1) | instskip(NEXT) | instid1(SALU_CYCLE_1)
	s_and_saveexec_b32 s8, s6
	s_xor_b32 s8, exec_lo, s8
	s_cbranch_execz .LBB44_16
; %bb.15:                               ;   in Loop: Header=BB44_6 Depth=2
	v_add_co_u32 v39, s6, v24, s18
	s_delay_alu instid0(VALU_DEP_1)
	v_add_co_ci_u32_e64 v40, s6, s19, v25, s6
	global_load_b64 v[39:40], v[39:40], off
	s_waitcnt vmcnt(0)
	ds_store_b64 v34, v[39:40] offset:128
.LBB44_16:                              ;   in Loop: Header=BB44_6 Depth=2
	s_and_not1_saveexec_b32 s6, s8
	s_cbranch_execz .LBB44_22
; %bb.17:                               ;   in Loop: Header=BB44_6 Depth=2
	s_xor_b32 s7, s7, -1
	s_delay_alu instid0(SALU_CYCLE_1) | instskip(NEXT) | instid1(SALU_CYCLE_1)
	s_and_saveexec_b32 s8, s7
	s_xor_b32 s7, exec_lo, s8
	s_cbranch_execz .LBB44_19
; %bb.18:                               ;   in Loop: Header=BB44_6 Depth=2
	v_mov_b32_e32 v39, v12
	v_mov_b32_e32 v40, v12
	ds_store_b64 v34, v[39:40] offset:128
.LBB44_19:                              ;   in Loop: Header=BB44_6 Depth=2
	s_and_not1_saveexec_b32 s7, s7
	s_cbranch_execz .LBB44_21
; %bb.20:                               ;   in Loop: Header=BB44_6 Depth=2
	ds_store_b64 v34, v[12:13] offset:128
.LBB44_21:                              ;   in Loop: Header=BB44_6 Depth=2
	s_or_b32 exec_lo, exec_lo, s7
.LBB44_22:                              ;   in Loop: Header=BB44_6 Depth=2
	s_delay_alu instid0(SALU_CYCLE_1) | instskip(SKIP_1) | instid1(VALU_DEP_1)
	s_or_b32 exec_lo, exec_lo, s6
	v_add_co_u32 v39, s6, v20, 16
	v_add_co_ci_u32_e64 v40, s6, 0, v21, s6
	s_delay_alu instid0(VALU_DEP_1) | instskip(SKIP_2) | instid1(VALU_DEP_2)
	v_cmp_le_i64_e64 s6, s[12:13], v[39:40]
	v_cmp_eq_u64_e64 s7, v[39:40], v[0:1]
	v_cmp_lt_i64_e64 s8, v[39:40], v[0:1]
	s_and_b32 s39, s30, s7
	s_delay_alu instid0(VALU_DEP_1) | instskip(NEXT) | instid1(SALU_CYCLE_1)
	s_or_b32 s7, s6, s8
	s_or_b32 s7, s7, s39
	s_delay_alu instid0(SALU_CYCLE_1) | instskip(NEXT) | instid1(SALU_CYCLE_1)
	s_or_b32 s7, s0, s7
	s_xor_b32 s7, s7, -1
	s_delay_alu instid0(SALU_CYCLE_1) | instskip(NEXT) | instid1(SALU_CYCLE_1)
	s_and_saveexec_b32 s8, s7
	s_xor_b32 s7, exec_lo, s8
	s_cbranch_execz .LBB44_24
; %bb.23:                               ;   in Loop: Header=BB44_6 Depth=2
	global_load_b64 v[39:40], v[24:25], off offset:128
	s_waitcnt vmcnt(0)
	ds_store_b64 v34, v[39:40] offset:4096
.LBB44_24:                              ;   in Loop: Header=BB44_6 Depth=2
	s_and_not1_saveexec_b32 s7, s7
	s_cbranch_execz .LBB44_30
; %bb.25:                               ;   in Loop: Header=BB44_6 Depth=2
	s_xor_b32 s8, s39, -1
	s_delay_alu instid0(SALU_CYCLE_1) | instskip(NEXT) | instid1(SALU_CYCLE_1)
	s_and_saveexec_b32 s39, s8
	s_xor_b32 s8, exec_lo, s39
	s_cbranch_execz .LBB44_27
; %bb.26:                               ;   in Loop: Header=BB44_6 Depth=2
	v_mov_b32_e32 v39, v12
	v_mov_b32_e32 v40, v12
	ds_store_b64 v34, v[39:40] offset:4096
.LBB44_27:                              ;   in Loop: Header=BB44_6 Depth=2
	s_and_not1_saveexec_b32 s8, s8
	s_cbranch_execz .LBB44_29
; %bb.28:                               ;   in Loop: Header=BB44_6 Depth=2
	ds_store_b64 v34, v[12:13] offset:4096
.LBB44_29:                              ;   in Loop: Header=BB44_6 Depth=2
	s_or_b32 exec_lo, exec_lo, s8
.LBB44_30:                              ;   in Loop: Header=BB44_6 Depth=2
	s_delay_alu instid0(SALU_CYCLE_1) | instskip(SKIP_1) | instid1(SALU_CYCLE_1)
	s_or_b32 exec_lo, exec_lo, s7
	s_or_b32 s5, s6, s5
	s_or_b32 s5, s5, s38
	s_delay_alu instid0(SALU_CYCLE_1) | instskip(NEXT) | instid1(SALU_CYCLE_1)
	s_or_b32 s5, s1, s5
	s_xor_b32 s5, s5, -1
	s_delay_alu instid0(SALU_CYCLE_1) | instskip(NEXT) | instid1(SALU_CYCLE_1)
	s_and_saveexec_b32 s6, s5
	s_xor_b32 s6, exec_lo, s6
	s_cbranch_execz .LBB44_32
; %bb.31:                               ;   in Loop: Header=BB44_6 Depth=2
	v_add_co_u32 v39, s5, v24, s24
	s_delay_alu instid0(VALU_DEP_1)
	v_add_co_ci_u32_e64 v40, s5, s25, v25, s5
	global_load_b64 v[39:40], v[39:40], off offset:128
	s_waitcnt vmcnt(0)
	ds_store_b64 v34, v[39:40] offset:4224
.LBB44_32:                              ;   in Loop: Header=BB44_6 Depth=2
	s_and_not1_saveexec_b32 s5, s6
	s_cbranch_execz .LBB44_38
; %bb.33:                               ;   in Loop: Header=BB44_6 Depth=2
	s_and_saveexec_b32 s6, s33
	s_delay_alu instid0(SALU_CYCLE_1)
	s_xor_b32 s6, exec_lo, s6
	s_cbranch_execz .LBB44_35
; %bb.34:                               ;   in Loop: Header=BB44_6 Depth=2
	v_mov_b32_e32 v39, v12
	v_mov_b32_e32 v40, v12
	ds_store_b64 v34, v[39:40] offset:4224
.LBB44_35:                              ;   in Loop: Header=BB44_6 Depth=2
	s_and_not1_saveexec_b32 s6, s6
	s_cbranch_execz .LBB44_37
; %bb.36:                               ;   in Loop: Header=BB44_6 Depth=2
	ds_store_b64 v34, v[12:13] offset:4224
.LBB44_37:                              ;   in Loop: Header=BB44_6 Depth=2
	s_or_b32 exec_lo, exec_lo, s6
.LBB44_38:                              ;   in Loop: Header=BB44_6 Depth=2
	s_delay_alu instid0(SALU_CYCLE_1) | instskip(SKIP_1) | instid1(VALU_DEP_1)
	s_or_b32 exec_lo, exec_lo, s5
	v_cmp_gt_i64_e64 s6, s[12:13], v[22:23]
	s_and_b32 s5, vcc_lo, s6
	s_delay_alu instid0(SALU_CYCLE_1) | instskip(NEXT) | instid1(SALU_CYCLE_1)
	s_xor_b32 s5, s5, -1
	s_and_saveexec_b32 s7, s5
	s_delay_alu instid0(SALU_CYCLE_1)
	s_xor_b32 s5, exec_lo, s7
	s_cbranch_execz .LBB44_40
; %bb.39:                               ;   in Loop: Header=BB44_6 Depth=2
	v_mov_b32_e32 v39, v12
	v_mov_b32_e32 v40, v12
	ds_store_b64 v36, v[39:40]
.LBB44_40:                              ;   in Loop: Header=BB44_6 Depth=2
	s_and_not1_saveexec_b32 s5, s5
	s_cbranch_execz .LBB44_42
; %bb.41:                               ;   in Loop: Header=BB44_6 Depth=2
	global_load_b64 v[39:40], v[16:17], off
	s_waitcnt vmcnt(0)
	ds_store_b64 v36, v[39:40]
.LBB44_42:                              ;   in Loop: Header=BB44_6 Depth=2
	s_or_b32 exec_lo, exec_lo, s5
	v_cmp_gt_i64_e64 s5, s[20:21], v[22:23]
	s_delay_alu instid0(VALU_DEP_1) | instskip(NEXT) | instid1(SALU_CYCLE_1)
	s_and_b32 s7, vcc_lo, s5
	s_xor_b32 s7, s7, -1
	s_delay_alu instid0(SALU_CYCLE_1) | instskip(NEXT) | instid1(SALU_CYCLE_1)
	s_and_saveexec_b32 s8, s7
	s_xor_b32 s7, exec_lo, s8
	s_cbranch_execz .LBB44_44
; %bb.43:                               ;   in Loop: Header=BB44_6 Depth=2
	v_mov_b32_e32 v39, v12
	v_mov_b32_e32 v40, v12
	ds_store_b64 v36, v[39:40] offset:128
.LBB44_44:                              ;   in Loop: Header=BB44_6 Depth=2
	s_and_not1_saveexec_b32 s7, s7
	s_cbranch_execz .LBB44_46
; %bb.45:                               ;   in Loop: Header=BB44_6 Depth=2
	global_load_b64 v[39:40], v[16:17], off offset:128
	s_waitcnt vmcnt(0)
	ds_store_b64 v36, v[39:40] offset:128
.LBB44_46:                              ;   in Loop: Header=BB44_6 Depth=2
	s_or_b32 exec_lo, exec_lo, s7
	s_and_b32 s6, s4, s6
	s_delay_alu instid0(SALU_CYCLE_1) | instskip(NEXT) | instid1(SALU_CYCLE_1)
	s_xor_b32 s6, s6, -1
	s_and_saveexec_b32 s7, s6
	s_delay_alu instid0(SALU_CYCLE_1)
	s_xor_b32 s6, exec_lo, s7
	s_cbranch_execz .LBB44_48
; %bb.47:                               ;   in Loop: Header=BB44_6 Depth=2
	v_mov_b32_e32 v39, v12
	v_mov_b32_e32 v40, v12
	ds_store_b64 v36, v[39:40] offset:4096
.LBB44_48:                              ;   in Loop: Header=BB44_6 Depth=2
	s_and_not1_saveexec_b32 s7, s6
	s_cbranch_execz .LBB44_50
; %bb.49:                               ;   in Loop: Header=BB44_6 Depth=2
	s_lshl_b64 s[38:39], s[22:23], 3
	s_delay_alu instid0(SALU_CYCLE_1) | instskip(NEXT) | instid1(VALU_DEP_1)
	v_add_co_u32 v39, s6, v16, s38
	v_add_co_ci_u32_e64 v40, s6, s39, v17, s6
	global_load_b64 v[39:40], v[39:40], off
	s_waitcnt vmcnt(0)
	ds_store_b64 v36, v[39:40] offset:4096
.LBB44_50:                              ;   in Loop: Header=BB44_6 Depth=2
	s_or_b32 exec_lo, exec_lo, s7
	s_and_b32 s5, s4, s5
	s_delay_alu instid0(SALU_CYCLE_1) | instskip(NEXT) | instid1(SALU_CYCLE_1)
	s_xor_b32 s5, s5, -1
	s_and_saveexec_b32 s6, s5
	s_delay_alu instid0(SALU_CYCLE_1)
	s_xor_b32 s5, exec_lo, s6
	s_cbranch_execz .LBB44_52
; %bb.51:                               ;   in Loop: Header=BB44_6 Depth=2
	v_mov_b32_e32 v39, v12
	v_mov_b32_e32 v40, v12
	ds_store_b64 v36, v[39:40] offset:4224
.LBB44_52:                              ;   in Loop: Header=BB44_6 Depth=2
	s_and_not1_saveexec_b32 s6, s5
	s_cbranch_execz .LBB44_54
; %bb.53:                               ;   in Loop: Header=BB44_6 Depth=2
	s_lshl_b64 s[38:39], s[22:23], 3
	s_delay_alu instid0(SALU_CYCLE_1) | instskip(NEXT) | instid1(VALU_DEP_1)
	v_add_co_u32 v39, s5, v16, s38
	v_add_co_ci_u32_e64 v40, s5, s39, v17, s5
	global_load_b64 v[39:40], v[39:40], off offset:128
	s_waitcnt vmcnt(0)
	ds_store_b64 v36, v[39:40] offset:4224
.LBB44_54:                              ;   in Loop: Header=BB44_6 Depth=2
	s_or_b32 exec_lo, exec_lo, s6
	v_mov_b32_e32 v39, v31
	s_mov_b32 s5, 0
	s_waitcnt lgkmcnt(0)
	s_waitcnt_vscnt null, 0x0
	s_barrier
	buffer_gl0_inv
.LBB44_55:                              ;   Parent Loop BB44_4 Depth=1
                                        ;     Parent Loop BB44_6 Depth=2
                                        ; =>    This Inner Loop Header: Depth=3
	v_add_nc_u32_e32 v62, s5, v35
	s_add_i32 s5, s5, 64
	ds_load_2addr_b64 v[40:43], v39 offset1:16
	ds_load_b128 v[44:47], v62
	ds_load_b128 v[48:51], v62 offset:4096
	ds_load_b128 v[52:55], v62 offset:16
	;; [unrolled: 1-line block ×3, first 2 shown]
	s_cmpk_lg_i32 s5, 0x100
	s_waitcnt lgkmcnt(3)
	v_fma_f64 v[60:61], v[40:41], v[44:45], v[28:29]
	v_fma_f64 v[44:45], v[42:43], v[44:45], v[26:27]
	s_waitcnt lgkmcnt(2)
	v_fma_f64 v[18:19], v[40:41], v[48:49], v[18:19]
	v_fma_f64 v[14:15], v[42:43], v[48:49], v[14:15]
	ds_load_2addr_b64 v[26:29], v39 offset0:32 offset1:48
	s_waitcnt lgkmcnt(0)
	v_fma_f64 v[40:41], v[26:27], v[46:47], v[60:61]
	v_fma_f64 v[42:43], v[28:29], v[46:47], v[44:45]
	v_fma_f64 v[18:19], v[26:27], v[50:51], v[18:19]
	v_fma_f64 v[14:15], v[28:29], v[50:51], v[14:15]
	ds_load_2addr_b64 v[26:29], v39 offset0:64 offset1:80
	s_waitcnt lgkmcnt(0)
	v_fma_f64 v[40:41], v[26:27], v[52:53], v[40:41]
	v_fma_f64 v[42:43], v[28:29], v[52:53], v[42:43]
	;; [unrolled: 6-line block ×3, first 2 shown]
	v_fma_f64 v[18:19], v[26:27], v[58:59], v[18:19]
	v_fma_f64 v[14:15], v[28:29], v[58:59], v[14:15]
	ds_load_2addr_b64 v[26:29], v39 offset0:128 offset1:144
	ds_load_b128 v[40:43], v62 offset:32
	ds_load_b128 v[44:47], v62 offset:4128
	;; [unrolled: 1-line block ×4, first 2 shown]
	s_waitcnt lgkmcnt(3)
	v_fma_f64 v[56:57], v[26:27], v[40:41], v[56:57]
	v_fma_f64 v[40:41], v[28:29], v[40:41], v[60:61]
	s_waitcnt lgkmcnt(2)
	v_fma_f64 v[18:19], v[26:27], v[44:45], v[18:19]
	v_fma_f64 v[14:15], v[28:29], v[44:45], v[14:15]
	ds_load_2addr_b64 v[26:29], v39 offset0:160 offset1:176
	s_waitcnt lgkmcnt(0)
	v_fma_f64 v[44:45], v[26:27], v[42:43], v[56:57]
	v_fma_f64 v[40:41], v[28:29], v[42:43], v[40:41]
	;; [unrolled: 1-line block ×4, first 2 shown]
	ds_load_2addr_b64 v[26:29], v39 offset0:192 offset1:208
	s_waitcnt lgkmcnt(0)
	v_fma_f64 v[44:45], v[26:27], v[48:49], v[44:45]
	v_fma_f64 v[46:47], v[28:29], v[48:49], v[40:41]
	v_fma_f64 v[18:19], v[26:27], v[52:53], v[18:19]
	v_fma_f64 v[14:15], v[28:29], v[52:53], v[14:15]
	ds_load_2addr_b64 v[40:43], v39 offset0:224 offset1:240
	v_add_nc_u32_e32 v39, 0x800, v39
	s_waitcnt lgkmcnt(0)
	v_fma_f64 v[28:29], v[40:41], v[50:51], v[44:45]
	v_fma_f64 v[26:27], v[42:43], v[50:51], v[46:47]
	;; [unrolled: 1-line block ×4, first 2 shown]
	s_cbranch_scc1 .LBB44_55
; %bb.56:                               ;   in Loop: Header=BB44_6 Depth=2
	v_add_co_u32 v24, s5, 0x100, v24
	s_delay_alu instid0(VALU_DEP_1) | instskip(SKIP_1) | instid1(VALU_DEP_1)
	v_add_co_ci_u32_e64 v25, s5, 0, v25, s5
	v_add_co_u32 v20, s5, v20, 32
	v_add_co_ci_u32_e64 v21, s5, 0, v21, s5
	v_add_co_u32 v16, s5, 0x100, v16
	s_delay_alu instid0(VALU_DEP_1) | instskip(SKIP_1) | instid1(VALU_DEP_1)
	v_add_co_ci_u32_e64 v17, s5, 0, v17, s5
	v_add_co_u32 v22, s5, v22, 32
	v_add_co_ci_u32_e64 v23, s5, 0, v23, s5
	s_add_i32 s9, s9, 32
	s_delay_alu instid0(SALU_CYCLE_1)
	s_cmp_ge_i32 s9, s28
	s_barrier
	buffer_gl0_inv
	s_cbranch_scc0 .LBB44_6
.LBB44_57:                              ;   in Loop: Header=BB44_4 Depth=1
	v_mul_lo_u32 v20, v38, s16
	v_mul_lo_u32 v21, v37, s17
	v_mad_u64_u32 v[16:17], null, v37, s16, 0
	v_cmp_gt_i32_e32 vcc_lo, s10, v37
	s_delay_alu instid0(VALU_DEP_2) | instskip(NEXT) | instid1(VALU_DEP_1)
	v_add3_u32 v17, v17, v21, v20
	v_lshlrev_b64 v[16:17], 3, v[16:17]
	s_delay_alu instid0(VALU_DEP_1) | instskip(NEXT) | instid1(VALU_DEP_1)
	v_add_co_u32 v16, s4, s15, v16
	v_add_co_ci_u32_e64 v17, s4, s27, v17, s4
	s_and_b32 s4, s2, vcc_lo
	s_delay_alu instid0(SALU_CYCLE_1)
	s_and_saveexec_b32 s5, s4
	s_cbranch_execz .LBB44_59
; %bb.58:                               ;   in Loop: Header=BB44_4 Depth=1
	v_add_co_u32 v20, s4, v16, v4
	s_delay_alu instid0(VALU_DEP_1)
	v_add_co_ci_u32_e64 v21, s4, v17, v5, s4
	global_load_b64 v[22:23], v[20:21], off
	s_waitcnt vmcnt(0)
	v_fma_f64 v[22:23], s[34:35], v[28:29], v[22:23]
	global_store_b64 v[20:21], v[22:23], off
.LBB44_59:                              ;   in Loop: Header=BB44_4 Depth=1
	s_or_b32 exec_lo, exec_lo, s5
	s_and_b32 s5, s3, vcc_lo
	s_delay_alu instid0(SALU_CYCLE_1)
	s_and_saveexec_b32 s4, s5
	s_cbranch_execz .LBB44_61
; %bb.60:                               ;   in Loop: Header=BB44_4 Depth=1
	v_lshlrev_b64 v[20:21], 3, v[10:11]
	s_delay_alu instid0(VALU_DEP_1) | instskip(NEXT) | instid1(VALU_DEP_2)
	v_add_co_u32 v16, vcc_lo, v16, v20
	v_add_co_ci_u32_e32 v17, vcc_lo, v17, v21, vcc_lo
	global_load_b64 v[20:21], v[16:17], off
	s_waitcnt vmcnt(0)
	v_fma_f64 v[20:21], s[34:35], v[26:27], v[20:21]
	global_store_b64 v[16:17], v[20:21], off
.LBB44_61:                              ;   in Loop: Header=BB44_4 Depth=1
	s_or_b32 exec_lo, exec_lo, s4
	v_add_nc_u32_e32 v20, 16, v37
	s_delay_alu instid0(VALU_DEP_1) | instskip(SKIP_3) | instid1(VALU_DEP_4)
	v_ashrrev_i32_e32 v21, 31, v20
	v_mul_lo_u32 v22, v20, s17
	v_mad_u64_u32 v[16:17], null, v20, s16, 0
	v_cmp_gt_i32_e32 vcc_lo, s10, v20
	v_mul_lo_u32 v21, v21, s16
	s_delay_alu instid0(VALU_DEP_1) | instskip(NEXT) | instid1(VALU_DEP_1)
	v_add3_u32 v17, v17, v22, v21
	v_lshlrev_b64 v[16:17], 3, v[16:17]
	s_delay_alu instid0(VALU_DEP_1) | instskip(NEXT) | instid1(VALU_DEP_1)
	v_add_co_u32 v16, s4, s15, v16
	v_add_co_ci_u32_e64 v17, s4, s27, v17, s4
	s_and_b32 s4, s2, vcc_lo
	s_delay_alu instid0(SALU_CYCLE_1)
	s_and_saveexec_b32 s5, s4
	s_cbranch_execnz .LBB44_63
; %bb.62:                               ;   in Loop: Header=BB44_4 Depth=1
	s_or_b32 exec_lo, exec_lo, s5
	s_and_b32 s5, s3, vcc_lo
	s_delay_alu instid0(SALU_CYCLE_1)
	s_and_saveexec_b32 s4, s5
	s_cbranch_execz .LBB44_3
	s_branch .LBB44_64
.LBB44_63:                              ;   in Loop: Header=BB44_4 Depth=1
	v_add_co_u32 v20, s4, v16, v4
	s_delay_alu instid0(VALU_DEP_1)
	v_add_co_ci_u32_e64 v21, s4, v17, v5, s4
	global_load_b64 v[22:23], v[20:21], off
	s_waitcnt vmcnt(0)
	v_fma_f64 v[18:19], s[34:35], v[18:19], v[22:23]
	global_store_b64 v[20:21], v[18:19], off
	s_or_b32 exec_lo, exec_lo, s5
	s_and_b32 s5, s3, vcc_lo
	s_delay_alu instid0(SALU_CYCLE_1)
	s_and_saveexec_b32 s4, s5
	s_cbranch_execz .LBB44_3
.LBB44_64:                              ;   in Loop: Header=BB44_4 Depth=1
	v_lshlrev_b64 v[18:19], 3, v[10:11]
	s_delay_alu instid0(VALU_DEP_1) | instskip(NEXT) | instid1(VALU_DEP_2)
	v_add_co_u32 v16, vcc_lo, v16, v18
	v_add_co_ci_u32_e32 v17, vcc_lo, v17, v19, vcc_lo
	global_load_b64 v[18:19], v[16:17], off
	s_waitcnt vmcnt(0)
	v_fma_f64 v[14:15], s[34:35], v[14:15], v[18:19]
	global_store_b64 v[16:17], v[14:15], off
	s_branch .LBB44_3
.LBB44_65:
	s_nop 0
	s_sendmsg sendmsg(MSG_DEALLOC_VGPRS)
	s_endpgm
	.section	.rodata,"a",@progbits
	.p2align	6, 0x0
	.amdhsa_kernel _ZL30rocblas_trmm_outofplace_kernelIdLi32ELi2ELb1ELb0ELb1ELb1EPKdS0_dEv17rocblas_diagonal_iiT6_lPT7_lllS5_lllPT8_llli
		.amdhsa_group_segment_fixed_size 16384
		.amdhsa_private_segment_fixed_size 0
		.amdhsa_kernarg_size 392
		.amdhsa_user_sgpr_count 13
		.amdhsa_user_sgpr_dispatch_ptr 0
		.amdhsa_user_sgpr_queue_ptr 0
		.amdhsa_user_sgpr_kernarg_segment_ptr 1
		.amdhsa_user_sgpr_dispatch_id 0
		.amdhsa_user_sgpr_private_segment_size 0
		.amdhsa_wavefront_size32 1
		.amdhsa_uses_dynamic_stack 0
		.amdhsa_enable_private_segment 0
		.amdhsa_system_sgpr_workgroup_id_x 1
		.amdhsa_system_sgpr_workgroup_id_y 1
		.amdhsa_system_sgpr_workgroup_id_z 1
		.amdhsa_system_sgpr_workgroup_info 0
		.amdhsa_system_vgpr_workitem_id 1
		.amdhsa_next_free_vgpr 63
		.amdhsa_next_free_sgpr 44
		.amdhsa_reserve_vcc 1
		.amdhsa_float_round_mode_32 0
		.amdhsa_float_round_mode_16_64 0
		.amdhsa_float_denorm_mode_32 3
		.amdhsa_float_denorm_mode_16_64 3
		.amdhsa_dx10_clamp 1
		.amdhsa_ieee_mode 1
		.amdhsa_fp16_overflow 0
		.amdhsa_workgroup_processor_mode 1
		.amdhsa_memory_ordered 1
		.amdhsa_forward_progress 0
		.amdhsa_shared_vgpr_count 0
		.amdhsa_exception_fp_ieee_invalid_op 0
		.amdhsa_exception_fp_denorm_src 0
		.amdhsa_exception_fp_ieee_div_zero 0
		.amdhsa_exception_fp_ieee_overflow 0
		.amdhsa_exception_fp_ieee_underflow 0
		.amdhsa_exception_fp_ieee_inexact 0
		.amdhsa_exception_int_div_zero 0
	.end_amdhsa_kernel
	.section	.text._ZL30rocblas_trmm_outofplace_kernelIdLi32ELi2ELb1ELb0ELb1ELb1EPKdS0_dEv17rocblas_diagonal_iiT6_lPT7_lllS5_lllPT8_llli,"axG",@progbits,_ZL30rocblas_trmm_outofplace_kernelIdLi32ELi2ELb1ELb0ELb1ELb1EPKdS0_dEv17rocblas_diagonal_iiT6_lPT7_lllS5_lllPT8_llli,comdat
.Lfunc_end44:
	.size	_ZL30rocblas_trmm_outofplace_kernelIdLi32ELi2ELb1ELb0ELb1ELb1EPKdS0_dEv17rocblas_diagonal_iiT6_lPT7_lllS5_lllPT8_llli, .Lfunc_end44-_ZL30rocblas_trmm_outofplace_kernelIdLi32ELi2ELb1ELb0ELb1ELb1EPKdS0_dEv17rocblas_diagonal_iiT6_lPT7_lllS5_lllPT8_llli
                                        ; -- End function
	.section	.AMDGPU.csdata,"",@progbits
; Kernel info:
; codeLenInByte = 2888
; NumSgprs: 46
; NumVgprs: 63
; ScratchSize: 0
; MemoryBound: 1
; FloatMode: 240
; IeeeMode: 1
; LDSByteSize: 16384 bytes/workgroup (compile time only)
; SGPRBlocks: 5
; VGPRBlocks: 7
; NumSGPRsForWavesPerEU: 46
; NumVGPRsForWavesPerEU: 63
; Occupancy: 16
; WaveLimiterHint : 0
; COMPUTE_PGM_RSRC2:SCRATCH_EN: 0
; COMPUTE_PGM_RSRC2:USER_SGPR: 13
; COMPUTE_PGM_RSRC2:TRAP_HANDLER: 0
; COMPUTE_PGM_RSRC2:TGID_X_EN: 1
; COMPUTE_PGM_RSRC2:TGID_Y_EN: 1
; COMPUTE_PGM_RSRC2:TGID_Z_EN: 1
; COMPUTE_PGM_RSRC2:TIDIG_COMP_CNT: 1
	.section	.text._ZL30rocblas_trmm_outofplace_kernelIdLi32ELi2ELb1ELb0ELb1ELb1EdKddEv17rocblas_diagonal_iiT6_lPT7_lllS4_lllPT8_llli,"axG",@progbits,_ZL30rocblas_trmm_outofplace_kernelIdLi32ELi2ELb1ELb0ELb1ELb1EdKddEv17rocblas_diagonal_iiT6_lPT7_lllS4_lllPT8_llli,comdat
	.globl	_ZL30rocblas_trmm_outofplace_kernelIdLi32ELi2ELb1ELb0ELb1ELb1EdKddEv17rocblas_diagonal_iiT6_lPT7_lllS4_lllPT8_llli ; -- Begin function _ZL30rocblas_trmm_outofplace_kernelIdLi32ELi2ELb1ELb0ELb1ELb1EdKddEv17rocblas_diagonal_iiT6_lPT7_lllS4_lllPT8_llli
	.p2align	8
	.type	_ZL30rocblas_trmm_outofplace_kernelIdLi32ELi2ELb1ELb0ELb1ELb1EdKddEv17rocblas_diagonal_iiT6_lPT7_lllS4_lllPT8_llli,@function
_ZL30rocblas_trmm_outofplace_kernelIdLi32ELi2ELb1ELb0ELb1ELb1EdKddEv17rocblas_diagonal_iiT6_lPT7_lllS4_lllPT8_llli: ; @_ZL30rocblas_trmm_outofplace_kernelIdLi32ELi2ELb1ELb0ELb1ELb1EdKddEv17rocblas_diagonal_iiT6_lPT7_lllS4_lllPT8_llli
; %bb.0:
	s_load_b64 s[34:35], s[0:1], 0x10
	s_waitcnt lgkmcnt(0)
	v_cmp_eq_f64_e64 s2, s[34:35], 0
	s_delay_alu instid0(VALU_DEP_1)
	s_and_b32 vcc_lo, exec_lo, s2
	s_cbranch_vccnz .LBB45_65
; %bb.1:
	s_load_b128 s[8:11], s[0:1], 0x0
	s_waitcnt lgkmcnt(0)
	s_add_i32 s2, s10, -1
	s_delay_alu instid0(SALU_CYCLE_1) | instskip(NEXT) | instid1(SALU_CYCLE_1)
	s_ashr_i32 s3, s2, 31
	s_lshr_b32 s3, s3, 27
	s_delay_alu instid0(SALU_CYCLE_1) | instskip(NEXT) | instid1(SALU_CYCLE_1)
	s_add_i32 s2, s2, s3
	s_ashr_i32 s11, s2, 5
	s_delay_alu instid0(SALU_CYCLE_1)
	s_cmp_gt_i32 s14, s11
	s_cbranch_scc1 .LBB45_65
; %bb.2:
	s_clause 0x1
	s_load_b512 s[16:31], s[0:1], 0x20
	s_load_b256 s[36:43], s[0:1], 0x60
	v_and_b32_e32 v1, 0x3ff, v0
	v_bfe_u32 v30, v0, 10, 10
	s_mov_b32 s12, s9
	s_delay_alu instid0(VALU_DEP_2) | instskip(NEXT) | instid1(VALU_DEP_2)
	v_lshlrev_b32_e32 v31, 3, v1
	v_lshlrev_b32_e32 v0, 8, v30
	s_delay_alu instid0(VALU_DEP_1) | instskip(SKIP_1) | instid1(VALU_DEP_1)
	v_add_nc_u32_e32 v32, v0, v31
	v_add_nc_u32_e32 v33, 0x2000, v0
	;; [unrolled: 1-line block ×3, first 2 shown]
	s_waitcnt lgkmcnt(0)
	s_mul_i32 s3, s15, s23
	s_mul_hi_u32 s4, s15, s22
	s_mul_i32 s2, s15, s22
	s_add_i32 s3, s4, s3
	s_mul_i32 s5, s15, s31
	s_lshl_b64 s[2:3], s[2:3], 3
	s_mul_hi_u32 s6, s15, s30
	s_add_u32 s7, s16, s2
	s_addc_u32 s16, s17, s3
	s_lshl_b64 s[2:3], s[18:19], 3
	s_mul_i32 s4, s15, s30
	s_add_u32 s7, s7, s2
	s_addc_u32 s19, s16, s3
	s_add_i32 s5, s6, s5
	s_mul_i32 s6, s15, s43
	s_lshl_b64 s[2:3], s[4:5], 3
	s_mul_hi_u32 s5, s15, s42
	s_add_u32 s16, s24, s2
	s_addc_u32 s17, s25, s3
	s_lshl_b64 s[2:3], s[26:27], 3
	s_mul_i32 s4, s15, s42
	s_add_u32 s22, s16, s2
	s_addc_u32 s23, s17, s3
	s_add_i32 s5, s5, s6
	s_load_b32 s15, s[0:1], 0x8c
	s_lshl_b64 s[2:3], s[4:5], 3
	s_delay_alu instid0(SALU_CYCLE_1) | instskip(SKIP_2) | instid1(SALU_CYCLE_1)
	s_add_u32 s2, s36, s2
	s_addc_u32 s3, s37, s3
	s_lshl_b64 s[0:1], s[38:39], 3
	s_add_u32 s24, s2, s0
	s_addc_u32 s25, s3, s1
	s_lshl_b32 s0, s13, 5
	s_delay_alu instid0(SALU_CYCLE_1) | instskip(SKIP_2) | instid1(SALU_CYCLE_1)
	v_add_nc_u32_e32 v2, s0, v1
	v_add_nc_u32_e32 v0, s0, v30
	s_sub_i32 s26, s9, s0
	s_cmp_gt_i32 s26, 0
	s_delay_alu instid0(VALU_DEP_2) | instskip(SKIP_3) | instid1(VALU_DEP_4)
	v_ashrrev_i32_e32 v3, 31, v2
	v_mul_lo_u32 v5, v2, s21
	v_mad_u64_u32 v[8:9], null, v2, s20, 0
	v_ashrrev_i32_e32 v1, 31, v0
	v_mul_lo_u32 v6, v3, s20
	s_cselect_b32 s27, -1, 0
	s_cmpk_eq_i32 s8, 0x84
	v_add_nc_u32_e32 v4, 16, v2
	v_lshlrev_b64 v[12:13], 3, v[0:1]
	s_cselect_b32 s30, -1, 0
	s_ashr_i32 s13, s9, 31
	v_cmp_le_i32_e64 s0, s9, v2
	v_add3_u32 v9, v9, v5, v6
	v_add_co_u32 v6, vcc_lo, v2, 16
	v_add_co_ci_u32_e32 v7, vcc_lo, 0, v3, vcc_lo
	s_delay_alu instid0(VALU_DEP_3) | instskip(SKIP_2) | instid1(VALU_DEP_4)
	v_lshlrev_b64 v[10:11], 3, v[8:9]
	v_lshlrev_b64 v[8:9], 3, v[2:3]
	v_cmp_gt_i32_e64 s2, s9, v2
	v_cmp_le_i64_e64 s1, s[12:13], v[6:7]
	v_cmp_gt_i32_e64 s3, s9, v4
	s_ashr_i32 s31, s10, 31
	v_add_co_u32 v5, vcc_lo, s7, v10
	v_add_co_ci_u32_e32 v11, vcc_lo, s19, v11, vcc_lo
	v_add_co_u32 v35, vcc_lo, s22, v8
	v_add_co_ci_u32_e32 v36, vcc_lo, s23, v9, vcc_lo
	s_delay_alu instid0(VALU_DEP_4) | instskip(NEXT) | instid1(VALU_DEP_4)
	v_add_co_u32 v10, vcc_lo, v5, v12
	v_add_co_ci_u32_e32 v11, vcc_lo, v11, v13, vcc_lo
	v_mov_b32_e32 v13, 0x3ff00000
	v_ashrrev_i32_e32 v5, 31, v4
	v_mov_b32_e32 v12, 0
	s_lshl_b64 s[16:17], s[20:21], 7
	s_lshl_b64 s[4:5], s[20:21], 4
	s_add_u32 s18, s9, -16
	s_addc_u32 s19, s13, -1
	s_lshl_b64 s[20:21], s[28:29], 4
	s_lshl_b64 s[22:23], s[4:5], 3
	s_branch .LBB45_4
.LBB45_3:                               ;   in Loop: Header=BB45_4 Depth=1
	s_or_b32 exec_lo, exec_lo, s4
	s_waitcnt lgkmcnt(0)
	s_add_i32 s14, s15, s14
	s_delay_alu instid0(SALU_CYCLE_1)
	s_cmp_le_i32 s14, s11
	s_cbranch_scc0 .LBB45_65
.LBB45_4:                               ; =>This Loop Header: Depth=1
                                        ;     Child Loop BB45_6 Depth 2
                                        ;       Child Loop BB45_55 Depth 3
	v_mov_b32_e32 v28, 0
	v_mov_b32_e32 v29, 0
	v_lshl_add_u32 v37, s14, 5, v30
	s_delay_alu instid0(VALU_DEP_3) | instskip(SKIP_1) | instid1(VALU_DEP_4)
	v_mov_b32_e32 v26, v28
	v_mov_b32_e32 v18, v28
	v_dual_mov_b32 v14, v28 :: v_dual_mov_b32 v15, v29
	s_delay_alu instid0(VALU_DEP_4)
	v_ashrrev_i32_e32 v38, 31, v37
	v_mov_b32_e32 v27, v29
	v_mov_b32_e32 v19, v29
	s_and_not1_b32 vcc_lo, exec_lo, s27
	s_cbranch_vccnz .LBB45_57
; %bb.5:                                ;   in Loop: Header=BB45_4 Depth=1
	v_mul_lo_u32 v14, v38, s28
	v_mul_lo_u32 v15, v37, s29
	v_mad_u64_u32 v[16:17], null, v37, s28, 0
	v_sub_co_u32 v18, vcc_lo, s10, v37
	v_sub_co_ci_u32_e32 v19, vcc_lo, s31, v38, vcc_lo
	v_dual_mov_b32 v21, v1 :: v_dual_mov_b32 v20, v0
	s_delay_alu instid0(VALU_DEP_4)
	v_add3_u32 v17, v17, v15, v14
	v_mov_b32_e32 v14, 0
	v_mov_b32_e32 v15, 0
	v_cmp_lt_i64_e32 vcc_lo, 0, v[18:19]
	v_cmp_lt_i64_e64 s4, 16, v[18:19]
	v_lshlrev_b64 v[16:17], 3, v[16:17]
	v_dual_mov_b32 v23, v3 :: v_dual_mov_b32 v22, v2
	v_dual_mov_b32 v19, v15 :: v_dual_mov_b32 v18, v14
	;; [unrolled: 1-line block ×3, first 2 shown]
	s_delay_alu instid0(VALU_DEP_4)
	v_add_co_u32 v16, s5, v35, v16
	v_dual_mov_b32 v29, v15 :: v_dual_mov_b32 v28, v14
	v_add_co_ci_u32_e64 v17, s5, v36, v17, s5
	v_dual_mov_b32 v25, v11 :: v_dual_mov_b32 v24, v10
	s_mov_b32 s9, 0
.LBB45_6:                               ;   Parent Loop BB45_4 Depth=1
                                        ; =>  This Loop Header: Depth=2
                                        ;       Child Loop BB45_55 Depth 3
	v_cmp_le_i64_e64 s6, s[12:13], v[20:21]
	v_cmp_eq_u64_e64 s7, v[20:21], v[2:3]
	v_cmp_lt_i64_e64 s5, v[20:21], v[2:3]
	s_delay_alu instid0(VALU_DEP_2) | instskip(NEXT) | instid1(VALU_DEP_1)
	s_and_b32 s36, s30, s7
	s_or_b32 s7, s6, s5
	s_delay_alu instid0(SALU_CYCLE_1) | instskip(NEXT) | instid1(SALU_CYCLE_1)
	s_or_b32 s7, s7, s36
	s_or_b32 s7, s0, s7
	s_delay_alu instid0(SALU_CYCLE_1) | instskip(NEXT) | instid1(SALU_CYCLE_1)
	s_xor_b32 s7, s7, -1
	s_and_saveexec_b32 s8, s7
	s_delay_alu instid0(SALU_CYCLE_1)
	s_xor_b32 s7, exec_lo, s8
	s_cbranch_execz .LBB45_8
; %bb.7:                                ;   in Loop: Header=BB45_6 Depth=2
	global_load_b64 v[39:40], v[24:25], off
	s_waitcnt vmcnt(0)
	ds_store_b64 v32, v[39:40]
.LBB45_8:                               ;   in Loop: Header=BB45_6 Depth=2
	s_or_saveexec_b32 s7, s7
	s_xor_b32 s33, s36, -1
	s_xor_b32 exec_lo, exec_lo, s7
	s_cbranch_execz .LBB45_14
; %bb.9:                                ;   in Loop: Header=BB45_6 Depth=2
	s_and_saveexec_b32 s8, s33
	s_delay_alu instid0(SALU_CYCLE_1)
	s_xor_b32 s8, exec_lo, s8
	s_cbranch_execz .LBB45_11
; %bb.10:                               ;   in Loop: Header=BB45_6 Depth=2
	v_mov_b32_e32 v39, v12
	v_mov_b32_e32 v40, v12
	ds_store_b64 v32, v[39:40]
.LBB45_11:                              ;   in Loop: Header=BB45_6 Depth=2
	s_and_not1_saveexec_b32 s8, s8
	s_cbranch_execz .LBB45_13
; %bb.12:                               ;   in Loop: Header=BB45_6 Depth=2
	ds_store_b64 v32, v[12:13]
.LBB45_13:                              ;   in Loop: Header=BB45_6 Depth=2
	s_or_b32 exec_lo, exec_lo, s8
.LBB45_14:                              ;   in Loop: Header=BB45_6 Depth=2
	s_delay_alu instid0(SALU_CYCLE_1) | instskip(SKIP_2) | instid1(VALU_DEP_2)
	s_or_b32 exec_lo, exec_lo, s7
	v_cmp_eq_u64_e64 s7, v[6:7], v[20:21]
	v_cmp_gt_i64_e64 s8, v[6:7], v[20:21]
	s_and_b32 s7, s30, s7
	s_delay_alu instid0(VALU_DEP_1) | instskip(NEXT) | instid1(SALU_CYCLE_1)
	s_or_b32 s6, s6, s8
	s_or_b32 s6, s6, s7
	s_delay_alu instid0(SALU_CYCLE_1) | instskip(NEXT) | instid1(SALU_CYCLE_1)
	s_or_b32 s6, s1, s6
	s_xor_b32 s6, s6, -1
	s_delay_alu instid0(SALU_CYCLE_1) | instskip(NEXT) | instid1(SALU_CYCLE_1)
	s_and_saveexec_b32 s8, s6
	s_xor_b32 s8, exec_lo, s8
	s_cbranch_execz .LBB45_16
; %bb.15:                               ;   in Loop: Header=BB45_6 Depth=2
	v_add_co_u32 v39, s6, v24, s16
	s_delay_alu instid0(VALU_DEP_1)
	v_add_co_ci_u32_e64 v40, s6, s17, v25, s6
	global_load_b64 v[39:40], v[39:40], off
	s_waitcnt vmcnt(0)
	ds_store_b64 v32, v[39:40] offset:128
.LBB45_16:                              ;   in Loop: Header=BB45_6 Depth=2
	s_and_not1_saveexec_b32 s6, s8
	s_cbranch_execz .LBB45_22
; %bb.17:                               ;   in Loop: Header=BB45_6 Depth=2
	s_xor_b32 s7, s7, -1
	s_delay_alu instid0(SALU_CYCLE_1) | instskip(NEXT) | instid1(SALU_CYCLE_1)
	s_and_saveexec_b32 s8, s7
	s_xor_b32 s7, exec_lo, s8
	s_cbranch_execz .LBB45_19
; %bb.18:                               ;   in Loop: Header=BB45_6 Depth=2
	v_mov_b32_e32 v39, v12
	v_mov_b32_e32 v40, v12
	ds_store_b64 v32, v[39:40] offset:128
.LBB45_19:                              ;   in Loop: Header=BB45_6 Depth=2
	s_and_not1_saveexec_b32 s7, s7
	s_cbranch_execz .LBB45_21
; %bb.20:                               ;   in Loop: Header=BB45_6 Depth=2
	ds_store_b64 v32, v[12:13] offset:128
.LBB45_21:                              ;   in Loop: Header=BB45_6 Depth=2
	s_or_b32 exec_lo, exec_lo, s7
.LBB45_22:                              ;   in Loop: Header=BB45_6 Depth=2
	s_delay_alu instid0(SALU_CYCLE_1) | instskip(SKIP_1) | instid1(VALU_DEP_1)
	s_or_b32 exec_lo, exec_lo, s6
	v_add_co_u32 v39, s6, v20, 16
	v_add_co_ci_u32_e64 v40, s6, 0, v21, s6
	s_delay_alu instid0(VALU_DEP_1) | instskip(SKIP_2) | instid1(VALU_DEP_2)
	v_cmp_le_i64_e64 s6, s[12:13], v[39:40]
	v_cmp_eq_u64_e64 s7, v[39:40], v[2:3]
	v_cmp_lt_i64_e64 s8, v[39:40], v[2:3]
	s_and_b32 s37, s30, s7
	s_delay_alu instid0(VALU_DEP_1) | instskip(NEXT) | instid1(SALU_CYCLE_1)
	s_or_b32 s7, s6, s8
	s_or_b32 s7, s7, s37
	s_delay_alu instid0(SALU_CYCLE_1) | instskip(NEXT) | instid1(SALU_CYCLE_1)
	s_or_b32 s7, s0, s7
	s_xor_b32 s7, s7, -1
	s_delay_alu instid0(SALU_CYCLE_1) | instskip(NEXT) | instid1(SALU_CYCLE_1)
	s_and_saveexec_b32 s8, s7
	s_xor_b32 s7, exec_lo, s8
	s_cbranch_execz .LBB45_24
; %bb.23:                               ;   in Loop: Header=BB45_6 Depth=2
	global_load_b64 v[39:40], v[24:25], off offset:128
	s_waitcnt vmcnt(0)
	ds_store_b64 v32, v[39:40] offset:4096
.LBB45_24:                              ;   in Loop: Header=BB45_6 Depth=2
	s_and_not1_saveexec_b32 s7, s7
	s_cbranch_execz .LBB45_30
; %bb.25:                               ;   in Loop: Header=BB45_6 Depth=2
	s_xor_b32 s8, s37, -1
	s_delay_alu instid0(SALU_CYCLE_1) | instskip(NEXT) | instid1(SALU_CYCLE_1)
	s_and_saveexec_b32 s37, s8
	s_xor_b32 s8, exec_lo, s37
	s_cbranch_execz .LBB45_27
; %bb.26:                               ;   in Loop: Header=BB45_6 Depth=2
	v_mov_b32_e32 v39, v12
	v_mov_b32_e32 v40, v12
	ds_store_b64 v32, v[39:40] offset:4096
.LBB45_27:                              ;   in Loop: Header=BB45_6 Depth=2
	s_and_not1_saveexec_b32 s8, s8
	s_cbranch_execz .LBB45_29
; %bb.28:                               ;   in Loop: Header=BB45_6 Depth=2
	ds_store_b64 v32, v[12:13] offset:4096
.LBB45_29:                              ;   in Loop: Header=BB45_6 Depth=2
	s_or_b32 exec_lo, exec_lo, s8
.LBB45_30:                              ;   in Loop: Header=BB45_6 Depth=2
	s_delay_alu instid0(SALU_CYCLE_1) | instskip(SKIP_1) | instid1(SALU_CYCLE_1)
	s_or_b32 exec_lo, exec_lo, s7
	s_or_b32 s5, s6, s5
	s_or_b32 s5, s5, s36
	s_delay_alu instid0(SALU_CYCLE_1) | instskip(NEXT) | instid1(SALU_CYCLE_1)
	s_or_b32 s5, s1, s5
	s_xor_b32 s5, s5, -1
	s_delay_alu instid0(SALU_CYCLE_1) | instskip(NEXT) | instid1(SALU_CYCLE_1)
	s_and_saveexec_b32 s6, s5
	s_xor_b32 s6, exec_lo, s6
	s_cbranch_execz .LBB45_32
; %bb.31:                               ;   in Loop: Header=BB45_6 Depth=2
	v_add_co_u32 v39, s5, v24, s22
	s_delay_alu instid0(VALU_DEP_1)
	v_add_co_ci_u32_e64 v40, s5, s23, v25, s5
	global_load_b64 v[39:40], v[39:40], off offset:128
	s_waitcnt vmcnt(0)
	ds_store_b64 v32, v[39:40] offset:4224
.LBB45_32:                              ;   in Loop: Header=BB45_6 Depth=2
	s_and_not1_saveexec_b32 s5, s6
	s_cbranch_execz .LBB45_38
; %bb.33:                               ;   in Loop: Header=BB45_6 Depth=2
	s_and_saveexec_b32 s6, s33
	s_delay_alu instid0(SALU_CYCLE_1)
	s_xor_b32 s6, exec_lo, s6
	s_cbranch_execz .LBB45_35
; %bb.34:                               ;   in Loop: Header=BB45_6 Depth=2
	v_mov_b32_e32 v39, v12
	v_mov_b32_e32 v40, v12
	ds_store_b64 v32, v[39:40] offset:4224
.LBB45_35:                              ;   in Loop: Header=BB45_6 Depth=2
	s_and_not1_saveexec_b32 s6, s6
	s_cbranch_execz .LBB45_37
; %bb.36:                               ;   in Loop: Header=BB45_6 Depth=2
	ds_store_b64 v32, v[12:13] offset:4224
.LBB45_37:                              ;   in Loop: Header=BB45_6 Depth=2
	s_or_b32 exec_lo, exec_lo, s6
.LBB45_38:                              ;   in Loop: Header=BB45_6 Depth=2
	s_delay_alu instid0(SALU_CYCLE_1) | instskip(SKIP_1) | instid1(VALU_DEP_1)
	s_or_b32 exec_lo, exec_lo, s5
	v_cmp_gt_i64_e64 s6, s[12:13], v[22:23]
	s_and_b32 s5, vcc_lo, s6
	s_delay_alu instid0(SALU_CYCLE_1) | instskip(NEXT) | instid1(SALU_CYCLE_1)
	s_xor_b32 s5, s5, -1
	s_and_saveexec_b32 s7, s5
	s_delay_alu instid0(SALU_CYCLE_1)
	s_xor_b32 s5, exec_lo, s7
	s_cbranch_execz .LBB45_40
; %bb.39:                               ;   in Loop: Header=BB45_6 Depth=2
	v_mov_b32_e32 v39, v12
	v_mov_b32_e32 v40, v12
	ds_store_b64 v34, v[39:40]
.LBB45_40:                              ;   in Loop: Header=BB45_6 Depth=2
	s_and_not1_saveexec_b32 s5, s5
	s_cbranch_execz .LBB45_42
; %bb.41:                               ;   in Loop: Header=BB45_6 Depth=2
	global_load_b64 v[39:40], v[16:17], off
	s_waitcnt vmcnt(0)
	ds_store_b64 v34, v[39:40]
.LBB45_42:                              ;   in Loop: Header=BB45_6 Depth=2
	s_or_b32 exec_lo, exec_lo, s5
	v_cmp_gt_i64_e64 s5, s[18:19], v[22:23]
	s_delay_alu instid0(VALU_DEP_1) | instskip(NEXT) | instid1(SALU_CYCLE_1)
	s_and_b32 s7, vcc_lo, s5
	s_xor_b32 s7, s7, -1
	s_delay_alu instid0(SALU_CYCLE_1) | instskip(NEXT) | instid1(SALU_CYCLE_1)
	s_and_saveexec_b32 s8, s7
	s_xor_b32 s7, exec_lo, s8
	s_cbranch_execz .LBB45_44
; %bb.43:                               ;   in Loop: Header=BB45_6 Depth=2
	v_mov_b32_e32 v39, v12
	v_mov_b32_e32 v40, v12
	ds_store_b64 v34, v[39:40] offset:128
.LBB45_44:                              ;   in Loop: Header=BB45_6 Depth=2
	s_and_not1_saveexec_b32 s7, s7
	s_cbranch_execz .LBB45_46
; %bb.45:                               ;   in Loop: Header=BB45_6 Depth=2
	global_load_b64 v[39:40], v[16:17], off offset:128
	s_waitcnt vmcnt(0)
	ds_store_b64 v34, v[39:40] offset:128
.LBB45_46:                              ;   in Loop: Header=BB45_6 Depth=2
	s_or_b32 exec_lo, exec_lo, s7
	s_and_b32 s6, s4, s6
	s_delay_alu instid0(SALU_CYCLE_1) | instskip(NEXT) | instid1(SALU_CYCLE_1)
	s_xor_b32 s6, s6, -1
	s_and_saveexec_b32 s7, s6
	s_delay_alu instid0(SALU_CYCLE_1)
	s_xor_b32 s6, exec_lo, s7
	s_cbranch_execz .LBB45_48
; %bb.47:                               ;   in Loop: Header=BB45_6 Depth=2
	v_mov_b32_e32 v39, v12
	v_mov_b32_e32 v40, v12
	ds_store_b64 v34, v[39:40] offset:4096
.LBB45_48:                              ;   in Loop: Header=BB45_6 Depth=2
	s_and_not1_saveexec_b32 s7, s6
	s_cbranch_execz .LBB45_50
; %bb.49:                               ;   in Loop: Header=BB45_6 Depth=2
	s_lshl_b64 s[36:37], s[20:21], 3
	s_delay_alu instid0(SALU_CYCLE_1) | instskip(NEXT) | instid1(VALU_DEP_1)
	v_add_co_u32 v39, s6, v16, s36
	v_add_co_ci_u32_e64 v40, s6, s37, v17, s6
	global_load_b64 v[39:40], v[39:40], off
	s_waitcnt vmcnt(0)
	ds_store_b64 v34, v[39:40] offset:4096
.LBB45_50:                              ;   in Loop: Header=BB45_6 Depth=2
	s_or_b32 exec_lo, exec_lo, s7
	s_and_b32 s5, s4, s5
	s_delay_alu instid0(SALU_CYCLE_1) | instskip(NEXT) | instid1(SALU_CYCLE_1)
	s_xor_b32 s5, s5, -1
	s_and_saveexec_b32 s6, s5
	s_delay_alu instid0(SALU_CYCLE_1)
	s_xor_b32 s5, exec_lo, s6
	s_cbranch_execz .LBB45_52
; %bb.51:                               ;   in Loop: Header=BB45_6 Depth=2
	v_mov_b32_e32 v39, v12
	v_mov_b32_e32 v40, v12
	ds_store_b64 v34, v[39:40] offset:4224
.LBB45_52:                              ;   in Loop: Header=BB45_6 Depth=2
	s_and_not1_saveexec_b32 s6, s5
	s_cbranch_execz .LBB45_54
; %bb.53:                               ;   in Loop: Header=BB45_6 Depth=2
	s_lshl_b64 s[36:37], s[20:21], 3
	s_delay_alu instid0(SALU_CYCLE_1) | instskip(NEXT) | instid1(VALU_DEP_1)
	v_add_co_u32 v39, s5, v16, s36
	v_add_co_ci_u32_e64 v40, s5, s37, v17, s5
	global_load_b64 v[39:40], v[39:40], off offset:128
	s_waitcnt vmcnt(0)
	ds_store_b64 v34, v[39:40] offset:4224
.LBB45_54:                              ;   in Loop: Header=BB45_6 Depth=2
	s_or_b32 exec_lo, exec_lo, s6
	v_mov_b32_e32 v39, v31
	s_mov_b32 s5, 0
	s_waitcnt lgkmcnt(0)
	s_waitcnt_vscnt null, 0x0
	s_barrier
	buffer_gl0_inv
.LBB45_55:                              ;   Parent Loop BB45_4 Depth=1
                                        ;     Parent Loop BB45_6 Depth=2
                                        ; =>    This Inner Loop Header: Depth=3
	v_add_nc_u32_e32 v62, s5, v33
	s_add_i32 s5, s5, 64
	ds_load_2addr_b64 v[40:43], v39 offset1:16
	ds_load_b128 v[44:47], v62
	ds_load_b128 v[48:51], v62 offset:4096
	ds_load_b128 v[52:55], v62 offset:16
	;; [unrolled: 1-line block ×3, first 2 shown]
	s_cmpk_lg_i32 s5, 0x100
	s_waitcnt lgkmcnt(3)
	v_fma_f64 v[60:61], v[40:41], v[44:45], v[28:29]
	v_fma_f64 v[44:45], v[42:43], v[44:45], v[26:27]
	s_waitcnt lgkmcnt(2)
	v_fma_f64 v[18:19], v[40:41], v[48:49], v[18:19]
	v_fma_f64 v[14:15], v[42:43], v[48:49], v[14:15]
	ds_load_2addr_b64 v[26:29], v39 offset0:32 offset1:48
	s_waitcnt lgkmcnt(0)
	v_fma_f64 v[40:41], v[26:27], v[46:47], v[60:61]
	v_fma_f64 v[42:43], v[28:29], v[46:47], v[44:45]
	v_fma_f64 v[18:19], v[26:27], v[50:51], v[18:19]
	v_fma_f64 v[14:15], v[28:29], v[50:51], v[14:15]
	ds_load_2addr_b64 v[26:29], v39 offset0:64 offset1:80
	s_waitcnt lgkmcnt(0)
	v_fma_f64 v[40:41], v[26:27], v[52:53], v[40:41]
	v_fma_f64 v[42:43], v[28:29], v[52:53], v[42:43]
	;; [unrolled: 6-line block ×3, first 2 shown]
	v_fma_f64 v[18:19], v[26:27], v[58:59], v[18:19]
	v_fma_f64 v[14:15], v[28:29], v[58:59], v[14:15]
	ds_load_2addr_b64 v[26:29], v39 offset0:128 offset1:144
	ds_load_b128 v[40:43], v62 offset:32
	ds_load_b128 v[44:47], v62 offset:4128
	;; [unrolled: 1-line block ×4, first 2 shown]
	s_waitcnt lgkmcnt(3)
	v_fma_f64 v[56:57], v[26:27], v[40:41], v[56:57]
	v_fma_f64 v[40:41], v[28:29], v[40:41], v[60:61]
	s_waitcnt lgkmcnt(2)
	v_fma_f64 v[18:19], v[26:27], v[44:45], v[18:19]
	v_fma_f64 v[14:15], v[28:29], v[44:45], v[14:15]
	ds_load_2addr_b64 v[26:29], v39 offset0:160 offset1:176
	s_waitcnt lgkmcnt(0)
	v_fma_f64 v[44:45], v[26:27], v[42:43], v[56:57]
	v_fma_f64 v[40:41], v[28:29], v[42:43], v[40:41]
	;; [unrolled: 1-line block ×4, first 2 shown]
	ds_load_2addr_b64 v[26:29], v39 offset0:192 offset1:208
	s_waitcnt lgkmcnt(0)
	v_fma_f64 v[44:45], v[26:27], v[48:49], v[44:45]
	v_fma_f64 v[46:47], v[28:29], v[48:49], v[40:41]
	;; [unrolled: 1-line block ×4, first 2 shown]
	ds_load_2addr_b64 v[40:43], v39 offset0:224 offset1:240
	v_add_nc_u32_e32 v39, 0x800, v39
	s_waitcnt lgkmcnt(0)
	v_fma_f64 v[28:29], v[40:41], v[50:51], v[44:45]
	v_fma_f64 v[26:27], v[42:43], v[50:51], v[46:47]
	;; [unrolled: 1-line block ×4, first 2 shown]
	s_cbranch_scc1 .LBB45_55
; %bb.56:                               ;   in Loop: Header=BB45_6 Depth=2
	v_add_co_u32 v24, s5, 0x100, v24
	s_delay_alu instid0(VALU_DEP_1) | instskip(SKIP_1) | instid1(VALU_DEP_1)
	v_add_co_ci_u32_e64 v25, s5, 0, v25, s5
	v_add_co_u32 v20, s5, v20, 32
	v_add_co_ci_u32_e64 v21, s5, 0, v21, s5
	v_add_co_u32 v16, s5, 0x100, v16
	s_delay_alu instid0(VALU_DEP_1) | instskip(SKIP_1) | instid1(VALU_DEP_1)
	v_add_co_ci_u32_e64 v17, s5, 0, v17, s5
	v_add_co_u32 v22, s5, v22, 32
	v_add_co_ci_u32_e64 v23, s5, 0, v23, s5
	s_add_i32 s9, s9, 32
	s_delay_alu instid0(SALU_CYCLE_1)
	s_cmp_ge_i32 s9, s26
	s_barrier
	buffer_gl0_inv
	s_cbranch_scc0 .LBB45_6
.LBB45_57:                              ;   in Loop: Header=BB45_4 Depth=1
	v_mul_lo_u32 v20, v38, s40
	v_mul_lo_u32 v21, v37, s41
	v_mad_u64_u32 v[16:17], null, v37, s40, 0
	v_cmp_gt_i32_e32 vcc_lo, s10, v37
	s_delay_alu instid0(VALU_DEP_2) | instskip(NEXT) | instid1(VALU_DEP_1)
	v_add3_u32 v17, v17, v21, v20
	v_lshlrev_b64 v[16:17], 3, v[16:17]
	s_delay_alu instid0(VALU_DEP_1) | instskip(NEXT) | instid1(VALU_DEP_1)
	v_add_co_u32 v16, s4, s24, v16
	v_add_co_ci_u32_e64 v17, s4, s25, v17, s4
	s_and_b32 s4, s2, vcc_lo
	s_delay_alu instid0(SALU_CYCLE_1)
	s_and_saveexec_b32 s5, s4
	s_cbranch_execz .LBB45_59
; %bb.58:                               ;   in Loop: Header=BB45_4 Depth=1
	v_add_co_u32 v20, s4, v16, v8
	s_delay_alu instid0(VALU_DEP_1)
	v_add_co_ci_u32_e64 v21, s4, v17, v9, s4
	global_load_b64 v[22:23], v[20:21], off
	s_waitcnt vmcnt(0)
	v_fma_f64 v[22:23], v[28:29], s[34:35], v[22:23]
	global_store_b64 v[20:21], v[22:23], off
.LBB45_59:                              ;   in Loop: Header=BB45_4 Depth=1
	s_or_b32 exec_lo, exec_lo, s5
	s_and_b32 s5, s3, vcc_lo
	s_delay_alu instid0(SALU_CYCLE_1)
	s_and_saveexec_b32 s4, s5
	s_cbranch_execz .LBB45_61
; %bb.60:                               ;   in Loop: Header=BB45_4 Depth=1
	v_lshlrev_b64 v[20:21], 3, v[4:5]
	s_delay_alu instid0(VALU_DEP_1) | instskip(NEXT) | instid1(VALU_DEP_2)
	v_add_co_u32 v16, vcc_lo, v16, v20
	v_add_co_ci_u32_e32 v17, vcc_lo, v17, v21, vcc_lo
	global_load_b64 v[20:21], v[16:17], off
	s_waitcnt vmcnt(0)
	v_fma_f64 v[20:21], v[26:27], s[34:35], v[20:21]
	global_store_b64 v[16:17], v[20:21], off
.LBB45_61:                              ;   in Loop: Header=BB45_4 Depth=1
	s_or_b32 exec_lo, exec_lo, s4
	v_add_nc_u32_e32 v20, 16, v37
	s_delay_alu instid0(VALU_DEP_1) | instskip(SKIP_3) | instid1(VALU_DEP_4)
	v_ashrrev_i32_e32 v21, 31, v20
	v_mul_lo_u32 v22, v20, s41
	v_mad_u64_u32 v[16:17], null, v20, s40, 0
	v_cmp_gt_i32_e32 vcc_lo, s10, v20
	v_mul_lo_u32 v21, v21, s40
	s_delay_alu instid0(VALU_DEP_1) | instskip(NEXT) | instid1(VALU_DEP_1)
	v_add3_u32 v17, v17, v22, v21
	v_lshlrev_b64 v[16:17], 3, v[16:17]
	s_delay_alu instid0(VALU_DEP_1) | instskip(NEXT) | instid1(VALU_DEP_1)
	v_add_co_u32 v16, s4, s24, v16
	v_add_co_ci_u32_e64 v17, s4, s25, v17, s4
	s_and_b32 s4, s2, vcc_lo
	s_delay_alu instid0(SALU_CYCLE_1)
	s_and_saveexec_b32 s5, s4
	s_cbranch_execnz .LBB45_63
; %bb.62:                               ;   in Loop: Header=BB45_4 Depth=1
	s_or_b32 exec_lo, exec_lo, s5
	s_and_b32 s5, s3, vcc_lo
	s_delay_alu instid0(SALU_CYCLE_1)
	s_and_saveexec_b32 s4, s5
	s_cbranch_execz .LBB45_3
	s_branch .LBB45_64
.LBB45_63:                              ;   in Loop: Header=BB45_4 Depth=1
	v_add_co_u32 v20, s4, v16, v8
	s_delay_alu instid0(VALU_DEP_1)
	v_add_co_ci_u32_e64 v21, s4, v17, v9, s4
	global_load_b64 v[22:23], v[20:21], off
	s_waitcnt vmcnt(0)
	v_fma_f64 v[18:19], v[18:19], s[34:35], v[22:23]
	global_store_b64 v[20:21], v[18:19], off
	s_or_b32 exec_lo, exec_lo, s5
	s_and_b32 s5, s3, vcc_lo
	s_delay_alu instid0(SALU_CYCLE_1)
	s_and_saveexec_b32 s4, s5
	s_cbranch_execz .LBB45_3
.LBB45_64:                              ;   in Loop: Header=BB45_4 Depth=1
	v_lshlrev_b64 v[18:19], 3, v[4:5]
	s_delay_alu instid0(VALU_DEP_1) | instskip(NEXT) | instid1(VALU_DEP_2)
	v_add_co_u32 v16, vcc_lo, v16, v18
	v_add_co_ci_u32_e32 v17, vcc_lo, v17, v19, vcc_lo
	global_load_b64 v[18:19], v[16:17], off
	s_waitcnt vmcnt(0)
	v_fma_f64 v[14:15], v[14:15], s[34:35], v[18:19]
	global_store_b64 v[16:17], v[14:15], off
	s_branch .LBB45_3
.LBB45_65:
	s_nop 0
	s_sendmsg sendmsg(MSG_DEALLOC_VGPRS)
	s_endpgm
	.section	.rodata,"a",@progbits
	.p2align	6, 0x0
	.amdhsa_kernel _ZL30rocblas_trmm_outofplace_kernelIdLi32ELi2ELb1ELb0ELb1ELb1EdKddEv17rocblas_diagonal_iiT6_lPT7_lllS4_lllPT8_llli
		.amdhsa_group_segment_fixed_size 16384
		.amdhsa_private_segment_fixed_size 0
		.amdhsa_kernarg_size 392
		.amdhsa_user_sgpr_count 13
		.amdhsa_user_sgpr_dispatch_ptr 0
		.amdhsa_user_sgpr_queue_ptr 0
		.amdhsa_user_sgpr_kernarg_segment_ptr 1
		.amdhsa_user_sgpr_dispatch_id 0
		.amdhsa_user_sgpr_private_segment_size 0
		.amdhsa_wavefront_size32 1
		.amdhsa_uses_dynamic_stack 0
		.amdhsa_enable_private_segment 0
		.amdhsa_system_sgpr_workgroup_id_x 1
		.amdhsa_system_sgpr_workgroup_id_y 1
		.amdhsa_system_sgpr_workgroup_id_z 1
		.amdhsa_system_sgpr_workgroup_info 0
		.amdhsa_system_vgpr_workitem_id 1
		.amdhsa_next_free_vgpr 63
		.amdhsa_next_free_sgpr 44
		.amdhsa_reserve_vcc 1
		.amdhsa_float_round_mode_32 0
		.amdhsa_float_round_mode_16_64 0
		.amdhsa_float_denorm_mode_32 3
		.amdhsa_float_denorm_mode_16_64 3
		.amdhsa_dx10_clamp 1
		.amdhsa_ieee_mode 1
		.amdhsa_fp16_overflow 0
		.amdhsa_workgroup_processor_mode 1
		.amdhsa_memory_ordered 1
		.amdhsa_forward_progress 0
		.amdhsa_shared_vgpr_count 0
		.amdhsa_exception_fp_ieee_invalid_op 0
		.amdhsa_exception_fp_denorm_src 0
		.amdhsa_exception_fp_ieee_div_zero 0
		.amdhsa_exception_fp_ieee_overflow 0
		.amdhsa_exception_fp_ieee_underflow 0
		.amdhsa_exception_fp_ieee_inexact 0
		.amdhsa_exception_int_div_zero 0
	.end_amdhsa_kernel
	.section	.text._ZL30rocblas_trmm_outofplace_kernelIdLi32ELi2ELb1ELb0ELb1ELb1EdKddEv17rocblas_diagonal_iiT6_lPT7_lllS4_lllPT8_llli,"axG",@progbits,_ZL30rocblas_trmm_outofplace_kernelIdLi32ELi2ELb1ELb0ELb1ELb1EdKddEv17rocblas_diagonal_iiT6_lPT7_lllS4_lllPT8_llli,comdat
.Lfunc_end45:
	.size	_ZL30rocblas_trmm_outofplace_kernelIdLi32ELi2ELb1ELb0ELb1ELb1EdKddEv17rocblas_diagonal_iiT6_lPT7_lllS4_lllPT8_llli, .Lfunc_end45-_ZL30rocblas_trmm_outofplace_kernelIdLi32ELi2ELb1ELb0ELb1ELb1EdKddEv17rocblas_diagonal_iiT6_lPT7_lllS4_lllPT8_llli
                                        ; -- End function
	.section	.AMDGPU.csdata,"",@progbits
; Kernel info:
; codeLenInByte = 2852
; NumSgprs: 46
; NumVgprs: 63
; ScratchSize: 0
; MemoryBound: 1
; FloatMode: 240
; IeeeMode: 1
; LDSByteSize: 16384 bytes/workgroup (compile time only)
; SGPRBlocks: 5
; VGPRBlocks: 7
; NumSGPRsForWavesPerEU: 46
; NumVGPRsForWavesPerEU: 63
; Occupancy: 16
; WaveLimiterHint : 0
; COMPUTE_PGM_RSRC2:SCRATCH_EN: 0
; COMPUTE_PGM_RSRC2:USER_SGPR: 13
; COMPUTE_PGM_RSRC2:TRAP_HANDLER: 0
; COMPUTE_PGM_RSRC2:TGID_X_EN: 1
; COMPUTE_PGM_RSRC2:TGID_Y_EN: 1
; COMPUTE_PGM_RSRC2:TGID_Z_EN: 1
; COMPUTE_PGM_RSRC2:TIDIG_COMP_CNT: 1
	.section	.text._ZL30rocblas_trmm_outofplace_kernelIdLi32ELi2ELb1ELb1ELb1ELb1EPKdS0_dEv17rocblas_diagonal_iiT6_lPT7_lllS5_lllPT8_llli,"axG",@progbits,_ZL30rocblas_trmm_outofplace_kernelIdLi32ELi2ELb1ELb1ELb1ELb1EPKdS0_dEv17rocblas_diagonal_iiT6_lPT7_lllS5_lllPT8_llli,comdat
	.globl	_ZL30rocblas_trmm_outofplace_kernelIdLi32ELi2ELb1ELb1ELb1ELb1EPKdS0_dEv17rocblas_diagonal_iiT6_lPT7_lllS5_lllPT8_llli ; -- Begin function _ZL30rocblas_trmm_outofplace_kernelIdLi32ELi2ELb1ELb1ELb1ELb1EPKdS0_dEv17rocblas_diagonal_iiT6_lPT7_lllS5_lllPT8_llli
	.p2align	8
	.type	_ZL30rocblas_trmm_outofplace_kernelIdLi32ELi2ELb1ELb1ELb1ELb1EPKdS0_dEv17rocblas_diagonal_iiT6_lPT7_lllS5_lllPT8_llli,@function
_ZL30rocblas_trmm_outofplace_kernelIdLi32ELi2ELb1ELb1ELb1ELb1EPKdS0_dEv17rocblas_diagonal_iiT6_lPT7_lllS5_lllPT8_llli: ; @_ZL30rocblas_trmm_outofplace_kernelIdLi32ELi2ELb1ELb1ELb1ELb1EPKdS0_dEv17rocblas_diagonal_iiT6_lPT7_lllS5_lllPT8_llli
; %bb.0:
	s_load_b512 s[16:31], s[0:1], 0x10
	s_waitcnt lgkmcnt(0)
	s_mul_i32 s2, s15, s19
	s_mul_hi_u32 s3, s15, s18
	s_delay_alu instid0(SALU_CYCLE_1) | instskip(SKIP_1) | instid1(SALU_CYCLE_1)
	s_add_i32 s3, s3, s2
	s_mul_i32 s2, s15, s18
	s_lshl_b64 s[2:3], s[2:3], 3
	s_delay_alu instid0(SALU_CYCLE_1) | instskip(SKIP_4) | instid1(VALU_DEP_1)
	s_add_u32 s2, s16, s2
	s_addc_u32 s3, s17, s3
	s_load_b64 s[34:35], s[2:3], 0x0
	s_waitcnt lgkmcnt(0)
	v_cmp_eq_f64_e64 s2, s[34:35], 0
	s_and_b32 vcc_lo, exec_lo, s2
	s_cbranch_vccnz .LBB46_66
; %bb.1:
	s_load_b128 s[8:11], s[0:1], 0x0
	s_waitcnt lgkmcnt(0)
	s_add_i32 s2, s10, -1
	s_delay_alu instid0(SALU_CYCLE_1) | instskip(NEXT) | instid1(SALU_CYCLE_1)
	s_ashr_i32 s3, s2, 31
	s_lshr_b32 s3, s3, 27
	s_delay_alu instid0(SALU_CYCLE_1) | instskip(NEXT) | instid1(SALU_CYCLE_1)
	s_add_i32 s2, s2, s3
	s_ashr_i32 s11, s2, 5
	s_delay_alu instid0(SALU_CYCLE_1)
	s_cmp_gt_i32 s14, s11
	s_cbranch_scc1 .LBB46_66
; %bb.2:
	s_clause 0x1
	s_load_b256 s[36:43], s[0:1], 0x50
	s_load_b128 s[16:19], s[0:1], 0x70
	s_mul_i32 s3, s15, s27
	s_mul_hi_u32 s4, s15, s26
	s_mul_i32 s2, s15, s26
	s_add_i32 s3, s4, s3
	s_load_b32 s26, s[0:1], 0x8c
	s_lshl_b64 s[2:3], s[2:3], 3
	v_mov_b32_e32 v7, 0
	s_add_u32 s4, s20, s2
	s_addc_u32 s5, s21, s3
	s_lshl_b64 s[2:3], s[22:23], 3
	s_delay_alu instid0(VALU_DEP_1) | instskip(SKIP_3) | instid1(VALU_DEP_2)
	v_dual_mov_b32 v6, v7 :: v_dual_and_b32 v1, 0x3ff, v0
	s_add_u32 s4, s4, s2
	s_addc_u32 s5, s5, s3
	v_bfe_u32 v5, v0, 10, 10
	v_lshlrev_b32_e32 v0, 3, v1
	v_mov_b32_e32 v2, v7
	s_waitcnt lgkmcnt(0)
	s_mul_i32 s1, s15, s39
	s_mul_hi_u32 s2, s15, s38
	s_mul_i32 s0, s15, s38
	s_add_i32 s1, s2, s1
	s_mul_i32 s3, s15, s19
	s_lshl_b64 s[0:1], s[0:1], 3
	s_mul_hi_u32 s6, s15, s18
	s_add_u32 s7, s28, s0
	s_addc_u32 s12, s29, s1
	s_lshl_b64 s[0:1], s[30:31], 3
	s_mul_i32 s2, s15, s18
	s_add_u32 s7, s7, s0
	s_addc_u32 s18, s12, s1
	s_add_i32 s3, s6, s3
	v_lshlrev_b32_e32 v13, 8, v5
	s_lshl_b64 s[0:1], s[2:3], 3
	v_lshlrev_b32_e32 v12, 3, v5
	s_add_u32 s2, s40, s0
	s_addc_u32 s3, s41, s1
	s_lshl_b64 s[0:1], s[42:43], 3
	s_mov_b32 s12, s9
	s_add_u32 s15, s2, s0
	s_addc_u32 s27, s3, s1
	s_lshl_b32 s28, s13, 5
	s_cmp_gt_i32 s13, -1
	v_add_nc_u32_e32 v3, s28, v1
	s_cselect_b32 s29, -1, 0
	s_cmpk_eq_i32 s8, 0x84
	v_add_co_u32 v32, s0, s7, v0
	s_delay_alu instid0(VALU_DEP_2) | instskip(SKIP_3) | instid1(VALU_DEP_3)
	v_ashrrev_i32_e32 v4, 31, v3
	v_mul_lo_u32 v10, v3, s25
	v_mad_u64_u32 v[8:9], null, v3, s24, 0
	s_cselect_b32 s30, -1, 0
	v_mul_lo_u32 v11, v4, s24
	s_ashr_i32 s13, s9, 31
	v_add_co_ci_u32_e64 v33, null, s18, 0, s0
	v_cmp_le_i32_e64 s0, s9, v3
	v_cmp_gt_i32_e64 s2, s9, v3
	s_ashr_i32 s31, s10, 31
	s_lshl_b64 s[18:19], s[24:25], 7
	s_delay_alu instid0(VALU_DEP_4) | instskip(NEXT) | instid1(VALU_DEP_1)
	v_add3_u32 v9, v9, v10, v11
	v_lshlrev_b64 v[8:9], 3, v[8:9]
	s_delay_alu instid0(VALU_DEP_1) | instskip(NEXT) | instid1(VALU_DEP_2)
	v_add_co_u32 v8, vcc_lo, s4, v8
	v_add_co_ci_u32_e32 v14, vcc_lo, s5, v9, vcc_lo
	v_add_co_u32 v9, vcc_lo, v3, 16
	v_add_co_ci_u32_e32 v10, vcc_lo, 0, v4, vcc_lo
	s_delay_alu instid0(VALU_DEP_4)
	v_add_co_u32 v11, vcc_lo, v8, v12
	v_dual_mov_b32 v8, 0x3ff00000 :: v_dual_add_nc_u32 v31, v13, v0
	v_add_nc_u32_e32 v34, 0x2000, v13
	v_add_nc_u32_e32 v13, 16, v3
	v_cmp_le_i64_e64 s1, s[12:13], v[9:10]
	v_add_co_ci_u32_e32 v12, vcc_lo, 0, v14, vcc_lo
	s_delay_alu instid0(VALU_DEP_4) | instskip(NEXT) | instid1(VALU_DEP_4)
	v_add_nc_u32_e32 v35, v34, v0
	v_cmp_gt_i32_e64 s3, s9, v13
	v_ashrrev_i32_e32 v14, 31, v13
	s_lshl_b64 s[4:5], s[24:25], 4
	s_add_u32 s20, s9, -16
	s_addc_u32 s21, s13, -1
	s_lshl_b64 s[22:23], s[36:37], 4
	s_lshl_b64 s[24:25], s[4:5], 3
	s_branch .LBB46_4
.LBB46_3:                               ;   in Loop: Header=BB46_4 Depth=1
	s_or_b32 exec_lo, exec_lo, s4
	s_add_i32 s14, s26, s14
	s_delay_alu instid0(SALU_CYCLE_1)
	s_cmp_le_i32 s14, s11
	s_cbranch_scc0 .LBB46_66
.LBB46_4:                               ; =>This Loop Header: Depth=1
                                        ;     Child Loop BB46_6 Depth 2
                                        ;       Child Loop BB46_55 Depth 3
	v_mov_b32_e32 v29, 0
	v_mov_b32_e32 v30, 0
	v_lshl_add_u32 v36, s14, 5, v5
	s_delay_alu instid0(VALU_DEP_3) | instskip(SKIP_1) | instid1(VALU_DEP_4)
	v_mov_b32_e32 v27, v29
	v_mov_b32_e32 v17, v29
	v_dual_mov_b32 v15, v29 :: v_dual_mov_b32 v16, v30
	s_delay_alu instid0(VALU_DEP_4)
	v_ashrrev_i32_e32 v37, 31, v36
	v_mov_b32_e32 v28, v30
	v_mov_b32_e32 v18, v30
	s_and_not1_b32 vcc_lo, exec_lo, s29
	s_cbranch_vccnz .LBB46_58
; %bb.5:                                ;   in Loop: Header=BB46_4 Depth=1
	v_mul_lo_u32 v15, v37, s36
	v_mul_lo_u32 v16, v36, s37
	v_mad_u64_u32 v[17:18], null, v36, s36, 0
	v_sub_co_u32 v19, vcc_lo, s10, v36
	v_sub_co_ci_u32_e32 v20, vcc_lo, s31, v37, vcc_lo
	v_dual_mov_b32 v24, v2 :: v_dual_mov_b32 v23, v1
	s_delay_alu instid0(VALU_DEP_4)
	v_add3_u32 v18, v18, v16, v15
	v_mov_b32_e32 v15, 0
	v_mov_b32_e32 v16, 0
	v_cmp_lt_i64_e32 vcc_lo, 0, v[19:20]
	v_cmp_lt_i64_e64 s4, 16, v[19:20]
	v_lshlrev_b64 v[21:22], 3, v[17:18]
	v_dual_mov_b32 v26, v12 :: v_dual_mov_b32 v25, v11
	s_mov_b32 s9, 0
	s_delay_alu instid0(VALU_DEP_2) | instskip(NEXT) | instid1(VALU_DEP_1)
	v_add_co_u32 v19, s5, v32, v21
	v_add_co_ci_u32_e64 v20, s5, v33, v22, s5
	v_dual_mov_b32 v22, v6 :: v_dual_mov_b32 v21, v5
	v_dual_mov_b32 v18, v16 :: v_dual_mov_b32 v17, v15
	;; [unrolled: 1-line block ×4, first 2 shown]
.LBB46_6:                               ;   Parent Loop BB46_4 Depth=1
                                        ; =>  This Loop Header: Depth=2
                                        ;       Child Loop BB46_55 Depth 3
	s_delay_alu instid0(VALU_DEP_4) | instskip(SKIP_2) | instid1(VALU_DEP_2)
	v_cmp_le_i64_e64 s6, s[12:13], v[21:22]
	v_cmp_eq_u64_e64 s7, v[21:22], v[3:4]
	v_cmp_gt_i64_e64 s5, v[21:22], v[3:4]
	s_and_b32 s38, s30, s7
	s_delay_alu instid0(VALU_DEP_1) | instskip(NEXT) | instid1(SALU_CYCLE_1)
	s_or_b32 s7, s6, s5
	s_or_b32 s7, s7, s38
	s_delay_alu instid0(SALU_CYCLE_1) | instskip(NEXT) | instid1(SALU_CYCLE_1)
	s_or_b32 s7, s0, s7
	s_xor_b32 s7, s7, -1
	s_delay_alu instid0(SALU_CYCLE_1) | instskip(NEXT) | instid1(SALU_CYCLE_1)
	s_and_saveexec_b32 s8, s7
	s_xor_b32 s7, exec_lo, s8
	s_cbranch_execz .LBB46_8
; %bb.7:                                ;   in Loop: Header=BB46_6 Depth=2
	global_load_b64 v[38:39], v[25:26], off
	s_waitcnt vmcnt(0)
	ds_store_b64 v31, v[38:39]
.LBB46_8:                               ;   in Loop: Header=BB46_6 Depth=2
	s_or_saveexec_b32 s7, s7
	s_xor_b32 s33, s38, -1
	s_xor_b32 exec_lo, exec_lo, s7
	s_cbranch_execz .LBB46_14
; %bb.9:                                ;   in Loop: Header=BB46_6 Depth=2
	s_and_saveexec_b32 s8, s33
	s_delay_alu instid0(SALU_CYCLE_1)
	s_xor_b32 s8, exec_lo, s8
	s_cbranch_execz .LBB46_11
; %bb.10:                               ;   in Loop: Header=BB46_6 Depth=2
	v_mov_b32_e32 v38, v7
	v_mov_b32_e32 v39, v7
	ds_store_b64 v31, v[38:39]
.LBB46_11:                              ;   in Loop: Header=BB46_6 Depth=2
	s_and_not1_saveexec_b32 s8, s8
	s_cbranch_execz .LBB46_13
; %bb.12:                               ;   in Loop: Header=BB46_6 Depth=2
	ds_store_b64 v31, v[7:8]
.LBB46_13:                              ;   in Loop: Header=BB46_6 Depth=2
	s_or_b32 exec_lo, exec_lo, s8
.LBB46_14:                              ;   in Loop: Header=BB46_6 Depth=2
	s_delay_alu instid0(SALU_CYCLE_1) | instskip(SKIP_2) | instid1(VALU_DEP_2)
	s_or_b32 exec_lo, exec_lo, s7
	v_cmp_eq_u64_e64 s7, v[9:10], v[21:22]
	v_cmp_lt_i64_e64 s8, v[9:10], v[21:22]
	s_and_b32 s7, s30, s7
	s_delay_alu instid0(VALU_DEP_1) | instskip(NEXT) | instid1(SALU_CYCLE_1)
	s_or_b32 s6, s6, s8
	s_or_b32 s6, s6, s7
	s_delay_alu instid0(SALU_CYCLE_1) | instskip(NEXT) | instid1(SALU_CYCLE_1)
	s_or_b32 s6, s1, s6
	s_xor_b32 s6, s6, -1
	s_delay_alu instid0(SALU_CYCLE_1) | instskip(NEXT) | instid1(SALU_CYCLE_1)
	s_and_saveexec_b32 s8, s6
	s_xor_b32 s8, exec_lo, s8
	s_cbranch_execz .LBB46_16
; %bb.15:                               ;   in Loop: Header=BB46_6 Depth=2
	v_add_co_u32 v38, s6, v25, s18
	s_delay_alu instid0(VALU_DEP_1)
	v_add_co_ci_u32_e64 v39, s6, s19, v26, s6
	global_load_b64 v[38:39], v[38:39], off
	s_waitcnt vmcnt(0)
	ds_store_b64 v31, v[38:39] offset:128
.LBB46_16:                              ;   in Loop: Header=BB46_6 Depth=2
	s_and_not1_saveexec_b32 s6, s8
	s_cbranch_execz .LBB46_22
; %bb.17:                               ;   in Loop: Header=BB46_6 Depth=2
	s_xor_b32 s7, s7, -1
	s_delay_alu instid0(SALU_CYCLE_1) | instskip(NEXT) | instid1(SALU_CYCLE_1)
	s_and_saveexec_b32 s8, s7
	s_xor_b32 s7, exec_lo, s8
	s_cbranch_execz .LBB46_19
; %bb.18:                               ;   in Loop: Header=BB46_6 Depth=2
	v_mov_b32_e32 v38, v7
	v_mov_b32_e32 v39, v7
	ds_store_b64 v31, v[38:39] offset:128
.LBB46_19:                              ;   in Loop: Header=BB46_6 Depth=2
	s_and_not1_saveexec_b32 s7, s7
	s_cbranch_execz .LBB46_21
; %bb.20:                               ;   in Loop: Header=BB46_6 Depth=2
	ds_store_b64 v31, v[7:8] offset:128
.LBB46_21:                              ;   in Loop: Header=BB46_6 Depth=2
	s_or_b32 exec_lo, exec_lo, s7
.LBB46_22:                              ;   in Loop: Header=BB46_6 Depth=2
	s_delay_alu instid0(SALU_CYCLE_1) | instskip(SKIP_1) | instid1(VALU_DEP_1)
	s_or_b32 exec_lo, exec_lo, s6
	v_add_co_u32 v38, s6, v21, 16
	v_add_co_ci_u32_e64 v39, s6, 0, v22, s6
	s_delay_alu instid0(VALU_DEP_1) | instskip(SKIP_2) | instid1(VALU_DEP_2)
	v_cmp_le_i64_e64 s6, s[12:13], v[38:39]
	v_cmp_eq_u64_e64 s7, v[38:39], v[3:4]
	v_cmp_gt_i64_e64 s8, v[38:39], v[3:4]
	s_and_b32 s39, s30, s7
	s_delay_alu instid0(VALU_DEP_1) | instskip(NEXT) | instid1(SALU_CYCLE_1)
	s_or_b32 s7, s6, s8
	s_or_b32 s7, s7, s39
	s_delay_alu instid0(SALU_CYCLE_1) | instskip(NEXT) | instid1(SALU_CYCLE_1)
	s_or_b32 s7, s0, s7
	s_xor_b32 s7, s7, -1
	s_delay_alu instid0(SALU_CYCLE_1) | instskip(NEXT) | instid1(SALU_CYCLE_1)
	s_and_saveexec_b32 s8, s7
	s_xor_b32 s7, exec_lo, s8
	s_cbranch_execz .LBB46_24
; %bb.23:                               ;   in Loop: Header=BB46_6 Depth=2
	global_load_b64 v[38:39], v[25:26], off offset:128
	s_waitcnt vmcnt(0)
	ds_store_b64 v31, v[38:39] offset:4096
.LBB46_24:                              ;   in Loop: Header=BB46_6 Depth=2
	s_and_not1_saveexec_b32 s7, s7
	s_cbranch_execz .LBB46_30
; %bb.25:                               ;   in Loop: Header=BB46_6 Depth=2
	s_xor_b32 s8, s39, -1
	s_delay_alu instid0(SALU_CYCLE_1) | instskip(NEXT) | instid1(SALU_CYCLE_1)
	s_and_saveexec_b32 s39, s8
	s_xor_b32 s8, exec_lo, s39
	s_cbranch_execz .LBB46_27
; %bb.26:                               ;   in Loop: Header=BB46_6 Depth=2
	v_mov_b32_e32 v38, v7
	v_mov_b32_e32 v39, v7
	ds_store_b64 v31, v[38:39] offset:4096
.LBB46_27:                              ;   in Loop: Header=BB46_6 Depth=2
	s_and_not1_saveexec_b32 s8, s8
	s_cbranch_execz .LBB46_29
; %bb.28:                               ;   in Loop: Header=BB46_6 Depth=2
	ds_store_b64 v31, v[7:8] offset:4096
.LBB46_29:                              ;   in Loop: Header=BB46_6 Depth=2
	s_or_b32 exec_lo, exec_lo, s8
.LBB46_30:                              ;   in Loop: Header=BB46_6 Depth=2
	s_delay_alu instid0(SALU_CYCLE_1) | instskip(SKIP_1) | instid1(SALU_CYCLE_1)
	s_or_b32 exec_lo, exec_lo, s7
	s_or_b32 s5, s6, s5
	s_or_b32 s5, s5, s38
	s_delay_alu instid0(SALU_CYCLE_1) | instskip(NEXT) | instid1(SALU_CYCLE_1)
	s_or_b32 s5, s1, s5
	s_xor_b32 s5, s5, -1
	s_delay_alu instid0(SALU_CYCLE_1) | instskip(NEXT) | instid1(SALU_CYCLE_1)
	s_and_saveexec_b32 s6, s5
	s_xor_b32 s6, exec_lo, s6
	s_cbranch_execz .LBB46_32
; %bb.31:                               ;   in Loop: Header=BB46_6 Depth=2
	v_add_co_u32 v38, s5, v25, s24
	s_delay_alu instid0(VALU_DEP_1)
	v_add_co_ci_u32_e64 v39, s5, s25, v26, s5
	global_load_b64 v[38:39], v[38:39], off offset:128
	s_waitcnt vmcnt(0)
	ds_store_b64 v31, v[38:39] offset:4224
.LBB46_32:                              ;   in Loop: Header=BB46_6 Depth=2
	s_and_not1_saveexec_b32 s5, s6
	s_cbranch_execz .LBB46_38
; %bb.33:                               ;   in Loop: Header=BB46_6 Depth=2
	s_and_saveexec_b32 s6, s33
	s_delay_alu instid0(SALU_CYCLE_1)
	s_xor_b32 s6, exec_lo, s6
	s_cbranch_execz .LBB46_35
; %bb.34:                               ;   in Loop: Header=BB46_6 Depth=2
	v_mov_b32_e32 v38, v7
	v_mov_b32_e32 v39, v7
	ds_store_b64 v31, v[38:39] offset:4224
.LBB46_35:                              ;   in Loop: Header=BB46_6 Depth=2
	s_and_not1_saveexec_b32 s6, s6
	s_cbranch_execz .LBB46_37
; %bb.36:                               ;   in Loop: Header=BB46_6 Depth=2
	ds_store_b64 v31, v[7:8] offset:4224
.LBB46_37:                              ;   in Loop: Header=BB46_6 Depth=2
	s_or_b32 exec_lo, exec_lo, s6
.LBB46_38:                              ;   in Loop: Header=BB46_6 Depth=2
	s_delay_alu instid0(SALU_CYCLE_1) | instskip(SKIP_1) | instid1(VALU_DEP_1)
	s_or_b32 exec_lo, exec_lo, s5
	v_cmp_gt_i64_e64 s6, s[12:13], v[23:24]
	s_and_b32 s5, vcc_lo, s6
	s_delay_alu instid0(SALU_CYCLE_1) | instskip(NEXT) | instid1(SALU_CYCLE_1)
	s_xor_b32 s5, s5, -1
	s_and_saveexec_b32 s7, s5
	s_delay_alu instid0(SALU_CYCLE_1)
	s_xor_b32 s5, exec_lo, s7
	s_cbranch_execz .LBB46_40
; %bb.39:                               ;   in Loop: Header=BB46_6 Depth=2
	v_mov_b32_e32 v38, v7
	v_mov_b32_e32 v39, v7
	ds_store_b64 v35, v[38:39]
.LBB46_40:                              ;   in Loop: Header=BB46_6 Depth=2
	s_and_not1_saveexec_b32 s5, s5
	s_cbranch_execz .LBB46_42
; %bb.41:                               ;   in Loop: Header=BB46_6 Depth=2
	global_load_b64 v[38:39], v[19:20], off
	s_waitcnt vmcnt(0)
	ds_store_b64 v35, v[38:39]
.LBB46_42:                              ;   in Loop: Header=BB46_6 Depth=2
	s_or_b32 exec_lo, exec_lo, s5
	v_cmp_gt_i64_e64 s5, s[20:21], v[23:24]
	s_delay_alu instid0(VALU_DEP_1) | instskip(NEXT) | instid1(SALU_CYCLE_1)
	s_and_b32 s7, vcc_lo, s5
	s_xor_b32 s7, s7, -1
	s_delay_alu instid0(SALU_CYCLE_1) | instskip(NEXT) | instid1(SALU_CYCLE_1)
	s_and_saveexec_b32 s8, s7
	s_xor_b32 s7, exec_lo, s8
	s_cbranch_execz .LBB46_44
; %bb.43:                               ;   in Loop: Header=BB46_6 Depth=2
	v_mov_b32_e32 v38, v7
	v_mov_b32_e32 v39, v7
	ds_store_b64 v35, v[38:39] offset:128
.LBB46_44:                              ;   in Loop: Header=BB46_6 Depth=2
	s_and_not1_saveexec_b32 s7, s7
	s_cbranch_execz .LBB46_46
; %bb.45:                               ;   in Loop: Header=BB46_6 Depth=2
	global_load_b64 v[38:39], v[19:20], off offset:128
	s_waitcnt vmcnt(0)
	ds_store_b64 v35, v[38:39] offset:128
.LBB46_46:                              ;   in Loop: Header=BB46_6 Depth=2
	s_or_b32 exec_lo, exec_lo, s7
	s_and_b32 s6, s4, s6
	s_delay_alu instid0(SALU_CYCLE_1) | instskip(NEXT) | instid1(SALU_CYCLE_1)
	s_xor_b32 s6, s6, -1
	s_and_saveexec_b32 s7, s6
	s_delay_alu instid0(SALU_CYCLE_1)
	s_xor_b32 s6, exec_lo, s7
	s_cbranch_execz .LBB46_48
; %bb.47:                               ;   in Loop: Header=BB46_6 Depth=2
	v_mov_b32_e32 v38, v7
	v_mov_b32_e32 v39, v7
	ds_store_b64 v35, v[38:39] offset:4096
.LBB46_48:                              ;   in Loop: Header=BB46_6 Depth=2
	s_and_not1_saveexec_b32 s7, s6
	s_cbranch_execz .LBB46_50
; %bb.49:                               ;   in Loop: Header=BB46_6 Depth=2
	s_lshl_b64 s[38:39], s[22:23], 3
	s_delay_alu instid0(SALU_CYCLE_1) | instskip(NEXT) | instid1(VALU_DEP_1)
	v_add_co_u32 v38, s6, v19, s38
	v_add_co_ci_u32_e64 v39, s6, s39, v20, s6
	global_load_b64 v[38:39], v[38:39], off
	s_waitcnt vmcnt(0)
	ds_store_b64 v35, v[38:39] offset:4096
.LBB46_50:                              ;   in Loop: Header=BB46_6 Depth=2
	s_or_b32 exec_lo, exec_lo, s7
	s_and_b32 s5, s4, s5
	s_delay_alu instid0(SALU_CYCLE_1) | instskip(NEXT) | instid1(SALU_CYCLE_1)
	s_xor_b32 s5, s5, -1
	s_and_saveexec_b32 s6, s5
	s_delay_alu instid0(SALU_CYCLE_1)
	s_xor_b32 s5, exec_lo, s6
	s_cbranch_execz .LBB46_52
; %bb.51:                               ;   in Loop: Header=BB46_6 Depth=2
	v_mov_b32_e32 v38, v7
	v_mov_b32_e32 v39, v7
	ds_store_b64 v35, v[38:39] offset:4224
.LBB46_52:                              ;   in Loop: Header=BB46_6 Depth=2
	s_and_not1_saveexec_b32 s6, s5
	s_cbranch_execz .LBB46_54
; %bb.53:                               ;   in Loop: Header=BB46_6 Depth=2
	s_lshl_b64 s[38:39], s[22:23], 3
	s_delay_alu instid0(SALU_CYCLE_1) | instskip(NEXT) | instid1(VALU_DEP_1)
	v_add_co_u32 v38, s5, v19, s38
	v_add_co_ci_u32_e64 v39, s5, s39, v20, s5
	global_load_b64 v[38:39], v[38:39], off offset:128
	s_waitcnt vmcnt(0)
	ds_store_b64 v35, v[38:39] offset:4224
.LBB46_54:                              ;   in Loop: Header=BB46_6 Depth=2
	s_or_b32 exec_lo, exec_lo, s6
	v_mov_b32_e32 v38, v0
	s_mov_b32 s5, 0
	s_waitcnt lgkmcnt(0)
	s_waitcnt_vscnt null, 0x0
	s_barrier
	buffer_gl0_inv
.LBB46_55:                              ;   Parent Loop BB46_4 Depth=1
                                        ;     Parent Loop BB46_6 Depth=2
                                        ; =>    This Inner Loop Header: Depth=3
	v_add_nc_u32_e32 v59, s5, v34
	s_add_i32 s5, s5, 64
	ds_load_2addr_b64 v[39:42], v38 offset1:16
	ds_load_b128 v[43:46], v59
	ds_load_b128 v[47:50], v59 offset:4096
	ds_load_b128 v[51:54], v59 offset:16
	;; [unrolled: 1-line block ×3, first 2 shown]
	s_cmpk_lg_i32 s5, 0x100
	s_waitcnt lgkmcnt(3)
	v_fma_f64 v[29:30], v[39:40], v[43:44], v[29:30]
	v_fma_f64 v[27:28], v[41:42], v[43:44], v[27:28]
	s_waitcnt lgkmcnt(2)
	v_fma_f64 v[39:40], v[39:40], v[47:48], v[17:18]
	v_fma_f64 v[41:42], v[41:42], v[47:48], v[15:16]
	ds_load_2addr_b64 v[15:18], v38 offset0:32 offset1:48
	s_waitcnt lgkmcnt(0)
	v_fma_f64 v[29:30], v[15:16], v[45:46], v[29:30]
	v_fma_f64 v[27:28], v[17:18], v[45:46], v[27:28]
	v_fma_f64 v[39:40], v[15:16], v[49:50], v[39:40]
	v_fma_f64 v[41:42], v[17:18], v[49:50], v[41:42]
	ds_load_2addr_b64 v[15:18], v38 offset0:64 offset1:80
	s_waitcnt lgkmcnt(0)
	v_fma_f64 v[29:30], v[15:16], v[51:52], v[29:30]
	v_fma_f64 v[27:28], v[17:18], v[51:52], v[27:28]
	;; [unrolled: 6-line block ×3, first 2 shown]
	v_fma_f64 v[55:56], v[15:16], v[57:58], v[39:40]
	v_fma_f64 v[57:58], v[17:18], v[57:58], v[41:42]
	ds_load_2addr_b64 v[15:18], v38 offset0:128 offset1:144
	ds_load_b128 v[27:30], v59 offset:32
	ds_load_b128 v[39:42], v59 offset:4128
	;; [unrolled: 1-line block ×4, first 2 shown]
	s_waitcnt lgkmcnt(3)
	v_fma_f64 v[51:52], v[15:16], v[27:28], v[51:52]
	v_fma_f64 v[27:28], v[17:18], v[27:28], v[53:54]
	s_waitcnt lgkmcnt(2)
	v_fma_f64 v[53:54], v[15:16], v[39:40], v[55:56]
	v_fma_f64 v[39:40], v[17:18], v[39:40], v[57:58]
	ds_load_2addr_b64 v[15:18], v38 offset0:160 offset1:176
	s_waitcnt lgkmcnt(0)
	v_fma_f64 v[51:52], v[15:16], v[29:30], v[51:52]
	v_fma_f64 v[27:28], v[17:18], v[29:30], v[27:28]
	;; [unrolled: 1-line block ×4, first 2 shown]
	ds_load_2addr_b64 v[15:18], v38 offset0:192 offset1:208
	s_waitcnt lgkmcnt(0)
	v_fma_f64 v[51:52], v[15:16], v[43:44], v[51:52]
	v_fma_f64 v[27:28], v[17:18], v[43:44], v[27:28]
	;; [unrolled: 1-line block ×4, first 2 shown]
	ds_load_2addr_b64 v[39:42], v38 offset0:224 offset1:240
	v_add_nc_u32_e32 v38, 0x800, v38
	s_waitcnt lgkmcnt(0)
	v_fma_f64 v[29:30], v[39:40], v[45:46], v[51:52]
	v_fma_f64 v[27:28], v[41:42], v[45:46], v[27:28]
	;; [unrolled: 1-line block ×4, first 2 shown]
	s_cbranch_scc1 .LBB46_55
; %bb.56:                               ;   in Loop: Header=BB46_6 Depth=2
	v_add_co_u32 v25, s5, 0x100, v25
	s_delay_alu instid0(VALU_DEP_1) | instskip(SKIP_1) | instid1(VALU_DEP_1)
	v_add_co_ci_u32_e64 v26, s5, 0, v26, s5
	v_add_co_u32 v21, s5, v21, 32
	v_add_co_ci_u32_e64 v22, s5, 0, v22, s5
	v_add_co_u32 v19, s5, 0x100, v19
	s_delay_alu instid0(VALU_DEP_1) | instskip(SKIP_1) | instid1(VALU_DEP_1)
	v_add_co_ci_u32_e64 v20, s5, 0, v20, s5
	v_add_co_u32 v23, s5, v23, 32
	v_add_co_ci_u32_e64 v24, s5, 0, v24, s5
	s_add_i32 s5, s9, 32
	s_cmp_ge_i32 s9, s28
	s_barrier
	buffer_gl0_inv
	s_cbranch_scc1 .LBB46_58
; %bb.57:                               ;   in Loop: Header=BB46_6 Depth=2
	s_mov_b32 s9, s5
	s_branch .LBB46_6
.LBB46_58:                              ;   in Loop: Header=BB46_4 Depth=1
	v_mul_lo_u32 v21, v37, s16
	v_mul_lo_u32 v22, v36, s17
	v_mad_u64_u32 v[19:20], null, v36, s16, 0
	v_cmp_gt_i32_e32 vcc_lo, s10, v36
	s_delay_alu instid0(VALU_DEP_2) | instskip(NEXT) | instid1(VALU_DEP_1)
	v_add3_u32 v20, v20, v22, v21
	v_lshlrev_b64 v[19:20], 3, v[19:20]
	s_delay_alu instid0(VALU_DEP_1) | instskip(NEXT) | instid1(VALU_DEP_1)
	v_add_co_u32 v19, s4, s15, v19
	v_add_co_ci_u32_e64 v20, s4, s27, v20, s4
	s_and_b32 s4, s2, vcc_lo
	s_delay_alu instid0(SALU_CYCLE_1)
	s_and_saveexec_b32 s5, s4
	s_cbranch_execz .LBB46_60
; %bb.59:                               ;   in Loop: Header=BB46_4 Depth=1
	v_lshlrev_b64 v[21:22], 3, v[3:4]
	s_delay_alu instid0(VALU_DEP_1) | instskip(NEXT) | instid1(VALU_DEP_1)
	v_add_co_u32 v21, s4, v19, v21
	v_add_co_ci_u32_e64 v22, s4, v20, v22, s4
	global_load_b64 v[23:24], v[21:22], off
	s_waitcnt vmcnt(0)
	v_fma_f64 v[23:24], s[34:35], v[29:30], v[23:24]
	global_store_b64 v[21:22], v[23:24], off
.LBB46_60:                              ;   in Loop: Header=BB46_4 Depth=1
	s_or_b32 exec_lo, exec_lo, s5
	s_and_b32 s5, s3, vcc_lo
	s_delay_alu instid0(SALU_CYCLE_1)
	s_and_saveexec_b32 s4, s5
	s_cbranch_execz .LBB46_62
; %bb.61:                               ;   in Loop: Header=BB46_4 Depth=1
	v_lshlrev_b64 v[21:22], 3, v[13:14]
	s_delay_alu instid0(VALU_DEP_1) | instskip(NEXT) | instid1(VALU_DEP_2)
	v_add_co_u32 v19, vcc_lo, v19, v21
	v_add_co_ci_u32_e32 v20, vcc_lo, v20, v22, vcc_lo
	global_load_b64 v[21:22], v[19:20], off
	s_waitcnt vmcnt(0)
	v_fma_f64 v[21:22], s[34:35], v[27:28], v[21:22]
	global_store_b64 v[19:20], v[21:22], off
.LBB46_62:                              ;   in Loop: Header=BB46_4 Depth=1
	s_or_b32 exec_lo, exec_lo, s4
	v_add_nc_u32_e32 v21, 16, v36
	s_delay_alu instid0(VALU_DEP_1) | instskip(SKIP_3) | instid1(VALU_DEP_4)
	v_ashrrev_i32_e32 v22, 31, v21
	v_mul_lo_u32 v23, v21, s17
	v_mad_u64_u32 v[19:20], null, v21, s16, 0
	v_cmp_gt_i32_e32 vcc_lo, s10, v21
	v_mul_lo_u32 v22, v22, s16
	s_delay_alu instid0(VALU_DEP_1) | instskip(NEXT) | instid1(VALU_DEP_1)
	v_add3_u32 v20, v20, v23, v22
	v_lshlrev_b64 v[19:20], 3, v[19:20]
	s_delay_alu instid0(VALU_DEP_1) | instskip(NEXT) | instid1(VALU_DEP_1)
	v_add_co_u32 v19, s4, s15, v19
	v_add_co_ci_u32_e64 v20, s4, s27, v20, s4
	s_and_b32 s4, s2, vcc_lo
	s_delay_alu instid0(SALU_CYCLE_1)
	s_and_saveexec_b32 s5, s4
	s_cbranch_execnz .LBB46_64
; %bb.63:                               ;   in Loop: Header=BB46_4 Depth=1
	s_or_b32 exec_lo, exec_lo, s5
	s_and_b32 s5, s3, vcc_lo
	s_delay_alu instid0(SALU_CYCLE_1)
	s_and_saveexec_b32 s4, s5
	s_cbranch_execz .LBB46_3
	s_branch .LBB46_65
.LBB46_64:                              ;   in Loop: Header=BB46_4 Depth=1
	v_lshlrev_b64 v[21:22], 3, v[3:4]
	s_delay_alu instid0(VALU_DEP_1) | instskip(NEXT) | instid1(VALU_DEP_1)
	v_add_co_u32 v21, s4, v19, v21
	v_add_co_ci_u32_e64 v22, s4, v20, v22, s4
	global_load_b64 v[23:24], v[21:22], off
	s_waitcnt vmcnt(0)
	v_fma_f64 v[17:18], s[34:35], v[17:18], v[23:24]
	global_store_b64 v[21:22], v[17:18], off
	s_or_b32 exec_lo, exec_lo, s5
	s_and_b32 s5, s3, vcc_lo
	s_delay_alu instid0(SALU_CYCLE_1)
	s_and_saveexec_b32 s4, s5
	s_cbranch_execz .LBB46_3
.LBB46_65:                              ;   in Loop: Header=BB46_4 Depth=1
	v_lshlrev_b64 v[17:18], 3, v[13:14]
	s_delay_alu instid0(VALU_DEP_1) | instskip(NEXT) | instid1(VALU_DEP_2)
	v_add_co_u32 v17, vcc_lo, v19, v17
	v_add_co_ci_u32_e32 v18, vcc_lo, v20, v18, vcc_lo
	global_load_b64 v[19:20], v[17:18], off
	s_waitcnt vmcnt(0)
	v_fma_f64 v[15:16], s[34:35], v[15:16], v[19:20]
	global_store_b64 v[17:18], v[15:16], off
	s_branch .LBB46_3
.LBB46_66:
	s_nop 0
	s_sendmsg sendmsg(MSG_DEALLOC_VGPRS)
	s_endpgm
	.section	.rodata,"a",@progbits
	.p2align	6, 0x0
	.amdhsa_kernel _ZL30rocblas_trmm_outofplace_kernelIdLi32ELi2ELb1ELb1ELb1ELb1EPKdS0_dEv17rocblas_diagonal_iiT6_lPT7_lllS5_lllPT8_llli
		.amdhsa_group_segment_fixed_size 16384
		.amdhsa_private_segment_fixed_size 0
		.amdhsa_kernarg_size 392
		.amdhsa_user_sgpr_count 13
		.amdhsa_user_sgpr_dispatch_ptr 0
		.amdhsa_user_sgpr_queue_ptr 0
		.amdhsa_user_sgpr_kernarg_segment_ptr 1
		.amdhsa_user_sgpr_dispatch_id 0
		.amdhsa_user_sgpr_private_segment_size 0
		.amdhsa_wavefront_size32 1
		.amdhsa_uses_dynamic_stack 0
		.amdhsa_enable_private_segment 0
		.amdhsa_system_sgpr_workgroup_id_x 1
		.amdhsa_system_sgpr_workgroup_id_y 1
		.amdhsa_system_sgpr_workgroup_id_z 1
		.amdhsa_system_sgpr_workgroup_info 0
		.amdhsa_system_vgpr_workitem_id 1
		.amdhsa_next_free_vgpr 60
		.amdhsa_next_free_sgpr 44
		.amdhsa_reserve_vcc 1
		.amdhsa_float_round_mode_32 0
		.amdhsa_float_round_mode_16_64 0
		.amdhsa_float_denorm_mode_32 3
		.amdhsa_float_denorm_mode_16_64 3
		.amdhsa_dx10_clamp 1
		.amdhsa_ieee_mode 1
		.amdhsa_fp16_overflow 0
		.amdhsa_workgroup_processor_mode 1
		.amdhsa_memory_ordered 1
		.amdhsa_forward_progress 0
		.amdhsa_shared_vgpr_count 0
		.amdhsa_exception_fp_ieee_invalid_op 0
		.amdhsa_exception_fp_denorm_src 0
		.amdhsa_exception_fp_ieee_div_zero 0
		.amdhsa_exception_fp_ieee_overflow 0
		.amdhsa_exception_fp_ieee_underflow 0
		.amdhsa_exception_fp_ieee_inexact 0
		.amdhsa_exception_int_div_zero 0
	.end_amdhsa_kernel
	.section	.text._ZL30rocblas_trmm_outofplace_kernelIdLi32ELi2ELb1ELb1ELb1ELb1EPKdS0_dEv17rocblas_diagonal_iiT6_lPT7_lllS5_lllPT8_llli,"axG",@progbits,_ZL30rocblas_trmm_outofplace_kernelIdLi32ELi2ELb1ELb1ELb1ELb1EPKdS0_dEv17rocblas_diagonal_iiT6_lPT7_lllS5_lllPT8_llli,comdat
.Lfunc_end46:
	.size	_ZL30rocblas_trmm_outofplace_kernelIdLi32ELi2ELb1ELb1ELb1ELb1EPKdS0_dEv17rocblas_diagonal_iiT6_lPT7_lllS5_lllPT8_llli, .Lfunc_end46-_ZL30rocblas_trmm_outofplace_kernelIdLi32ELi2ELb1ELb1ELb1ELb1EPKdS0_dEv17rocblas_diagonal_iiT6_lPT7_lllS5_lllPT8_llli
                                        ; -- End function
	.section	.AMDGPU.csdata,"",@progbits
; Kernel info:
; codeLenInByte = 2896
; NumSgprs: 46
; NumVgprs: 60
; ScratchSize: 0
; MemoryBound: 1
; FloatMode: 240
; IeeeMode: 1
; LDSByteSize: 16384 bytes/workgroup (compile time only)
; SGPRBlocks: 5
; VGPRBlocks: 7
; NumSGPRsForWavesPerEU: 46
; NumVGPRsForWavesPerEU: 60
; Occupancy: 16
; WaveLimiterHint : 0
; COMPUTE_PGM_RSRC2:SCRATCH_EN: 0
; COMPUTE_PGM_RSRC2:USER_SGPR: 13
; COMPUTE_PGM_RSRC2:TRAP_HANDLER: 0
; COMPUTE_PGM_RSRC2:TGID_X_EN: 1
; COMPUTE_PGM_RSRC2:TGID_Y_EN: 1
; COMPUTE_PGM_RSRC2:TGID_Z_EN: 1
; COMPUTE_PGM_RSRC2:TIDIG_COMP_CNT: 1
	.section	.text._ZL30rocblas_trmm_outofplace_kernelIdLi32ELi2ELb1ELb1ELb1ELb1EdKddEv17rocblas_diagonal_iiT6_lPT7_lllS4_lllPT8_llli,"axG",@progbits,_ZL30rocblas_trmm_outofplace_kernelIdLi32ELi2ELb1ELb1ELb1ELb1EdKddEv17rocblas_diagonal_iiT6_lPT7_lllS4_lllPT8_llli,comdat
	.globl	_ZL30rocblas_trmm_outofplace_kernelIdLi32ELi2ELb1ELb1ELb1ELb1EdKddEv17rocblas_diagonal_iiT6_lPT7_lllS4_lllPT8_llli ; -- Begin function _ZL30rocblas_trmm_outofplace_kernelIdLi32ELi2ELb1ELb1ELb1ELb1EdKddEv17rocblas_diagonal_iiT6_lPT7_lllS4_lllPT8_llli
	.p2align	8
	.type	_ZL30rocblas_trmm_outofplace_kernelIdLi32ELi2ELb1ELb1ELb1ELb1EdKddEv17rocblas_diagonal_iiT6_lPT7_lllS4_lllPT8_llli,@function
_ZL30rocblas_trmm_outofplace_kernelIdLi32ELi2ELb1ELb1ELb1ELb1EdKddEv17rocblas_diagonal_iiT6_lPT7_lllS4_lllPT8_llli: ; @_ZL30rocblas_trmm_outofplace_kernelIdLi32ELi2ELb1ELb1ELb1ELb1EdKddEv17rocblas_diagonal_iiT6_lPT7_lllS4_lllPT8_llli
; %bb.0:
	s_load_b64 s[34:35], s[0:1], 0x10
	s_waitcnt lgkmcnt(0)
	v_cmp_eq_f64_e64 s2, s[34:35], 0
	s_delay_alu instid0(VALU_DEP_1)
	s_and_b32 vcc_lo, exec_lo, s2
	s_cbranch_vccnz .LBB47_66
; %bb.1:
	s_load_b128 s[8:11], s[0:1], 0x0
	s_waitcnt lgkmcnt(0)
	s_add_i32 s2, s10, -1
	s_delay_alu instid0(SALU_CYCLE_1) | instskip(NEXT) | instid1(SALU_CYCLE_1)
	s_ashr_i32 s3, s2, 31
	s_lshr_b32 s3, s3, 27
	s_delay_alu instid0(SALU_CYCLE_1) | instskip(NEXT) | instid1(SALU_CYCLE_1)
	s_add_i32 s2, s2, s3
	s_ashr_i32 s11, s2, 5
	s_delay_alu instid0(SALU_CYCLE_1)
	s_cmp_gt_i32 s14, s11
	s_cbranch_scc1 .LBB47_66
; %bb.2:
	s_clause 0x2
	s_load_b512 s[16:31], s[0:1], 0x20
	s_load_b256 s[36:43], s[0:1], 0x60
	s_load_b32 s33, s[0:1], 0x8c
	v_bfe_u32 v1, v0, 10, 10
	v_mov_b32_e32 v3, 0
	s_mov_b32 s12, s9
	s_delay_alu instid0(VALU_DEP_2) | instskip(NEXT) | instid1(VALU_DEP_2)
	v_lshlrev_b32_e32 v4, 8, v1
	v_dual_mov_b32 v2, v3 :: v_dual_and_b32 v5, 0x3ff, v0
	v_dual_mov_b32 v6, v3 :: v_dual_lshlrev_b32 v15, 3, v1
	s_delay_alu instid0(VALU_DEP_3) | instskip(NEXT) | instid1(VALU_DEP_3)
	v_add_nc_u32_e32 v31, 0x2000, v4
	v_lshlrev_b32_e32 v0, 3, v5
	s_delay_alu instid0(VALU_DEP_1)
	v_add_nc_u32_e32 v32, v4, v0
	s_waitcnt lgkmcnt(0)
	s_mul_i32 s1, s15, s23
	s_mul_hi_u32 s2, s15, s22
	s_mul_i32 s0, s15, s22
	s_add_i32 s1, s2, s1
	s_mul_i32 s3, s15, s31
	s_lshl_b64 s[0:1], s[0:1], 3
	s_mul_hi_u32 s4, s15, s30
	s_add_u32 s5, s16, s0
	s_addc_u32 s6, s17, s1
	s_lshl_b64 s[0:1], s[18:19], 3
	s_mul_i32 s2, s15, s30
	s_add_u32 s7, s5, s0
	s_addc_u32 s6, s6, s1
	s_add_i32 s3, s4, s3
	s_mul_i32 s4, s15, s43
	s_lshl_b64 s[0:1], s[2:3], 3
	s_mul_hi_u32 s3, s15, s42
	s_add_u32 s5, s24, s0
	s_addc_u32 s16, s25, s1
	s_lshl_b64 s[0:1], s[26:27], 3
	s_mul_i32 s2, s15, s42
	s_add_u32 s5, s5, s0
	s_addc_u32 s16, s16, s1
	s_add_i32 s3, s3, s4
	v_add_nc_u32_e32 v33, v31, v0
	s_lshl_b64 s[0:1], s[2:3], 3
	s_delay_alu instid0(SALU_CYCLE_1) | instskip(SKIP_2) | instid1(SALU_CYCLE_1)
	s_add_u32 s2, s36, s0
	s_addc_u32 s3, s37, s1
	s_lshl_b64 s[0:1], s[38:39], 3
	s_add_u32 s15, s2, s0
	s_addc_u32 s24, s3, s1
	s_lshl_b32 s25, s13, 5
	s_cmp_gt_i32 s13, -1
	v_add_nc_u32_e32 v7, s25, v5
	s_cselect_b32 s26, -1, 0
	s_cmpk_eq_i32 s8, 0x84
	v_add_co_u32 v34, s0, s5, v0
	s_delay_alu instid0(VALU_DEP_2) | instskip(SKIP_3) | instid1(VALU_DEP_3)
	v_ashrrev_i32_e32 v8, 31, v7
	v_mul_lo_u32 v4, v7, s21
	v_mad_u64_u32 v[10:11], null, v7, s20, 0
	s_cselect_b32 s27, -1, 0
	v_mul_lo_u32 v9, v8, s20
	s_ashr_i32 s13, s9, 31
	v_add_co_ci_u32_e64 v35, null, s16, 0, s0
	v_cmp_le_i32_e64 s0, s9, v7
	v_cmp_gt_i32_e64 s1, s9, v7
	s_ashr_i32 s30, s10, 31
	s_lshl_b64 s[16:17], s[20:21], 7
	s_delay_alu instid0(VALU_DEP_4)
	v_add3_u32 v11, v11, v4, v9
	v_add_nc_u32_e32 v9, 16, v7
	s_lshl_b64 s[4:5], s[20:21], 4
	s_add_u32 s18, s9, -16
	s_addc_u32 s19, s13, -1
	v_lshlrev_b64 v[13:14], 3, v[10:11]
	v_add_co_u32 v11, vcc_lo, v7, 16
	v_add_co_ci_u32_e32 v12, vcc_lo, 0, v8, vcc_lo
	v_cmp_gt_i32_e64 s3, s9, v9
	s_delay_alu instid0(VALU_DEP_4) | instskip(SKIP_1) | instid1(VALU_DEP_4)
	v_add_co_u32 v4, vcc_lo, s7, v13
	v_add_co_ci_u32_e32 v10, vcc_lo, s6, v14, vcc_lo
	v_cmp_le_i64_e64 s2, s[12:13], v[11:12]
	s_delay_alu instid0(VALU_DEP_3) | instskip(SKIP_1) | instid1(VALU_DEP_4)
	v_add_co_u32 v13, vcc_lo, v4, v15
	v_mov_b32_e32 v4, 0x3ff00000
	v_add_co_ci_u32_e32 v14, vcc_lo, 0, v10, vcc_lo
	v_ashrrev_i32_e32 v10, 31, v9
	s_lshl_b64 s[20:21], s[28:29], 4
	s_lshl_b64 s[22:23], s[4:5], 3
	s_branch .LBB47_4
.LBB47_3:                               ;   in Loop: Header=BB47_4 Depth=1
	s_or_b32 exec_lo, exec_lo, s4
	s_add_i32 s14, s33, s14
	s_delay_alu instid0(SALU_CYCLE_1)
	s_cmp_le_i32 s14, s11
	s_cbranch_scc0 .LBB47_66
.LBB47_4:                               ; =>This Loop Header: Depth=1
                                        ;     Child Loop BB47_6 Depth 2
                                        ;       Child Loop BB47_55 Depth 3
	v_mov_b32_e32 v29, 0
	v_mov_b32_e32 v30, 0
	v_lshl_add_u32 v36, s14, 5, v1
	s_delay_alu instid0(VALU_DEP_3) | instskip(SKIP_1) | instid1(VALU_DEP_4)
	v_mov_b32_e32 v27, v29
	v_mov_b32_e32 v17, v29
	v_dual_mov_b32 v15, v29 :: v_dual_mov_b32 v16, v30
	s_delay_alu instid0(VALU_DEP_4)
	v_ashrrev_i32_e32 v37, 31, v36
	v_mov_b32_e32 v28, v30
	v_mov_b32_e32 v18, v30
	s_and_not1_b32 vcc_lo, exec_lo, s26
	s_cbranch_vccnz .LBB47_58
; %bb.5:                                ;   in Loop: Header=BB47_4 Depth=1
	v_mul_lo_u32 v15, v37, s28
	v_mul_lo_u32 v16, v36, s29
	v_mad_u64_u32 v[17:18], null, v36, s28, 0
	v_sub_co_u32 v19, vcc_lo, s10, v36
	v_sub_co_ci_u32_e32 v20, vcc_lo, s30, v37, vcc_lo
	v_dual_mov_b32 v24, v6 :: v_dual_mov_b32 v23, v5
	s_delay_alu instid0(VALU_DEP_4)
	v_add3_u32 v18, v18, v16, v15
	v_mov_b32_e32 v15, 0
	v_mov_b32_e32 v16, 0
	v_cmp_lt_i64_e32 vcc_lo, 0, v[19:20]
	v_cmp_lt_i64_e64 s4, 16, v[19:20]
	v_lshlrev_b64 v[21:22], 3, v[17:18]
	v_dual_mov_b32 v26, v14 :: v_dual_mov_b32 v25, v13
	s_mov_b32 s9, 0
	s_delay_alu instid0(VALU_DEP_2) | instskip(NEXT) | instid1(VALU_DEP_1)
	v_add_co_u32 v19, s5, v34, v21
	v_add_co_ci_u32_e64 v20, s5, v35, v22, s5
	v_dual_mov_b32 v22, v2 :: v_dual_mov_b32 v21, v1
	v_dual_mov_b32 v18, v16 :: v_dual_mov_b32 v17, v15
	;; [unrolled: 1-line block ×4, first 2 shown]
.LBB47_6:                               ;   Parent Loop BB47_4 Depth=1
                                        ; =>  This Loop Header: Depth=2
                                        ;       Child Loop BB47_55 Depth 3
	s_delay_alu instid0(VALU_DEP_4) | instskip(SKIP_2) | instid1(VALU_DEP_2)
	v_cmp_le_i64_e64 s6, s[12:13], v[21:22]
	v_cmp_eq_u64_e64 s7, v[21:22], v[7:8]
	v_cmp_gt_i64_e64 s5, v[21:22], v[7:8]
	s_and_b32 s36, s27, s7
	s_delay_alu instid0(VALU_DEP_1) | instskip(NEXT) | instid1(SALU_CYCLE_1)
	s_or_b32 s7, s6, s5
	s_or_b32 s7, s7, s36
	s_delay_alu instid0(SALU_CYCLE_1) | instskip(NEXT) | instid1(SALU_CYCLE_1)
	s_or_b32 s7, s0, s7
	s_xor_b32 s7, s7, -1
	s_delay_alu instid0(SALU_CYCLE_1) | instskip(NEXT) | instid1(SALU_CYCLE_1)
	s_and_saveexec_b32 s8, s7
	s_xor_b32 s7, exec_lo, s8
	s_cbranch_execz .LBB47_8
; %bb.7:                                ;   in Loop: Header=BB47_6 Depth=2
	global_load_b64 v[38:39], v[25:26], off
	s_waitcnt vmcnt(0)
	ds_store_b64 v32, v[38:39]
.LBB47_8:                               ;   in Loop: Header=BB47_6 Depth=2
	s_or_saveexec_b32 s7, s7
	s_xor_b32 s31, s36, -1
	s_xor_b32 exec_lo, exec_lo, s7
	s_cbranch_execz .LBB47_14
; %bb.9:                                ;   in Loop: Header=BB47_6 Depth=2
	s_and_saveexec_b32 s8, s31
	s_delay_alu instid0(SALU_CYCLE_1)
	s_xor_b32 s8, exec_lo, s8
	s_cbranch_execz .LBB47_11
; %bb.10:                               ;   in Loop: Header=BB47_6 Depth=2
	v_mov_b32_e32 v38, v3
	v_mov_b32_e32 v39, v3
	ds_store_b64 v32, v[38:39]
.LBB47_11:                              ;   in Loop: Header=BB47_6 Depth=2
	s_and_not1_saveexec_b32 s8, s8
	s_cbranch_execz .LBB47_13
; %bb.12:                               ;   in Loop: Header=BB47_6 Depth=2
	ds_store_b64 v32, v[3:4]
.LBB47_13:                              ;   in Loop: Header=BB47_6 Depth=2
	s_or_b32 exec_lo, exec_lo, s8
.LBB47_14:                              ;   in Loop: Header=BB47_6 Depth=2
	s_delay_alu instid0(SALU_CYCLE_1) | instskip(SKIP_2) | instid1(VALU_DEP_2)
	s_or_b32 exec_lo, exec_lo, s7
	v_cmp_eq_u64_e64 s7, v[11:12], v[21:22]
	v_cmp_lt_i64_e64 s8, v[11:12], v[21:22]
	s_and_b32 s7, s27, s7
	s_delay_alu instid0(VALU_DEP_1) | instskip(NEXT) | instid1(SALU_CYCLE_1)
	s_or_b32 s6, s6, s8
	s_or_b32 s6, s6, s7
	s_delay_alu instid0(SALU_CYCLE_1) | instskip(NEXT) | instid1(SALU_CYCLE_1)
	s_or_b32 s6, s2, s6
	s_xor_b32 s6, s6, -1
	s_delay_alu instid0(SALU_CYCLE_1) | instskip(NEXT) | instid1(SALU_CYCLE_1)
	s_and_saveexec_b32 s8, s6
	s_xor_b32 s8, exec_lo, s8
	s_cbranch_execz .LBB47_16
; %bb.15:                               ;   in Loop: Header=BB47_6 Depth=2
	v_add_co_u32 v38, s6, v25, s16
	s_delay_alu instid0(VALU_DEP_1)
	v_add_co_ci_u32_e64 v39, s6, s17, v26, s6
	global_load_b64 v[38:39], v[38:39], off
	s_waitcnt vmcnt(0)
	ds_store_b64 v32, v[38:39] offset:128
.LBB47_16:                              ;   in Loop: Header=BB47_6 Depth=2
	s_and_not1_saveexec_b32 s6, s8
	s_cbranch_execz .LBB47_22
; %bb.17:                               ;   in Loop: Header=BB47_6 Depth=2
	s_xor_b32 s7, s7, -1
	s_delay_alu instid0(SALU_CYCLE_1) | instskip(NEXT) | instid1(SALU_CYCLE_1)
	s_and_saveexec_b32 s8, s7
	s_xor_b32 s7, exec_lo, s8
	s_cbranch_execz .LBB47_19
; %bb.18:                               ;   in Loop: Header=BB47_6 Depth=2
	v_mov_b32_e32 v38, v3
	v_mov_b32_e32 v39, v3
	ds_store_b64 v32, v[38:39] offset:128
.LBB47_19:                              ;   in Loop: Header=BB47_6 Depth=2
	s_and_not1_saveexec_b32 s7, s7
	s_cbranch_execz .LBB47_21
; %bb.20:                               ;   in Loop: Header=BB47_6 Depth=2
	ds_store_b64 v32, v[3:4] offset:128
.LBB47_21:                              ;   in Loop: Header=BB47_6 Depth=2
	s_or_b32 exec_lo, exec_lo, s7
.LBB47_22:                              ;   in Loop: Header=BB47_6 Depth=2
	s_delay_alu instid0(SALU_CYCLE_1) | instskip(SKIP_1) | instid1(VALU_DEP_1)
	s_or_b32 exec_lo, exec_lo, s6
	v_add_co_u32 v38, s6, v21, 16
	v_add_co_ci_u32_e64 v39, s6, 0, v22, s6
	s_delay_alu instid0(VALU_DEP_1) | instskip(SKIP_2) | instid1(VALU_DEP_2)
	v_cmp_le_i64_e64 s6, s[12:13], v[38:39]
	v_cmp_eq_u64_e64 s7, v[38:39], v[7:8]
	v_cmp_gt_i64_e64 s8, v[38:39], v[7:8]
	s_and_b32 s37, s27, s7
	s_delay_alu instid0(VALU_DEP_1) | instskip(NEXT) | instid1(SALU_CYCLE_1)
	s_or_b32 s7, s6, s8
	s_or_b32 s7, s7, s37
	s_delay_alu instid0(SALU_CYCLE_1) | instskip(NEXT) | instid1(SALU_CYCLE_1)
	s_or_b32 s7, s0, s7
	s_xor_b32 s7, s7, -1
	s_delay_alu instid0(SALU_CYCLE_1) | instskip(NEXT) | instid1(SALU_CYCLE_1)
	s_and_saveexec_b32 s8, s7
	s_xor_b32 s7, exec_lo, s8
	s_cbranch_execz .LBB47_24
; %bb.23:                               ;   in Loop: Header=BB47_6 Depth=2
	global_load_b64 v[38:39], v[25:26], off offset:128
	s_waitcnt vmcnt(0)
	ds_store_b64 v32, v[38:39] offset:4096
.LBB47_24:                              ;   in Loop: Header=BB47_6 Depth=2
	s_and_not1_saveexec_b32 s7, s7
	s_cbranch_execz .LBB47_30
; %bb.25:                               ;   in Loop: Header=BB47_6 Depth=2
	s_xor_b32 s8, s37, -1
	s_delay_alu instid0(SALU_CYCLE_1) | instskip(NEXT) | instid1(SALU_CYCLE_1)
	s_and_saveexec_b32 s37, s8
	s_xor_b32 s8, exec_lo, s37
	s_cbranch_execz .LBB47_27
; %bb.26:                               ;   in Loop: Header=BB47_6 Depth=2
	v_mov_b32_e32 v38, v3
	v_mov_b32_e32 v39, v3
	ds_store_b64 v32, v[38:39] offset:4096
.LBB47_27:                              ;   in Loop: Header=BB47_6 Depth=2
	s_and_not1_saveexec_b32 s8, s8
	s_cbranch_execz .LBB47_29
; %bb.28:                               ;   in Loop: Header=BB47_6 Depth=2
	ds_store_b64 v32, v[3:4] offset:4096
.LBB47_29:                              ;   in Loop: Header=BB47_6 Depth=2
	s_or_b32 exec_lo, exec_lo, s8
.LBB47_30:                              ;   in Loop: Header=BB47_6 Depth=2
	s_delay_alu instid0(SALU_CYCLE_1) | instskip(SKIP_1) | instid1(SALU_CYCLE_1)
	s_or_b32 exec_lo, exec_lo, s7
	s_or_b32 s5, s6, s5
	s_or_b32 s5, s5, s36
	s_delay_alu instid0(SALU_CYCLE_1) | instskip(NEXT) | instid1(SALU_CYCLE_1)
	s_or_b32 s5, s2, s5
	s_xor_b32 s5, s5, -1
	s_delay_alu instid0(SALU_CYCLE_1) | instskip(NEXT) | instid1(SALU_CYCLE_1)
	s_and_saveexec_b32 s6, s5
	s_xor_b32 s6, exec_lo, s6
	s_cbranch_execz .LBB47_32
; %bb.31:                               ;   in Loop: Header=BB47_6 Depth=2
	v_add_co_u32 v38, s5, v25, s22
	s_delay_alu instid0(VALU_DEP_1)
	v_add_co_ci_u32_e64 v39, s5, s23, v26, s5
	global_load_b64 v[38:39], v[38:39], off offset:128
	s_waitcnt vmcnt(0)
	ds_store_b64 v32, v[38:39] offset:4224
.LBB47_32:                              ;   in Loop: Header=BB47_6 Depth=2
	s_and_not1_saveexec_b32 s5, s6
	s_cbranch_execz .LBB47_38
; %bb.33:                               ;   in Loop: Header=BB47_6 Depth=2
	s_and_saveexec_b32 s6, s31
	s_delay_alu instid0(SALU_CYCLE_1)
	s_xor_b32 s6, exec_lo, s6
	s_cbranch_execz .LBB47_35
; %bb.34:                               ;   in Loop: Header=BB47_6 Depth=2
	v_mov_b32_e32 v38, v3
	v_mov_b32_e32 v39, v3
	ds_store_b64 v32, v[38:39] offset:4224
.LBB47_35:                              ;   in Loop: Header=BB47_6 Depth=2
	s_and_not1_saveexec_b32 s6, s6
	s_cbranch_execz .LBB47_37
; %bb.36:                               ;   in Loop: Header=BB47_6 Depth=2
	ds_store_b64 v32, v[3:4] offset:4224
.LBB47_37:                              ;   in Loop: Header=BB47_6 Depth=2
	s_or_b32 exec_lo, exec_lo, s6
.LBB47_38:                              ;   in Loop: Header=BB47_6 Depth=2
	s_delay_alu instid0(SALU_CYCLE_1) | instskip(SKIP_1) | instid1(VALU_DEP_1)
	s_or_b32 exec_lo, exec_lo, s5
	v_cmp_gt_i64_e64 s6, s[12:13], v[23:24]
	s_and_b32 s5, vcc_lo, s6
	s_delay_alu instid0(SALU_CYCLE_1) | instskip(NEXT) | instid1(SALU_CYCLE_1)
	s_xor_b32 s5, s5, -1
	s_and_saveexec_b32 s7, s5
	s_delay_alu instid0(SALU_CYCLE_1)
	s_xor_b32 s5, exec_lo, s7
	s_cbranch_execz .LBB47_40
; %bb.39:                               ;   in Loop: Header=BB47_6 Depth=2
	v_mov_b32_e32 v38, v3
	v_mov_b32_e32 v39, v3
	ds_store_b64 v33, v[38:39]
.LBB47_40:                              ;   in Loop: Header=BB47_6 Depth=2
	s_and_not1_saveexec_b32 s5, s5
	s_cbranch_execz .LBB47_42
; %bb.41:                               ;   in Loop: Header=BB47_6 Depth=2
	global_load_b64 v[38:39], v[19:20], off
	s_waitcnt vmcnt(0)
	ds_store_b64 v33, v[38:39]
.LBB47_42:                              ;   in Loop: Header=BB47_6 Depth=2
	s_or_b32 exec_lo, exec_lo, s5
	v_cmp_gt_i64_e64 s5, s[18:19], v[23:24]
	s_delay_alu instid0(VALU_DEP_1) | instskip(NEXT) | instid1(SALU_CYCLE_1)
	s_and_b32 s7, vcc_lo, s5
	s_xor_b32 s7, s7, -1
	s_delay_alu instid0(SALU_CYCLE_1) | instskip(NEXT) | instid1(SALU_CYCLE_1)
	s_and_saveexec_b32 s8, s7
	s_xor_b32 s7, exec_lo, s8
	s_cbranch_execz .LBB47_44
; %bb.43:                               ;   in Loop: Header=BB47_6 Depth=2
	v_mov_b32_e32 v38, v3
	v_mov_b32_e32 v39, v3
	ds_store_b64 v33, v[38:39] offset:128
.LBB47_44:                              ;   in Loop: Header=BB47_6 Depth=2
	s_and_not1_saveexec_b32 s7, s7
	s_cbranch_execz .LBB47_46
; %bb.45:                               ;   in Loop: Header=BB47_6 Depth=2
	global_load_b64 v[38:39], v[19:20], off offset:128
	s_waitcnt vmcnt(0)
	ds_store_b64 v33, v[38:39] offset:128
.LBB47_46:                              ;   in Loop: Header=BB47_6 Depth=2
	s_or_b32 exec_lo, exec_lo, s7
	s_and_b32 s6, s4, s6
	s_delay_alu instid0(SALU_CYCLE_1) | instskip(NEXT) | instid1(SALU_CYCLE_1)
	s_xor_b32 s6, s6, -1
	s_and_saveexec_b32 s7, s6
	s_delay_alu instid0(SALU_CYCLE_1)
	s_xor_b32 s6, exec_lo, s7
	s_cbranch_execz .LBB47_48
; %bb.47:                               ;   in Loop: Header=BB47_6 Depth=2
	v_mov_b32_e32 v38, v3
	v_mov_b32_e32 v39, v3
	ds_store_b64 v33, v[38:39] offset:4096
.LBB47_48:                              ;   in Loop: Header=BB47_6 Depth=2
	s_and_not1_saveexec_b32 s7, s6
	s_cbranch_execz .LBB47_50
; %bb.49:                               ;   in Loop: Header=BB47_6 Depth=2
	s_lshl_b64 s[36:37], s[20:21], 3
	s_delay_alu instid0(SALU_CYCLE_1) | instskip(NEXT) | instid1(VALU_DEP_1)
	v_add_co_u32 v38, s6, v19, s36
	v_add_co_ci_u32_e64 v39, s6, s37, v20, s6
	global_load_b64 v[38:39], v[38:39], off
	s_waitcnt vmcnt(0)
	ds_store_b64 v33, v[38:39] offset:4096
.LBB47_50:                              ;   in Loop: Header=BB47_6 Depth=2
	s_or_b32 exec_lo, exec_lo, s7
	s_and_b32 s5, s4, s5
	s_delay_alu instid0(SALU_CYCLE_1) | instskip(NEXT) | instid1(SALU_CYCLE_1)
	s_xor_b32 s5, s5, -1
	s_and_saveexec_b32 s6, s5
	s_delay_alu instid0(SALU_CYCLE_1)
	s_xor_b32 s5, exec_lo, s6
	s_cbranch_execz .LBB47_52
; %bb.51:                               ;   in Loop: Header=BB47_6 Depth=2
	v_mov_b32_e32 v38, v3
	v_mov_b32_e32 v39, v3
	ds_store_b64 v33, v[38:39] offset:4224
.LBB47_52:                              ;   in Loop: Header=BB47_6 Depth=2
	s_and_not1_saveexec_b32 s6, s5
	s_cbranch_execz .LBB47_54
; %bb.53:                               ;   in Loop: Header=BB47_6 Depth=2
	s_lshl_b64 s[36:37], s[20:21], 3
	s_delay_alu instid0(SALU_CYCLE_1) | instskip(NEXT) | instid1(VALU_DEP_1)
	v_add_co_u32 v38, s5, v19, s36
	v_add_co_ci_u32_e64 v39, s5, s37, v20, s5
	global_load_b64 v[38:39], v[38:39], off offset:128
	s_waitcnt vmcnt(0)
	ds_store_b64 v33, v[38:39] offset:4224
.LBB47_54:                              ;   in Loop: Header=BB47_6 Depth=2
	s_or_b32 exec_lo, exec_lo, s6
	v_mov_b32_e32 v38, v0
	s_mov_b32 s5, 0
	s_waitcnt lgkmcnt(0)
	s_waitcnt_vscnt null, 0x0
	s_barrier
	buffer_gl0_inv
.LBB47_55:                              ;   Parent Loop BB47_4 Depth=1
                                        ;     Parent Loop BB47_6 Depth=2
                                        ; =>    This Inner Loop Header: Depth=3
	v_add_nc_u32_e32 v59, s5, v31
	s_add_i32 s5, s5, 64
	ds_load_2addr_b64 v[39:42], v38 offset1:16
	ds_load_b128 v[43:46], v59
	ds_load_b128 v[47:50], v59 offset:4096
	ds_load_b128 v[51:54], v59 offset:16
	;; [unrolled: 1-line block ×3, first 2 shown]
	s_cmpk_lg_i32 s5, 0x100
	s_waitcnt lgkmcnt(3)
	v_fma_f64 v[29:30], v[39:40], v[43:44], v[29:30]
	v_fma_f64 v[27:28], v[41:42], v[43:44], v[27:28]
	s_waitcnt lgkmcnt(2)
	v_fma_f64 v[39:40], v[39:40], v[47:48], v[17:18]
	v_fma_f64 v[41:42], v[41:42], v[47:48], v[15:16]
	ds_load_2addr_b64 v[15:18], v38 offset0:32 offset1:48
	s_waitcnt lgkmcnt(0)
	v_fma_f64 v[29:30], v[15:16], v[45:46], v[29:30]
	v_fma_f64 v[27:28], v[17:18], v[45:46], v[27:28]
	v_fma_f64 v[39:40], v[15:16], v[49:50], v[39:40]
	v_fma_f64 v[41:42], v[17:18], v[49:50], v[41:42]
	ds_load_2addr_b64 v[15:18], v38 offset0:64 offset1:80
	s_waitcnt lgkmcnt(0)
	v_fma_f64 v[29:30], v[15:16], v[51:52], v[29:30]
	v_fma_f64 v[27:28], v[17:18], v[51:52], v[27:28]
	;; [unrolled: 6-line block ×3, first 2 shown]
	v_fma_f64 v[55:56], v[15:16], v[57:58], v[39:40]
	v_fma_f64 v[57:58], v[17:18], v[57:58], v[41:42]
	ds_load_2addr_b64 v[15:18], v38 offset0:128 offset1:144
	ds_load_b128 v[27:30], v59 offset:32
	ds_load_b128 v[39:42], v59 offset:4128
	;; [unrolled: 1-line block ×4, first 2 shown]
	s_waitcnt lgkmcnt(3)
	v_fma_f64 v[51:52], v[15:16], v[27:28], v[51:52]
	v_fma_f64 v[27:28], v[17:18], v[27:28], v[53:54]
	s_waitcnt lgkmcnt(2)
	v_fma_f64 v[53:54], v[15:16], v[39:40], v[55:56]
	v_fma_f64 v[39:40], v[17:18], v[39:40], v[57:58]
	ds_load_2addr_b64 v[15:18], v38 offset0:160 offset1:176
	s_waitcnt lgkmcnt(0)
	v_fma_f64 v[51:52], v[15:16], v[29:30], v[51:52]
	v_fma_f64 v[27:28], v[17:18], v[29:30], v[27:28]
	;; [unrolled: 1-line block ×4, first 2 shown]
	ds_load_2addr_b64 v[15:18], v38 offset0:192 offset1:208
	s_waitcnt lgkmcnt(0)
	v_fma_f64 v[51:52], v[15:16], v[43:44], v[51:52]
	v_fma_f64 v[27:28], v[17:18], v[43:44], v[27:28]
	;; [unrolled: 1-line block ×4, first 2 shown]
	ds_load_2addr_b64 v[39:42], v38 offset0:224 offset1:240
	v_add_nc_u32_e32 v38, 0x800, v38
	s_waitcnt lgkmcnt(0)
	v_fma_f64 v[29:30], v[39:40], v[45:46], v[51:52]
	v_fma_f64 v[27:28], v[41:42], v[45:46], v[27:28]
	;; [unrolled: 1-line block ×4, first 2 shown]
	s_cbranch_scc1 .LBB47_55
; %bb.56:                               ;   in Loop: Header=BB47_6 Depth=2
	v_add_co_u32 v25, s5, 0x100, v25
	s_delay_alu instid0(VALU_DEP_1) | instskip(SKIP_1) | instid1(VALU_DEP_1)
	v_add_co_ci_u32_e64 v26, s5, 0, v26, s5
	v_add_co_u32 v21, s5, v21, 32
	v_add_co_ci_u32_e64 v22, s5, 0, v22, s5
	v_add_co_u32 v19, s5, 0x100, v19
	s_delay_alu instid0(VALU_DEP_1) | instskip(SKIP_1) | instid1(VALU_DEP_1)
	v_add_co_ci_u32_e64 v20, s5, 0, v20, s5
	v_add_co_u32 v23, s5, v23, 32
	v_add_co_ci_u32_e64 v24, s5, 0, v24, s5
	s_add_i32 s5, s9, 32
	s_cmp_ge_i32 s9, s25
	s_barrier
	buffer_gl0_inv
	s_cbranch_scc1 .LBB47_58
; %bb.57:                               ;   in Loop: Header=BB47_6 Depth=2
	s_mov_b32 s9, s5
	s_branch .LBB47_6
.LBB47_58:                              ;   in Loop: Header=BB47_4 Depth=1
	v_mul_lo_u32 v21, v37, s40
	v_mul_lo_u32 v22, v36, s41
	v_mad_u64_u32 v[19:20], null, v36, s40, 0
	v_cmp_gt_i32_e32 vcc_lo, s10, v36
	s_delay_alu instid0(VALU_DEP_2) | instskip(NEXT) | instid1(VALU_DEP_1)
	v_add3_u32 v20, v20, v22, v21
	v_lshlrev_b64 v[19:20], 3, v[19:20]
	s_delay_alu instid0(VALU_DEP_1) | instskip(NEXT) | instid1(VALU_DEP_1)
	v_add_co_u32 v19, s4, s15, v19
	v_add_co_ci_u32_e64 v20, s4, s24, v20, s4
	s_and_b32 s4, s1, vcc_lo
	s_delay_alu instid0(SALU_CYCLE_1)
	s_and_saveexec_b32 s5, s4
	s_cbranch_execz .LBB47_60
; %bb.59:                               ;   in Loop: Header=BB47_4 Depth=1
	v_lshlrev_b64 v[21:22], 3, v[7:8]
	s_delay_alu instid0(VALU_DEP_1) | instskip(NEXT) | instid1(VALU_DEP_1)
	v_add_co_u32 v21, s4, v19, v21
	v_add_co_ci_u32_e64 v22, s4, v20, v22, s4
	global_load_b64 v[23:24], v[21:22], off
	s_waitcnt vmcnt(0)
	v_fma_f64 v[23:24], v[29:30], s[34:35], v[23:24]
	global_store_b64 v[21:22], v[23:24], off
.LBB47_60:                              ;   in Loop: Header=BB47_4 Depth=1
	s_or_b32 exec_lo, exec_lo, s5
	s_and_b32 s5, s3, vcc_lo
	s_delay_alu instid0(SALU_CYCLE_1)
	s_and_saveexec_b32 s4, s5
	s_cbranch_execz .LBB47_62
; %bb.61:                               ;   in Loop: Header=BB47_4 Depth=1
	v_lshlrev_b64 v[21:22], 3, v[9:10]
	s_delay_alu instid0(VALU_DEP_1) | instskip(NEXT) | instid1(VALU_DEP_2)
	v_add_co_u32 v19, vcc_lo, v19, v21
	v_add_co_ci_u32_e32 v20, vcc_lo, v20, v22, vcc_lo
	global_load_b64 v[21:22], v[19:20], off
	s_waitcnt vmcnt(0)
	v_fma_f64 v[21:22], v[27:28], s[34:35], v[21:22]
	global_store_b64 v[19:20], v[21:22], off
.LBB47_62:                              ;   in Loop: Header=BB47_4 Depth=1
	s_or_b32 exec_lo, exec_lo, s4
	v_add_nc_u32_e32 v21, 16, v36
	s_delay_alu instid0(VALU_DEP_1) | instskip(SKIP_3) | instid1(VALU_DEP_4)
	v_ashrrev_i32_e32 v22, 31, v21
	v_mul_lo_u32 v23, v21, s41
	v_mad_u64_u32 v[19:20], null, v21, s40, 0
	v_cmp_gt_i32_e32 vcc_lo, s10, v21
	v_mul_lo_u32 v22, v22, s40
	s_delay_alu instid0(VALU_DEP_1) | instskip(NEXT) | instid1(VALU_DEP_1)
	v_add3_u32 v20, v20, v23, v22
	v_lshlrev_b64 v[19:20], 3, v[19:20]
	s_delay_alu instid0(VALU_DEP_1) | instskip(NEXT) | instid1(VALU_DEP_1)
	v_add_co_u32 v19, s4, s15, v19
	v_add_co_ci_u32_e64 v20, s4, s24, v20, s4
	s_and_b32 s4, s1, vcc_lo
	s_delay_alu instid0(SALU_CYCLE_1)
	s_and_saveexec_b32 s5, s4
	s_cbranch_execnz .LBB47_64
; %bb.63:                               ;   in Loop: Header=BB47_4 Depth=1
	s_or_b32 exec_lo, exec_lo, s5
	s_and_b32 s5, s3, vcc_lo
	s_delay_alu instid0(SALU_CYCLE_1)
	s_and_saveexec_b32 s4, s5
	s_cbranch_execz .LBB47_3
	s_branch .LBB47_65
.LBB47_64:                              ;   in Loop: Header=BB47_4 Depth=1
	v_lshlrev_b64 v[21:22], 3, v[7:8]
	s_delay_alu instid0(VALU_DEP_1) | instskip(NEXT) | instid1(VALU_DEP_1)
	v_add_co_u32 v21, s4, v19, v21
	v_add_co_ci_u32_e64 v22, s4, v20, v22, s4
	global_load_b64 v[23:24], v[21:22], off
	s_waitcnt vmcnt(0)
	v_fma_f64 v[17:18], v[17:18], s[34:35], v[23:24]
	global_store_b64 v[21:22], v[17:18], off
	s_or_b32 exec_lo, exec_lo, s5
	s_and_b32 s5, s3, vcc_lo
	s_delay_alu instid0(SALU_CYCLE_1)
	s_and_saveexec_b32 s4, s5
	s_cbranch_execz .LBB47_3
.LBB47_65:                              ;   in Loop: Header=BB47_4 Depth=1
	v_lshlrev_b64 v[17:18], 3, v[9:10]
	s_delay_alu instid0(VALU_DEP_1) | instskip(NEXT) | instid1(VALU_DEP_2)
	v_add_co_u32 v17, vcc_lo, v19, v17
	v_add_co_ci_u32_e32 v18, vcc_lo, v20, v18, vcc_lo
	global_load_b64 v[19:20], v[17:18], off
	s_waitcnt vmcnt(0)
	v_fma_f64 v[15:16], v[15:16], s[34:35], v[19:20]
	global_store_b64 v[17:18], v[15:16], off
	s_branch .LBB47_3
.LBB47_66:
	s_nop 0
	s_sendmsg sendmsg(MSG_DEALLOC_VGPRS)
	s_endpgm
	.section	.rodata,"a",@progbits
	.p2align	6, 0x0
	.amdhsa_kernel _ZL30rocblas_trmm_outofplace_kernelIdLi32ELi2ELb1ELb1ELb1ELb1EdKddEv17rocblas_diagonal_iiT6_lPT7_lllS4_lllPT8_llli
		.amdhsa_group_segment_fixed_size 16384
		.amdhsa_private_segment_fixed_size 0
		.amdhsa_kernarg_size 392
		.amdhsa_user_sgpr_count 13
		.amdhsa_user_sgpr_dispatch_ptr 0
		.amdhsa_user_sgpr_queue_ptr 0
		.amdhsa_user_sgpr_kernarg_segment_ptr 1
		.amdhsa_user_sgpr_dispatch_id 0
		.amdhsa_user_sgpr_private_segment_size 0
		.amdhsa_wavefront_size32 1
		.amdhsa_uses_dynamic_stack 0
		.amdhsa_enable_private_segment 0
		.amdhsa_system_sgpr_workgroup_id_x 1
		.amdhsa_system_sgpr_workgroup_id_y 1
		.amdhsa_system_sgpr_workgroup_id_z 1
		.amdhsa_system_sgpr_workgroup_info 0
		.amdhsa_system_vgpr_workitem_id 1
		.amdhsa_next_free_vgpr 60
		.amdhsa_next_free_sgpr 44
		.amdhsa_reserve_vcc 1
		.amdhsa_float_round_mode_32 0
		.amdhsa_float_round_mode_16_64 0
		.amdhsa_float_denorm_mode_32 3
		.amdhsa_float_denorm_mode_16_64 3
		.amdhsa_dx10_clamp 1
		.amdhsa_ieee_mode 1
		.amdhsa_fp16_overflow 0
		.amdhsa_workgroup_processor_mode 1
		.amdhsa_memory_ordered 1
		.amdhsa_forward_progress 0
		.amdhsa_shared_vgpr_count 0
		.amdhsa_exception_fp_ieee_invalid_op 0
		.amdhsa_exception_fp_denorm_src 0
		.amdhsa_exception_fp_ieee_div_zero 0
		.amdhsa_exception_fp_ieee_overflow 0
		.amdhsa_exception_fp_ieee_underflow 0
		.amdhsa_exception_fp_ieee_inexact 0
		.amdhsa_exception_int_div_zero 0
	.end_amdhsa_kernel
	.section	.text._ZL30rocblas_trmm_outofplace_kernelIdLi32ELi2ELb1ELb1ELb1ELb1EdKddEv17rocblas_diagonal_iiT6_lPT7_lllS4_lllPT8_llli,"axG",@progbits,_ZL30rocblas_trmm_outofplace_kernelIdLi32ELi2ELb1ELb1ELb1ELb1EdKddEv17rocblas_diagonal_iiT6_lPT7_lllS4_lllPT8_llli,comdat
.Lfunc_end47:
	.size	_ZL30rocblas_trmm_outofplace_kernelIdLi32ELi2ELb1ELb1ELb1ELb1EdKddEv17rocblas_diagonal_iiT6_lPT7_lllS4_lllPT8_llli, .Lfunc_end47-_ZL30rocblas_trmm_outofplace_kernelIdLi32ELi2ELb1ELb1ELb1ELb1EdKddEv17rocblas_diagonal_iiT6_lPT7_lllS4_lllPT8_llli
                                        ; -- End function
	.section	.AMDGPU.csdata,"",@progbits
; Kernel info:
; codeLenInByte = 2860
; NumSgprs: 46
; NumVgprs: 60
; ScratchSize: 0
; MemoryBound: 1
; FloatMode: 240
; IeeeMode: 1
; LDSByteSize: 16384 bytes/workgroup (compile time only)
; SGPRBlocks: 5
; VGPRBlocks: 7
; NumSGPRsForWavesPerEU: 46
; NumVGPRsForWavesPerEU: 60
; Occupancy: 16
; WaveLimiterHint : 0
; COMPUTE_PGM_RSRC2:SCRATCH_EN: 0
; COMPUTE_PGM_RSRC2:USER_SGPR: 13
; COMPUTE_PGM_RSRC2:TRAP_HANDLER: 0
; COMPUTE_PGM_RSRC2:TGID_X_EN: 1
; COMPUTE_PGM_RSRC2:TGID_Y_EN: 1
; COMPUTE_PGM_RSRC2:TGID_Z_EN: 1
; COMPUTE_PGM_RSRC2:TIDIG_COMP_CNT: 1
	.section	.text._ZL30rocblas_trmm_outofplace_kernelIdLi32ELi2ELb0ELb0ELb0ELb0EPKdS0_dEv17rocblas_diagonal_iiT6_lPT7_lllS5_lllPT8_llli,"axG",@progbits,_ZL30rocblas_trmm_outofplace_kernelIdLi32ELi2ELb0ELb0ELb0ELb0EPKdS0_dEv17rocblas_diagonal_iiT6_lPT7_lllS5_lllPT8_llli,comdat
	.globl	_ZL30rocblas_trmm_outofplace_kernelIdLi32ELi2ELb0ELb0ELb0ELb0EPKdS0_dEv17rocblas_diagonal_iiT6_lPT7_lllS5_lllPT8_llli ; -- Begin function _ZL30rocblas_trmm_outofplace_kernelIdLi32ELi2ELb0ELb0ELb0ELb0EPKdS0_dEv17rocblas_diagonal_iiT6_lPT7_lllS5_lllPT8_llli
	.p2align	8
	.type	_ZL30rocblas_trmm_outofplace_kernelIdLi32ELi2ELb0ELb0ELb0ELb0EPKdS0_dEv17rocblas_diagonal_iiT6_lPT7_lllS5_lllPT8_llli,@function
_ZL30rocblas_trmm_outofplace_kernelIdLi32ELi2ELb0ELb0ELb0ELb0EPKdS0_dEv17rocblas_diagonal_iiT6_lPT7_lllS5_lllPT8_llli: ; @_ZL30rocblas_trmm_outofplace_kernelIdLi32ELi2ELb0ELb0ELb0ELb0EPKdS0_dEv17rocblas_diagonal_iiT6_lPT7_lllS5_lllPT8_llli
; %bb.0:
	s_load_b512 s[16:31], s[0:1], 0x10
	s_waitcnt lgkmcnt(0)
	s_mul_i32 s2, s15, s19
	s_mul_hi_u32 s3, s15, s18
	s_delay_alu instid0(SALU_CYCLE_1) | instskip(SKIP_1) | instid1(SALU_CYCLE_1)
	s_add_i32 s3, s3, s2
	s_mul_i32 s2, s15, s18
	s_lshl_b64 s[2:3], s[2:3], 3
	s_delay_alu instid0(SALU_CYCLE_1) | instskip(SKIP_4) | instid1(VALU_DEP_1)
	s_add_u32 s2, s16, s2
	s_addc_u32 s3, s17, s3
	s_load_b64 s[34:35], s[2:3], 0x0
	s_waitcnt lgkmcnt(0)
	v_cmp_eq_f64_e64 s2, s[34:35], 0
	s_and_b32 vcc_lo, exec_lo, s2
	s_cbranch_vccnz .LBB48_65
; %bb.1:
	s_load_b128 s[8:11], s[0:1], 0x0
	s_waitcnt lgkmcnt(0)
	s_add_i32 s2, s10, -1
	s_delay_alu instid0(SALU_CYCLE_1) | instskip(NEXT) | instid1(SALU_CYCLE_1)
	s_ashr_i32 s3, s2, 31
	s_lshr_b32 s3, s3, 27
	s_delay_alu instid0(SALU_CYCLE_1) | instskip(NEXT) | instid1(SALU_CYCLE_1)
	s_add_i32 s2, s2, s3
	s_ashr_i32 s33, s2, 5
	s_delay_alu instid0(SALU_CYCLE_1)
	s_cmp_gt_i32 s14, s33
	s_cbranch_scc1 .LBB48_65
; %bb.2:
	s_clause 0x1
	s_load_b256 s[36:43], s[0:1], 0x50
	s_load_b128 s[16:19], s[0:1], 0x70
	s_mul_i32 s3, s15, s27
	s_mul_hi_u32 s4, s15, s26
	s_mul_i32 s2, s15, s26
	s_add_i32 s3, s4, s3
	v_and_b32_e32 v27, 0x3ff, v0
	s_lshl_b64 s[2:3], s[2:3], 3
	s_load_b32 s26, s[0:1], 0x8c
	s_add_u32 s4, s20, s2
	s_addc_u32 s5, s21, s3
	s_lshl_b64 s[2:3], s[22:23], 3
	v_lshl_add_u32 v4, s13, 5, v27
	s_add_u32 s27, s4, s2
	s_addc_u32 s44, s5, s3
	v_bfe_u32 v0, v0, 10, 10
	v_lshlrev_b32_e32 v3, 3, v27
	v_ashrrev_i32_e32 v5, 31, v4
	s_delay_alu instid0(VALU_DEP_3)
	v_lshlrev_b32_e32 v30, 8, v0
	s_waitcnt lgkmcnt(0)
	s_mul_i32 s1, s15, s39
	s_mul_hi_u32 s2, s15, s38
	s_mul_i32 s0, s15, s38
	s_add_i32 s1, s2, s1
	s_mul_i32 s3, s15, s19
	s_lshl_b64 s[0:1], s[0:1], 3
	s_mul_hi_u32 s4, s15, s18
	s_add_u32 s5, s28, s0
	s_addc_u32 s6, s29, s1
	s_lshl_b64 s[0:1], s[30:31], 3
	s_mul_i32 s2, s15, s18
	s_add_u32 s5, s5, s0
	s_addc_u32 s6, s6, s1
	s_add_i32 s3, s4, s3
	v_lshlrev_b64 v[1:2], 3, v[4:5]
	s_lshl_b64 s[0:1], s[2:3], 3
	s_delay_alu instid0(SALU_CYCLE_1) | instskip(SKIP_2) | instid1(VALU_DEP_1)
	s_add_u32 s2, s40, s0
	s_addc_u32 s3, s41, s1
	s_lshl_b64 s[0:1], s[42:43], 3
	v_add_co_u32 v28, vcc_lo, s5, v1
	s_add_u32 s15, s2, s0
	s_addc_u32 s28, s3, s1
	s_cmpk_eq_i32 s8, 0x84
	v_add_co_ci_u32_e32 v29, vcc_lo, s6, v2, vcc_lo
	s_cselect_b32 s29, -1, 0
	s_ashr_i32 s0, s9, 31
	v_sub_co_u32 v6, vcc_lo, s9, v4
	v_sub_co_ci_u32_e32 v7, vcc_lo, s0, v5, vcc_lo
	v_mov_b32_e32 v5, 0
	v_cmp_gt_i32_e64 s1, s9, v4
	s_ashr_i32 s11, s10, 31
	s_delay_alu instid0(VALU_DEP_3)
	v_cmp_gt_i64_e32 vcc_lo, 1, v[6:7]
	v_cmp_gt_i64_e64 s0, 17, v[6:7]
	v_mov_b32_e32 v6, 0x3ff00000
	v_or_b32_e32 v31, 0x2000, v3
	v_add_nc_u32_e32 v32, v30, v3
	v_add_nc_u32_e32 v3, 16, v4
	s_lshl_b64 s[12:13], s[36:37], 8
	s_lshl_b64 s[18:19], s[24:25], 4
	v_add_nc_u32_e32 v33, v31, v30
	s_add_u32 s20, s10, -16
	v_cmp_gt_i32_e64 s2, s9, v3
	v_ashrrev_i32_e32 v4, 31, v3
	s_addc_u32 s21, s11, -1
	s_lshl_b64 s[22:23], s[36:37], 4
	s_branch .LBB48_4
.LBB48_3:                               ;   in Loop: Header=BB48_4 Depth=1
	s_or_b32 exec_lo, exec_lo, s4
	s_add_i32 s14, s26, s14
	s_delay_alu instid0(SALU_CYCLE_1)
	s_cmp_le_i32 s14, s33
	s_cbranch_scc0 .LBB48_65
.LBB48_4:                               ; =>This Loop Header: Depth=1
                                        ;     Child Loop BB48_6 Depth 2
                                        ;       Child Loop BB48_55 Depth 3
	s_lshl_b32 s3, s14, 5
	v_mov_b32_e32 v25, 0
	v_dual_mov_b32 v26, 0 :: v_dual_add_nc_u32 v7, s3, v0
	s_delay_alu instid0(VALU_DEP_2) | instskip(SKIP_1) | instid1(VALU_DEP_3)
	v_mov_b32_e32 v23, v25
	v_mov_b32_e32 v19, v25
	v_dual_mov_b32 v13, v25 :: v_dual_mov_b32 v14, v26
	v_mov_b32_e32 v24, v26
	v_mov_b32_e32 v20, v26
	v_ashrrev_i32_e32 v8, 31, v7
	s_sub_i32 s30, s10, s3
	s_delay_alu instid0(SALU_CYCLE_1)
	s_cmp_lt_i32 s30, 1
	s_cbranch_scc1 .LBB48_57
; %bb.5:                                ;   in Loop: Header=BB48_4 Depth=1
	s_delay_alu instid0(VALU_DEP_1)
	v_mul_lo_u32 v9, v8, s36
	v_mul_lo_u32 v14, v7, s37
	v_mad_u64_u32 v[10:11], null, v7, s36, 0
	v_mul_lo_u32 v15, v8, s24
	v_mul_lo_u32 v16, v7, s25
	v_mad_u64_u32 v[12:13], null, v7, s24, 0
	s_mov_b32 s31, 0
	v_mov_b32_e32 v22, v8
	v_add3_u32 v11, v11, v14, v9
	v_add_nc_u32_e32 v9, s3, v27
	v_mov_b32_e32 v21, v7
	v_add3_u32 v13, v13, v16, v15
	s_delay_alu instid0(VALU_DEP_4) | instskip(NEXT) | instid1(VALU_DEP_2)
	v_lshlrev_b64 v[14:15], 3, v[10:11]
	v_lshlrev_b64 v[16:17], 3, v[12:13]
	s_delay_alu instid0(VALU_DEP_2)
	v_add_co_u32 v11, s3, v28, v14
	v_mov_b32_e32 v13, 0
	v_mov_b32_e32 v14, 0
	v_ashrrev_i32_e32 v10, 31, v9
	v_add_co_ci_u32_e64 v12, s3, v29, v15, s3
	v_add_co_u32 v19, s3, s27, v16
	s_delay_alu instid0(VALU_DEP_1) | instskip(NEXT) | instid1(VALU_DEP_4)
	v_add_co_ci_u32_e64 v20, s3, s44, v17, s3
	v_lshlrev_b64 v[17:18], 3, v[9:10]
	v_add_co_u32 v15, s3, v7, 16
	s_delay_alu instid0(VALU_DEP_1) | instskip(SKIP_1) | instid1(VALU_DEP_4)
	v_add_co_ci_u32_e64 v16, s3, 0, v8, s3
	v_dual_mov_b32 v24, v14 :: v_dual_mov_b32 v23, v13
	v_add_co_u32 v17, s3, v19, v17
	s_delay_alu instid0(VALU_DEP_1) | instskip(NEXT) | instid1(VALU_DEP_4)
	v_add_co_ci_u32_e64 v18, s3, v20, v18, s3
	v_cmp_le_i64_e64 s4, s[10:11], v[15:16]
	v_cmp_le_i32_e64 s3, s10, v7
	v_dual_mov_b32 v20, v14 :: v_dual_mov_b32 v19, v13
	v_dual_mov_b32 v26, v14 :: v_dual_mov_b32 v25, v13
.LBB48_6:                               ;   Parent Loop BB48_4 Depth=1
                                        ; =>  This Loop Header: Depth=2
                                        ;       Child Loop BB48_55 Depth 3
	v_cmp_lt_i64_e64 s5, v[9:10], v[7:8]
	v_cmp_eq_u64_e64 s7, v[9:10], v[7:8]
	v_cmp_le_i64_e64 s6, s[10:11], v[9:10]
	s_delay_alu instid0(VALU_DEP_3) | instskip(NEXT) | instid1(VALU_DEP_2)
	s_or_b32 s8, s3, s5
	s_and_b32 s39, s29, s7
	s_delay_alu instid0(VALU_DEP_1) | instskip(NEXT) | instid1(SALU_CYCLE_1)
	s_or_b32 s7, s6, s8
	s_or_b32 s7, s7, s39
	s_delay_alu instid0(SALU_CYCLE_1) | instskip(NEXT) | instid1(SALU_CYCLE_1)
	s_xor_b32 s7, s7, -1
	s_and_saveexec_b32 s8, s7
	s_delay_alu instid0(SALU_CYCLE_1)
	s_xor_b32 s7, exec_lo, s8
	s_cbranch_execz .LBB48_8
; %bb.7:                                ;   in Loop: Header=BB48_6 Depth=2
	global_load_b64 v[34:35], v[17:18], off
	s_waitcnt vmcnt(0)
	ds_store_b64 v32, v[34:35]
.LBB48_8:                               ;   in Loop: Header=BB48_6 Depth=2
	s_or_saveexec_b32 s7, s7
	s_xor_b32 s38, s39, -1
	s_xor_b32 exec_lo, exec_lo, s7
	s_cbranch_execz .LBB48_14
; %bb.9:                                ;   in Loop: Header=BB48_6 Depth=2
	s_and_saveexec_b32 s8, s38
	s_delay_alu instid0(SALU_CYCLE_1)
	s_xor_b32 s8, exec_lo, s8
	s_cbranch_execz .LBB48_11
; %bb.10:                               ;   in Loop: Header=BB48_6 Depth=2
	v_mov_b32_e32 v34, v5
	v_mov_b32_e32 v35, v5
	ds_store_b64 v32, v[34:35]
.LBB48_11:                              ;   in Loop: Header=BB48_6 Depth=2
	s_and_not1_saveexec_b32 s8, s8
	s_cbranch_execz .LBB48_13
; %bb.12:                               ;   in Loop: Header=BB48_6 Depth=2
	ds_store_b64 v32, v[5:6]
.LBB48_13:                              ;   in Loop: Header=BB48_6 Depth=2
	s_or_b32 exec_lo, exec_lo, s8
.LBB48_14:                              ;   in Loop: Header=BB48_6 Depth=2
	s_delay_alu instid0(SALU_CYCLE_1) | instskip(SKIP_1) | instid1(VALU_DEP_1)
	s_or_b32 exec_lo, exec_lo, s7
	v_add_co_u32 v34, s7, v9, 16
	v_add_co_ci_u32_e64 v35, s7, 0, v10, s7
	s_delay_alu instid0(VALU_DEP_1) | instskip(SKIP_2) | instid1(VALU_DEP_3)
	v_cmp_lt_i64_e64 s8, v[34:35], v[7:8]
	v_cmp_eq_u64_e64 s9, v[34:35], v[7:8]
	v_cmp_le_i64_e64 s7, s[10:11], v[34:35]
	s_or_b32 s8, s3, s8
	s_delay_alu instid0(VALU_DEP_2) | instskip(NEXT) | instid1(VALU_DEP_1)
	s_and_b32 s9, s29, s9
	s_or_b32 s8, s7, s8
	s_delay_alu instid0(SALU_CYCLE_1) | instskip(NEXT) | instid1(SALU_CYCLE_1)
	s_or_b32 s8, s8, s9
	s_xor_b32 s8, s8, -1
	s_delay_alu instid0(SALU_CYCLE_1) | instskip(NEXT) | instid1(SALU_CYCLE_1)
	s_and_saveexec_b32 s40, s8
	s_xor_b32 s8, exec_lo, s40
	s_cbranch_execz .LBB48_16
; %bb.15:                               ;   in Loop: Header=BB48_6 Depth=2
	global_load_b64 v[34:35], v[17:18], off offset:128
	s_waitcnt vmcnt(0)
	ds_store_b64 v32, v[34:35] offset:128
.LBB48_16:                              ;   in Loop: Header=BB48_6 Depth=2
	s_and_not1_saveexec_b32 s8, s8
	s_cbranch_execz .LBB48_22
; %bb.17:                               ;   in Loop: Header=BB48_6 Depth=2
	s_xor_b32 s9, s9, -1
	s_delay_alu instid0(SALU_CYCLE_1) | instskip(NEXT) | instid1(SALU_CYCLE_1)
	s_and_saveexec_b32 s40, s9
	s_xor_b32 s9, exec_lo, s40
	s_cbranch_execz .LBB48_19
; %bb.18:                               ;   in Loop: Header=BB48_6 Depth=2
	v_mov_b32_e32 v34, v5
	v_mov_b32_e32 v35, v5
	ds_store_b64 v32, v[34:35] offset:128
.LBB48_19:                              ;   in Loop: Header=BB48_6 Depth=2
	s_and_not1_saveexec_b32 s9, s9
	s_cbranch_execz .LBB48_21
; %bb.20:                               ;   in Loop: Header=BB48_6 Depth=2
	ds_store_b64 v32, v[5:6] offset:128
.LBB48_21:                              ;   in Loop: Header=BB48_6 Depth=2
	s_or_b32 exec_lo, exec_lo, s9
.LBB48_22:                              ;   in Loop: Header=BB48_6 Depth=2
	s_delay_alu instid0(SALU_CYCLE_1) | instskip(SKIP_2) | instid1(VALU_DEP_2)
	s_or_b32 exec_lo, exec_lo, s8
	v_cmp_eq_u64_e64 s8, v[9:10], v[15:16]
	v_cmp_lt_i64_e64 s9, v[9:10], v[15:16]
	s_and_b32 s8, s29, s8
	s_delay_alu instid0(VALU_DEP_1) | instskip(NEXT) | instid1(SALU_CYCLE_1)
	s_or_b32 s9, s4, s9
	s_or_b32 s9, s9, s8
	s_delay_alu instid0(SALU_CYCLE_1) | instskip(NEXT) | instid1(SALU_CYCLE_1)
	s_or_b32 s6, s6, s9
	s_xor_b32 s6, s6, -1
	s_delay_alu instid0(SALU_CYCLE_1) | instskip(NEXT) | instid1(SALU_CYCLE_1)
	s_and_saveexec_b32 s9, s6
	s_xor_b32 s9, exec_lo, s9
	s_cbranch_execz .LBB48_24
; %bb.23:                               ;   in Loop: Header=BB48_6 Depth=2
	s_lshl_b64 s[40:41], s[18:19], 3
	s_delay_alu instid0(SALU_CYCLE_1) | instskip(NEXT) | instid1(VALU_DEP_1)
	v_add_co_u32 v34, s6, v17, s40
	v_add_co_ci_u32_e64 v35, s6, s41, v18, s6
	global_load_b64 v[34:35], v[34:35], off
	s_waitcnt vmcnt(0)
	ds_store_b64 v32, v[34:35] offset:4096
.LBB48_24:                              ;   in Loop: Header=BB48_6 Depth=2
	s_and_not1_saveexec_b32 s6, s9
	s_cbranch_execz .LBB48_30
; %bb.25:                               ;   in Loop: Header=BB48_6 Depth=2
	s_xor_b32 s8, s8, -1
	s_delay_alu instid0(SALU_CYCLE_1) | instskip(NEXT) | instid1(SALU_CYCLE_1)
	s_and_saveexec_b32 s9, s8
	s_xor_b32 s8, exec_lo, s9
	s_cbranch_execz .LBB48_27
; %bb.26:                               ;   in Loop: Header=BB48_6 Depth=2
	v_mov_b32_e32 v34, v5
	v_mov_b32_e32 v35, v5
	ds_store_b64 v32, v[34:35] offset:4096
.LBB48_27:                              ;   in Loop: Header=BB48_6 Depth=2
	s_and_not1_saveexec_b32 s8, s8
	s_cbranch_execz .LBB48_29
; %bb.28:                               ;   in Loop: Header=BB48_6 Depth=2
	ds_store_b64 v32, v[5:6] offset:4096
.LBB48_29:                              ;   in Loop: Header=BB48_6 Depth=2
	s_or_b32 exec_lo, exec_lo, s8
.LBB48_30:                              ;   in Loop: Header=BB48_6 Depth=2
	s_delay_alu instid0(SALU_CYCLE_1) | instskip(SKIP_1) | instid1(SALU_CYCLE_1)
	s_or_b32 exec_lo, exec_lo, s6
	s_or_b32 s5, s4, s5
	s_or_b32 s5, s7, s5
	s_delay_alu instid0(SALU_CYCLE_1) | instskip(NEXT) | instid1(SALU_CYCLE_1)
	s_or_b32 s5, s5, s39
	s_xor_b32 s5, s5, -1
	s_delay_alu instid0(SALU_CYCLE_1) | instskip(NEXT) | instid1(SALU_CYCLE_1)
	s_and_saveexec_b32 s6, s5
	s_xor_b32 s6, exec_lo, s6
	s_cbranch_execz .LBB48_32
; %bb.31:                               ;   in Loop: Header=BB48_6 Depth=2
	s_lshl_b64 s[8:9], s[18:19], 3
	s_delay_alu instid0(SALU_CYCLE_1) | instskip(NEXT) | instid1(VALU_DEP_1)
	v_add_co_u32 v34, s5, v17, s8
	v_add_co_ci_u32_e64 v35, s5, s9, v18, s5
	global_load_b64 v[34:35], v[34:35], off offset:128
	s_waitcnt vmcnt(0)
	ds_store_b64 v32, v[34:35] offset:4224
.LBB48_32:                              ;   in Loop: Header=BB48_6 Depth=2
	s_and_not1_saveexec_b32 s5, s6
	s_cbranch_execz .LBB48_38
; %bb.33:                               ;   in Loop: Header=BB48_6 Depth=2
	s_and_saveexec_b32 s6, s38
	s_delay_alu instid0(SALU_CYCLE_1)
	s_xor_b32 s6, exec_lo, s6
	s_cbranch_execz .LBB48_35
; %bb.34:                               ;   in Loop: Header=BB48_6 Depth=2
	v_mov_b32_e32 v34, v5
	v_mov_b32_e32 v35, v5
	ds_store_b64 v32, v[34:35] offset:4224
.LBB48_35:                              ;   in Loop: Header=BB48_6 Depth=2
	s_and_not1_saveexec_b32 s6, s6
	s_cbranch_execz .LBB48_37
; %bb.36:                               ;   in Loop: Header=BB48_6 Depth=2
	ds_store_b64 v32, v[5:6] offset:4224
.LBB48_37:                              ;   in Loop: Header=BB48_6 Depth=2
	s_or_b32 exec_lo, exec_lo, s6
.LBB48_38:                              ;   in Loop: Header=BB48_6 Depth=2
	s_delay_alu instid0(SALU_CYCLE_1) | instskip(SKIP_1) | instid1(VALU_DEP_1)
	s_or_b32 exec_lo, exec_lo, s5
	v_cmp_le_i64_e64 s5, s[10:11], v[21:22]
	s_or_b32 s6, s5, vcc_lo
	s_delay_alu instid0(SALU_CYCLE_1) | instskip(NEXT) | instid1(SALU_CYCLE_1)
	s_xor_b32 s6, s6, -1
	s_and_saveexec_b32 s7, s6
	s_delay_alu instid0(SALU_CYCLE_1)
	s_xor_b32 s6, exec_lo, s7
	s_cbranch_execz .LBB48_40
; %bb.39:                               ;   in Loop: Header=BB48_6 Depth=2
	global_load_b64 v[34:35], v[11:12], off
	s_waitcnt vmcnt(0)
	ds_store_b64 v33, v[34:35]
.LBB48_40:                              ;   in Loop: Header=BB48_6 Depth=2
	s_and_not1_saveexec_b32 s6, s6
	s_cbranch_execz .LBB48_42
; %bb.41:                               ;   in Loop: Header=BB48_6 Depth=2
	v_mov_b32_e32 v34, v5
	v_mov_b32_e32 v35, v5
	ds_store_b64 v33, v[34:35]
.LBB48_42:                              ;   in Loop: Header=BB48_6 Depth=2
	s_or_b32 exec_lo, exec_lo, s6
	s_or_b32 s5, s5, s0
	s_delay_alu instid0(SALU_CYCLE_1) | instskip(NEXT) | instid1(SALU_CYCLE_1)
	s_xor_b32 s5, s5, -1
	s_and_saveexec_b32 s6, s5
	s_delay_alu instid0(SALU_CYCLE_1)
	s_xor_b32 s5, exec_lo, s6
	s_cbranch_execz .LBB48_44
; %bb.43:                               ;   in Loop: Header=BB48_6 Depth=2
	global_load_b64 v[34:35], v[11:12], off offset:128
	s_waitcnt vmcnt(0)
	ds_store_b64 v33, v[34:35] offset:128
.LBB48_44:                              ;   in Loop: Header=BB48_6 Depth=2
	s_and_not1_saveexec_b32 s5, s5
	s_cbranch_execz .LBB48_46
; %bb.45:                               ;   in Loop: Header=BB48_6 Depth=2
	v_mov_b32_e32 v34, v5
	v_mov_b32_e32 v35, v5
	ds_store_b64 v33, v[34:35] offset:128
.LBB48_46:                              ;   in Loop: Header=BB48_6 Depth=2
	s_or_b32 exec_lo, exec_lo, s5
	v_cmp_le_i64_e64 s5, s[20:21], v[21:22]
	s_delay_alu instid0(VALU_DEP_1) | instskip(NEXT) | instid1(SALU_CYCLE_1)
	s_or_b32 s6, s5, vcc_lo
	s_xor_b32 s6, s6, -1
	s_delay_alu instid0(SALU_CYCLE_1) | instskip(NEXT) | instid1(SALU_CYCLE_1)
	s_and_saveexec_b32 s7, s6
	s_xor_b32 s7, exec_lo, s7
	s_cbranch_execz .LBB48_48
; %bb.47:                               ;   in Loop: Header=BB48_6 Depth=2
	s_lshl_b64 s[8:9], s[22:23], 3
	s_delay_alu instid0(SALU_CYCLE_1) | instskip(NEXT) | instid1(VALU_DEP_1)
	v_add_co_u32 v34, s6, v11, s8
	v_add_co_ci_u32_e64 v35, s6, s9, v12, s6
	global_load_b64 v[34:35], v[34:35], off
	s_waitcnt vmcnt(0)
	ds_store_b64 v33, v[34:35] offset:4096
.LBB48_48:                              ;   in Loop: Header=BB48_6 Depth=2
	s_and_not1_saveexec_b32 s6, s7
	s_cbranch_execz .LBB48_50
; %bb.49:                               ;   in Loop: Header=BB48_6 Depth=2
	v_mov_b32_e32 v34, v5
	v_mov_b32_e32 v35, v5
	ds_store_b64 v33, v[34:35] offset:4096
.LBB48_50:                              ;   in Loop: Header=BB48_6 Depth=2
	s_or_b32 exec_lo, exec_lo, s6
	s_or_b32 s5, s5, s0
	s_delay_alu instid0(SALU_CYCLE_1) | instskip(NEXT) | instid1(SALU_CYCLE_1)
	s_xor_b32 s5, s5, -1
	s_and_saveexec_b32 s6, s5
	s_delay_alu instid0(SALU_CYCLE_1)
	s_xor_b32 s6, exec_lo, s6
	s_cbranch_execz .LBB48_52
; %bb.51:                               ;   in Loop: Header=BB48_6 Depth=2
	s_lshl_b64 s[8:9], s[22:23], 3
	s_delay_alu instid0(SALU_CYCLE_1) | instskip(NEXT) | instid1(VALU_DEP_1)
	v_add_co_u32 v34, s5, v11, s8
	v_add_co_ci_u32_e64 v35, s5, s9, v12, s5
	global_load_b64 v[34:35], v[34:35], off offset:128
	s_waitcnt vmcnt(0)
	ds_store_b64 v33, v[34:35] offset:4224
.LBB48_52:                              ;   in Loop: Header=BB48_6 Depth=2
	s_and_not1_saveexec_b32 s5, s6
	s_cbranch_execz .LBB48_54
; %bb.53:                               ;   in Loop: Header=BB48_6 Depth=2
	v_mov_b32_e32 v34, v5
	v_mov_b32_e32 v35, v5
	ds_store_b64 v33, v[34:35] offset:4224
.LBB48_54:                              ;   in Loop: Header=BB48_6 Depth=2
	s_or_b32 exec_lo, exec_lo, s5
	v_mov_b32_e32 v34, v31
	s_mov_b32 s5, 0
	s_waitcnt lgkmcnt(0)
	s_waitcnt_vscnt null, 0x0
	s_barrier
	buffer_gl0_inv
.LBB48_55:                              ;   Parent Loop BB48_4 Depth=1
                                        ;     Parent Loop BB48_6 Depth=2
                                        ; =>    This Inner Loop Header: Depth=3
	v_add_nc_u32_e32 v57, s5, v30
	s_add_i32 s5, s5, 64
	ds_load_2addr_b64 v[35:38], v34 offset1:16
	ds_load_b128 v[39:42], v57
	ds_load_b128 v[43:46], v57 offset:4096
	ds_load_b128 v[47:50], v57 offset:16
	;; [unrolled: 1-line block ×3, first 2 shown]
	s_cmpk_lg_i32 s5, 0x100
	s_waitcnt lgkmcnt(3)
	v_fma_f64 v[55:56], v[35:36], v[39:40], v[25:26]
	v_fma_f64 v[39:40], v[37:38], v[39:40], v[23:24]
	s_waitcnt lgkmcnt(2)
	v_fma_f64 v[19:20], v[35:36], v[43:44], v[19:20]
	v_fma_f64 v[13:14], v[37:38], v[43:44], v[13:14]
	ds_load_2addr_b64 v[23:26], v34 offset0:32 offset1:48
	s_waitcnt lgkmcnt(0)
	v_fma_f64 v[35:36], v[23:24], v[41:42], v[55:56]
	v_fma_f64 v[37:38], v[25:26], v[41:42], v[39:40]
	v_fma_f64 v[19:20], v[23:24], v[45:46], v[19:20]
	v_fma_f64 v[13:14], v[25:26], v[45:46], v[13:14]
	ds_load_2addr_b64 v[23:26], v34 offset0:64 offset1:80
	s_waitcnt lgkmcnt(0)
	v_fma_f64 v[35:36], v[23:24], v[47:48], v[35:36]
	v_fma_f64 v[37:38], v[25:26], v[47:48], v[37:38]
	;; [unrolled: 6-line block ×3, first 2 shown]
	v_fma_f64 v[19:20], v[23:24], v[53:54], v[19:20]
	v_fma_f64 v[13:14], v[25:26], v[53:54], v[13:14]
	ds_load_2addr_b64 v[23:26], v34 offset0:128 offset1:144
	ds_load_b128 v[35:38], v57 offset:32
	ds_load_b128 v[39:42], v57 offset:4128
	;; [unrolled: 1-line block ×4, first 2 shown]
	s_waitcnt lgkmcnt(3)
	v_fma_f64 v[51:52], v[23:24], v[35:36], v[51:52]
	v_fma_f64 v[35:36], v[25:26], v[35:36], v[55:56]
	s_waitcnt lgkmcnt(2)
	v_fma_f64 v[19:20], v[23:24], v[39:40], v[19:20]
	v_fma_f64 v[13:14], v[25:26], v[39:40], v[13:14]
	ds_load_2addr_b64 v[23:26], v34 offset0:160 offset1:176
	s_waitcnt lgkmcnt(0)
	v_fma_f64 v[39:40], v[23:24], v[37:38], v[51:52]
	v_fma_f64 v[35:36], v[25:26], v[37:38], v[35:36]
	;; [unrolled: 1-line block ×4, first 2 shown]
	ds_load_2addr_b64 v[23:26], v34 offset0:192 offset1:208
	s_waitcnt lgkmcnt(0)
	v_fma_f64 v[39:40], v[23:24], v[43:44], v[39:40]
	v_fma_f64 v[41:42], v[25:26], v[43:44], v[35:36]
	;; [unrolled: 1-line block ×4, first 2 shown]
	ds_load_2addr_b64 v[35:38], v34 offset0:224 offset1:240
	v_add_nc_u32_e32 v34, 0x800, v34
	s_waitcnt lgkmcnt(0)
	v_fma_f64 v[25:26], v[35:36], v[45:46], v[39:40]
	v_fma_f64 v[23:24], v[37:38], v[45:46], v[41:42]
	;; [unrolled: 1-line block ×4, first 2 shown]
	s_cbranch_scc1 .LBB48_55
; %bb.56:                               ;   in Loop: Header=BB48_6 Depth=2
	v_add_co_u32 v17, s5, 0x100, v17
	s_delay_alu instid0(VALU_DEP_1) | instskip(SKIP_1) | instid1(VALU_DEP_1)
	v_add_co_ci_u32_e64 v18, s5, 0, v18, s5
	v_add_co_u32 v9, s5, v9, 32
	v_add_co_ci_u32_e64 v10, s5, 0, v10, s5
	v_add_co_u32 v11, s5, v11, s12
	s_delay_alu instid0(VALU_DEP_1) | instskip(SKIP_1) | instid1(VALU_DEP_1)
	v_add_co_ci_u32_e64 v12, s5, s13, v12, s5
	v_add_co_u32 v21, s5, v21, 32
	v_add_co_ci_u32_e64 v22, s5, 0, v22, s5
	s_add_i32 s31, s31, 32
	s_delay_alu instid0(SALU_CYCLE_1)
	s_cmp_ge_i32 s31, s30
	s_barrier
	buffer_gl0_inv
	s_cbranch_scc0 .LBB48_6
.LBB48_57:                              ;   in Loop: Header=BB48_4 Depth=1
	s_delay_alu instid0(VALU_DEP_1) | instskip(SKIP_3) | instid1(VALU_DEP_2)
	v_mul_lo_u32 v10, v8, s16
	v_mul_lo_u32 v11, v7, s17
	v_mad_u64_u32 v[8:9], null, v7, s16, 0
	v_cmp_gt_i32_e64 s3, s10, v7
	v_add3_u32 v9, v9, v11, v10
	s_delay_alu instid0(VALU_DEP_1) | instskip(NEXT) | instid1(VALU_DEP_1)
	v_lshlrev_b64 v[8:9], 3, v[8:9]
	v_add_co_u32 v8, s4, s15, v8
	s_delay_alu instid0(VALU_DEP_1) | instskip(SKIP_1) | instid1(SALU_CYCLE_1)
	v_add_co_ci_u32_e64 v9, s4, s28, v9, s4
	s_and_b32 s4, s1, s3
	s_and_saveexec_b32 s5, s4
	s_cbranch_execz .LBB48_59
; %bb.58:                               ;   in Loop: Header=BB48_4 Depth=1
	v_add_co_u32 v10, s4, v8, v1
	s_delay_alu instid0(VALU_DEP_1)
	v_add_co_ci_u32_e64 v11, s4, v9, v2, s4
	global_load_b64 v[15:16], v[10:11], off
	s_waitcnt vmcnt(0)
	v_fma_f64 v[15:16], s[34:35], v[25:26], v[15:16]
	global_store_b64 v[10:11], v[15:16], off
.LBB48_59:                              ;   in Loop: Header=BB48_4 Depth=1
	s_or_b32 exec_lo, exec_lo, s5
	s_and_b32 s3, s2, s3
	s_delay_alu instid0(SALU_CYCLE_1)
	s_and_saveexec_b32 s4, s3
	s_cbranch_execz .LBB48_61
; %bb.60:                               ;   in Loop: Header=BB48_4 Depth=1
	v_lshlrev_b64 v[10:11], 3, v[3:4]
	s_delay_alu instid0(VALU_DEP_1) | instskip(NEXT) | instid1(VALU_DEP_1)
	v_add_co_u32 v8, s3, v8, v10
	v_add_co_ci_u32_e64 v9, s3, v9, v11, s3
	global_load_b64 v[10:11], v[8:9], off
	s_waitcnt vmcnt(0)
	v_fma_f64 v[10:11], s[34:35], v[23:24], v[10:11]
	global_store_b64 v[8:9], v[10:11], off
.LBB48_61:                              ;   in Loop: Header=BB48_4 Depth=1
	s_or_b32 exec_lo, exec_lo, s4
	v_add_nc_u32_e32 v9, 16, v7
	s_delay_alu instid0(VALU_DEP_1) | instskip(SKIP_3) | instid1(VALU_DEP_4)
	v_ashrrev_i32_e32 v10, 31, v9
	v_mul_lo_u32 v11, v9, s17
	v_mad_u64_u32 v[7:8], null, v9, s16, 0
	v_cmp_gt_i32_e64 s3, s10, v9
	v_mul_lo_u32 v10, v10, s16
	s_delay_alu instid0(VALU_DEP_1) | instskip(NEXT) | instid1(VALU_DEP_1)
	v_add3_u32 v8, v8, v11, v10
	v_lshlrev_b64 v[7:8], 3, v[7:8]
	s_delay_alu instid0(VALU_DEP_1) | instskip(NEXT) | instid1(VALU_DEP_1)
	v_add_co_u32 v7, s4, s15, v7
	v_add_co_ci_u32_e64 v8, s4, s28, v8, s4
	s_and_b32 s4, s1, s3
	s_delay_alu instid0(SALU_CYCLE_1)
	s_and_saveexec_b32 s5, s4
	s_cbranch_execnz .LBB48_63
; %bb.62:                               ;   in Loop: Header=BB48_4 Depth=1
	s_or_b32 exec_lo, exec_lo, s5
	s_and_b32 s3, s2, s3
	s_delay_alu instid0(SALU_CYCLE_1)
	s_and_saveexec_b32 s4, s3
	s_cbranch_execz .LBB48_3
	s_branch .LBB48_64
.LBB48_63:                              ;   in Loop: Header=BB48_4 Depth=1
	v_add_co_u32 v9, s4, v7, v1
	s_delay_alu instid0(VALU_DEP_1)
	v_add_co_ci_u32_e64 v10, s4, v8, v2, s4
	global_load_b64 v[11:12], v[9:10], off
	s_waitcnt vmcnt(0)
	v_fma_f64 v[11:12], s[34:35], v[19:20], v[11:12]
	global_store_b64 v[9:10], v[11:12], off
	s_or_b32 exec_lo, exec_lo, s5
	s_and_b32 s3, s2, s3
	s_delay_alu instid0(SALU_CYCLE_1)
	s_and_saveexec_b32 s4, s3
	s_cbranch_execz .LBB48_3
.LBB48_64:                              ;   in Loop: Header=BB48_4 Depth=1
	v_lshlrev_b64 v[9:10], 3, v[3:4]
	s_delay_alu instid0(VALU_DEP_1) | instskip(NEXT) | instid1(VALU_DEP_1)
	v_add_co_u32 v7, s3, v7, v9
	v_add_co_ci_u32_e64 v8, s3, v8, v10, s3
	global_load_b64 v[9:10], v[7:8], off
	s_waitcnt vmcnt(0)
	v_fma_f64 v[9:10], s[34:35], v[13:14], v[9:10]
	global_store_b64 v[7:8], v[9:10], off
	s_branch .LBB48_3
.LBB48_65:
	s_nop 0
	s_sendmsg sendmsg(MSG_DEALLOC_VGPRS)
	s_endpgm
	.section	.rodata,"a",@progbits
	.p2align	6, 0x0
	.amdhsa_kernel _ZL30rocblas_trmm_outofplace_kernelIdLi32ELi2ELb0ELb0ELb0ELb0EPKdS0_dEv17rocblas_diagonal_iiT6_lPT7_lllS5_lllPT8_llli
		.amdhsa_group_segment_fixed_size 16384
		.amdhsa_private_segment_fixed_size 0
		.amdhsa_kernarg_size 392
		.amdhsa_user_sgpr_count 13
		.amdhsa_user_sgpr_dispatch_ptr 0
		.amdhsa_user_sgpr_queue_ptr 0
		.amdhsa_user_sgpr_kernarg_segment_ptr 1
		.amdhsa_user_sgpr_dispatch_id 0
		.amdhsa_user_sgpr_private_segment_size 0
		.amdhsa_wavefront_size32 1
		.amdhsa_uses_dynamic_stack 0
		.amdhsa_enable_private_segment 0
		.amdhsa_system_sgpr_workgroup_id_x 1
		.amdhsa_system_sgpr_workgroup_id_y 1
		.amdhsa_system_sgpr_workgroup_id_z 1
		.amdhsa_system_sgpr_workgroup_info 0
		.amdhsa_system_vgpr_workitem_id 1
		.amdhsa_next_free_vgpr 58
		.amdhsa_next_free_sgpr 45
		.amdhsa_reserve_vcc 1
		.amdhsa_float_round_mode_32 0
		.amdhsa_float_round_mode_16_64 0
		.amdhsa_float_denorm_mode_32 3
		.amdhsa_float_denorm_mode_16_64 3
		.amdhsa_dx10_clamp 1
		.amdhsa_ieee_mode 1
		.amdhsa_fp16_overflow 0
		.amdhsa_workgroup_processor_mode 1
		.amdhsa_memory_ordered 1
		.amdhsa_forward_progress 0
		.amdhsa_shared_vgpr_count 0
		.amdhsa_exception_fp_ieee_invalid_op 0
		.amdhsa_exception_fp_denorm_src 0
		.amdhsa_exception_fp_ieee_div_zero 0
		.amdhsa_exception_fp_ieee_overflow 0
		.amdhsa_exception_fp_ieee_underflow 0
		.amdhsa_exception_fp_ieee_inexact 0
		.amdhsa_exception_int_div_zero 0
	.end_amdhsa_kernel
	.section	.text._ZL30rocblas_trmm_outofplace_kernelIdLi32ELi2ELb0ELb0ELb0ELb0EPKdS0_dEv17rocblas_diagonal_iiT6_lPT7_lllS5_lllPT8_llli,"axG",@progbits,_ZL30rocblas_trmm_outofplace_kernelIdLi32ELi2ELb0ELb0ELb0ELb0EPKdS0_dEv17rocblas_diagonal_iiT6_lPT7_lllS5_lllPT8_llli,comdat
.Lfunc_end48:
	.size	_ZL30rocblas_trmm_outofplace_kernelIdLi32ELi2ELb0ELb0ELb0ELb0EPKdS0_dEv17rocblas_diagonal_iiT6_lPT7_lllS5_lllPT8_llli, .Lfunc_end48-_ZL30rocblas_trmm_outofplace_kernelIdLi32ELi2ELb0ELb0ELb0ELb0EPKdS0_dEv17rocblas_diagonal_iiT6_lPT7_lllS5_lllPT8_llli
                                        ; -- End function
	.section	.AMDGPU.csdata,"",@progbits
; Kernel info:
; codeLenInByte = 2892
; NumSgprs: 47
; NumVgprs: 58
; ScratchSize: 0
; MemoryBound: 1
; FloatMode: 240
; IeeeMode: 1
; LDSByteSize: 16384 bytes/workgroup (compile time only)
; SGPRBlocks: 5
; VGPRBlocks: 7
; NumSGPRsForWavesPerEU: 47
; NumVGPRsForWavesPerEU: 58
; Occupancy: 16
; WaveLimiterHint : 0
; COMPUTE_PGM_RSRC2:SCRATCH_EN: 0
; COMPUTE_PGM_RSRC2:USER_SGPR: 13
; COMPUTE_PGM_RSRC2:TRAP_HANDLER: 0
; COMPUTE_PGM_RSRC2:TGID_X_EN: 1
; COMPUTE_PGM_RSRC2:TGID_Y_EN: 1
; COMPUTE_PGM_RSRC2:TGID_Z_EN: 1
; COMPUTE_PGM_RSRC2:TIDIG_COMP_CNT: 1
	.section	.text._ZL30rocblas_trmm_outofplace_kernelIdLi32ELi2ELb0ELb0ELb0ELb0EdKddEv17rocblas_diagonal_iiT6_lPT7_lllS4_lllPT8_llli,"axG",@progbits,_ZL30rocblas_trmm_outofplace_kernelIdLi32ELi2ELb0ELb0ELb0ELb0EdKddEv17rocblas_diagonal_iiT6_lPT7_lllS4_lllPT8_llli,comdat
	.globl	_ZL30rocblas_trmm_outofplace_kernelIdLi32ELi2ELb0ELb0ELb0ELb0EdKddEv17rocblas_diagonal_iiT6_lPT7_lllS4_lllPT8_llli ; -- Begin function _ZL30rocblas_trmm_outofplace_kernelIdLi32ELi2ELb0ELb0ELb0ELb0EdKddEv17rocblas_diagonal_iiT6_lPT7_lllS4_lllPT8_llli
	.p2align	8
	.type	_ZL30rocblas_trmm_outofplace_kernelIdLi32ELi2ELb0ELb0ELb0ELb0EdKddEv17rocblas_diagonal_iiT6_lPT7_lllS4_lllPT8_llli,@function
_ZL30rocblas_trmm_outofplace_kernelIdLi32ELi2ELb0ELb0ELb0ELb0EdKddEv17rocblas_diagonal_iiT6_lPT7_lllS4_lllPT8_llli: ; @_ZL30rocblas_trmm_outofplace_kernelIdLi32ELi2ELb0ELb0ELb0ELb0EdKddEv17rocblas_diagonal_iiT6_lPT7_lllS4_lllPT8_llli
; %bb.0:
	s_load_b64 s[34:35], s[0:1], 0x10
	s_waitcnt lgkmcnt(0)
	v_cmp_eq_f64_e64 s2, s[34:35], 0
	s_delay_alu instid0(VALU_DEP_1)
	s_and_b32 vcc_lo, exec_lo, s2
	s_cbranch_vccnz .LBB49_65
; %bb.1:
	s_load_b128 s[8:11], s[0:1], 0x0
	s_waitcnt lgkmcnt(0)
	s_add_i32 s2, s10, -1
	s_delay_alu instid0(SALU_CYCLE_1) | instskip(NEXT) | instid1(SALU_CYCLE_1)
	s_ashr_i32 s3, s2, 31
	s_lshr_b32 s3, s3, 27
	s_delay_alu instid0(SALU_CYCLE_1) | instskip(NEXT) | instid1(SALU_CYCLE_1)
	s_add_i32 s2, s2, s3
	s_ashr_i32 s33, s2, 5
	s_delay_alu instid0(SALU_CYCLE_1)
	s_cmp_gt_i32 s14, s33
	s_cbranch_scc1 .LBB49_65
; %bb.2:
	s_clause 0x2
	s_load_b512 s[16:31], s[0:1], 0x20
	s_load_b256 s[36:43], s[0:1], 0x60
	s_load_b32 s44, s[0:1], 0x8c
	v_and_b32_e32 v26, 0x3ff, v0
	v_bfe_u32 v27, v0, 10, 10
	s_delay_alu instid0(VALU_DEP_2) | instskip(SKIP_1) | instid1(VALU_DEP_3)
	v_lshl_add_u32 v3, s13, 5, v26
	v_lshlrev_b32_e32 v2, 3, v26
	v_lshlrev_b32_e32 v28, 8, v27
	s_delay_alu instid0(VALU_DEP_3) | instskip(NEXT) | instid1(VALU_DEP_1)
	v_ashrrev_i32_e32 v4, 31, v3
	v_lshlrev_b64 v[0:1], 3, v[3:4]
	s_waitcnt lgkmcnt(0)
	s_mul_i32 s1, s15, s23
	s_mul_hi_u32 s2, s15, s22
	s_mul_i32 s0, s15, s22
	s_add_i32 s1, s2, s1
	s_mul_i32 s3, s15, s31
	s_lshl_b64 s[0:1], s[0:1], 3
	s_mul_hi_u32 s4, s15, s30
	s_add_u32 s5, s16, s0
	s_addc_u32 s6, s17, s1
	s_lshl_b64 s[0:1], s[18:19], 3
	s_mul_i32 s2, s15, s30
	s_add_u32 s30, s5, s0
	s_addc_u32 s31, s6, s1
	s_add_i32 s3, s4, s3
	s_mul_i32 s4, s15, s43
	s_lshl_b64 s[0:1], s[2:3], 3
	s_mul_hi_u32 s3, s15, s42
	s_add_u32 s5, s24, s0
	s_addc_u32 s6, s25, s1
	s_lshl_b64 s[0:1], s[26:27], 3
	s_mul_i32 s2, s15, s42
	s_add_u32 s5, s5, s0
	s_addc_u32 s6, s6, s1
	s_add_i32 s3, s3, s4
	v_add_co_u32 v29, vcc_lo, s5, v0
	s_lshl_b64 s[0:1], s[2:3], 3
	v_add_co_ci_u32_e32 v30, vcc_lo, s6, v1, vcc_lo
	s_add_u32 s2, s36, s0
	s_addc_u32 s3, s37, s1
	s_lshl_b64 s[0:1], s[38:39], 3
	v_sub_co_u32 v5, vcc_lo, s9, v3
	s_add_u32 s15, s2, s0
	s_addc_u32 s24, s3, s1
	s_cmpk_eq_i32 s8, 0x84
	v_cmp_gt_i32_e64 s1, s9, v3
	s_cselect_b32 s25, -1, 0
	s_ashr_i32 s0, s9, 31
	s_ashr_i32 s11, s10, 31
	v_sub_co_ci_u32_e32 v6, vcc_lo, s0, v4, vcc_lo
	v_mov_b32_e32 v4, 0
	s_lshl_b64 s[12:13], s[28:29], 8
	s_lshl_b64 s[16:17], s[20:21], 4
	s_delay_alu instid0(VALU_DEP_2)
	v_cmp_gt_i64_e32 vcc_lo, 1, v[5:6]
	v_cmp_gt_i64_e64 s0, 17, v[5:6]
	v_mov_b32_e32 v5, 0x3ff00000
	v_or_b32_e32 v31, 0x2000, v2
	v_add_nc_u32_e32 v32, v28, v2
	v_add_nc_u32_e32 v2, 16, v3
	s_add_u32 s18, s10, -16
	s_addc_u32 s19, s11, -1
	v_add_nc_u32_e32 v33, v31, v28
	s_lshl_b64 s[22:23], s[28:29], 4
	v_cmp_gt_i32_e64 s2, s9, v2
	v_ashrrev_i32_e32 v3, 31, v2
	s_branch .LBB49_4
.LBB49_3:                               ;   in Loop: Header=BB49_4 Depth=1
	s_or_b32 exec_lo, exec_lo, s4
	s_add_i32 s14, s44, s14
	s_delay_alu instid0(SALU_CYCLE_1)
	s_cmp_le_i32 s14, s33
	s_cbranch_scc0 .LBB49_65
.LBB49_4:                               ; =>This Loop Header: Depth=1
                                        ;     Child Loop BB49_6 Depth 2
                                        ;       Child Loop BB49_55 Depth 3
	s_lshl_b32 s3, s14, 5
	v_mov_b32_e32 v24, 0
	v_dual_mov_b32 v25, 0 :: v_dual_add_nc_u32 v6, s3, v27
	s_delay_alu instid0(VALU_DEP_2) | instskip(SKIP_1) | instid1(VALU_DEP_3)
	v_mov_b32_e32 v22, v24
	v_mov_b32_e32 v18, v24
	v_dual_mov_b32 v12, v24 :: v_dual_mov_b32 v13, v25
	v_mov_b32_e32 v23, v25
	v_mov_b32_e32 v19, v25
	v_ashrrev_i32_e32 v7, 31, v6
	s_sub_i32 s26, s10, s3
	s_delay_alu instid0(SALU_CYCLE_1)
	s_cmp_lt_i32 s26, 1
	s_cbranch_scc1 .LBB49_57
; %bb.5:                                ;   in Loop: Header=BB49_4 Depth=1
	s_delay_alu instid0(VALU_DEP_1)
	v_mul_lo_u32 v8, v7, s28
	v_mul_lo_u32 v13, v6, s29
	v_mad_u64_u32 v[9:10], null, v6, s28, 0
	v_mul_lo_u32 v14, v7, s20
	v_mul_lo_u32 v15, v6, s21
	v_mad_u64_u32 v[11:12], null, v6, s20, 0
	s_mov_b32 s27, 0
	v_mov_b32_e32 v21, v7
	v_add3_u32 v10, v10, v13, v8
	v_add_nc_u32_e32 v8, s3, v26
	v_mov_b32_e32 v20, v6
	v_add3_u32 v12, v12, v15, v14
	s_delay_alu instid0(VALU_DEP_4) | instskip(NEXT) | instid1(VALU_DEP_2)
	v_lshlrev_b64 v[13:14], 3, v[9:10]
	v_lshlrev_b64 v[15:16], 3, v[11:12]
	s_delay_alu instid0(VALU_DEP_2)
	v_add_co_u32 v10, s3, v29, v13
	v_mov_b32_e32 v12, 0
	v_mov_b32_e32 v13, 0
	v_ashrrev_i32_e32 v9, 31, v8
	v_add_co_ci_u32_e64 v11, s3, v30, v14, s3
	v_add_co_u32 v18, s3, s30, v15
	s_delay_alu instid0(VALU_DEP_1) | instskip(NEXT) | instid1(VALU_DEP_4)
	v_add_co_ci_u32_e64 v19, s3, s31, v16, s3
	v_lshlrev_b64 v[16:17], 3, v[8:9]
	v_add_co_u32 v14, s3, v6, 16
	s_delay_alu instid0(VALU_DEP_1) | instskip(SKIP_1) | instid1(VALU_DEP_4)
	v_add_co_ci_u32_e64 v15, s3, 0, v7, s3
	v_dual_mov_b32 v23, v13 :: v_dual_mov_b32 v22, v12
	v_add_co_u32 v16, s3, v18, v16
	s_delay_alu instid0(VALU_DEP_1) | instskip(NEXT) | instid1(VALU_DEP_4)
	v_add_co_ci_u32_e64 v17, s3, v19, v17, s3
	v_cmp_le_i64_e64 s4, s[10:11], v[14:15]
	v_cmp_le_i32_e64 s3, s10, v6
	v_dual_mov_b32 v19, v13 :: v_dual_mov_b32 v18, v12
	v_dual_mov_b32 v25, v13 :: v_dual_mov_b32 v24, v12
.LBB49_6:                               ;   Parent Loop BB49_4 Depth=1
                                        ; =>  This Loop Header: Depth=2
                                        ;       Child Loop BB49_55 Depth 3
	v_cmp_lt_i64_e64 s5, v[8:9], v[6:7]
	v_cmp_eq_u64_e64 s7, v[8:9], v[6:7]
	v_cmp_le_i64_e64 s6, s[10:11], v[8:9]
	s_delay_alu instid0(VALU_DEP_3) | instskip(NEXT) | instid1(VALU_DEP_2)
	s_or_b32 s8, s3, s5
	s_and_b32 s37, s25, s7
	s_delay_alu instid0(VALU_DEP_1) | instskip(NEXT) | instid1(SALU_CYCLE_1)
	s_or_b32 s7, s6, s8
	s_or_b32 s7, s7, s37
	s_delay_alu instid0(SALU_CYCLE_1) | instskip(NEXT) | instid1(SALU_CYCLE_1)
	s_xor_b32 s7, s7, -1
	s_and_saveexec_b32 s8, s7
	s_delay_alu instid0(SALU_CYCLE_1)
	s_xor_b32 s7, exec_lo, s8
	s_cbranch_execz .LBB49_8
; %bb.7:                                ;   in Loop: Header=BB49_6 Depth=2
	global_load_b64 v[34:35], v[16:17], off
	s_waitcnt vmcnt(0)
	ds_store_b64 v32, v[34:35]
.LBB49_8:                               ;   in Loop: Header=BB49_6 Depth=2
	s_or_saveexec_b32 s7, s7
	s_xor_b32 s36, s37, -1
	s_xor_b32 exec_lo, exec_lo, s7
	s_cbranch_execz .LBB49_14
; %bb.9:                                ;   in Loop: Header=BB49_6 Depth=2
	s_and_saveexec_b32 s8, s36
	s_delay_alu instid0(SALU_CYCLE_1)
	s_xor_b32 s8, exec_lo, s8
	s_cbranch_execz .LBB49_11
; %bb.10:                               ;   in Loop: Header=BB49_6 Depth=2
	v_mov_b32_e32 v34, v4
	v_mov_b32_e32 v35, v4
	ds_store_b64 v32, v[34:35]
.LBB49_11:                              ;   in Loop: Header=BB49_6 Depth=2
	s_and_not1_saveexec_b32 s8, s8
	s_cbranch_execz .LBB49_13
; %bb.12:                               ;   in Loop: Header=BB49_6 Depth=2
	ds_store_b64 v32, v[4:5]
.LBB49_13:                              ;   in Loop: Header=BB49_6 Depth=2
	s_or_b32 exec_lo, exec_lo, s8
.LBB49_14:                              ;   in Loop: Header=BB49_6 Depth=2
	s_delay_alu instid0(SALU_CYCLE_1) | instskip(SKIP_1) | instid1(VALU_DEP_1)
	s_or_b32 exec_lo, exec_lo, s7
	v_add_co_u32 v34, s7, v8, 16
	v_add_co_ci_u32_e64 v35, s7, 0, v9, s7
	s_delay_alu instid0(VALU_DEP_1) | instskip(SKIP_2) | instid1(VALU_DEP_3)
	v_cmp_lt_i64_e64 s8, v[34:35], v[6:7]
	v_cmp_eq_u64_e64 s9, v[34:35], v[6:7]
	v_cmp_le_i64_e64 s7, s[10:11], v[34:35]
	s_or_b32 s8, s3, s8
	s_delay_alu instid0(VALU_DEP_2) | instskip(NEXT) | instid1(VALU_DEP_1)
	s_and_b32 s9, s25, s9
	s_or_b32 s8, s7, s8
	s_delay_alu instid0(SALU_CYCLE_1) | instskip(NEXT) | instid1(SALU_CYCLE_1)
	s_or_b32 s8, s8, s9
	s_xor_b32 s8, s8, -1
	s_delay_alu instid0(SALU_CYCLE_1) | instskip(NEXT) | instid1(SALU_CYCLE_1)
	s_and_saveexec_b32 s38, s8
	s_xor_b32 s8, exec_lo, s38
	s_cbranch_execz .LBB49_16
; %bb.15:                               ;   in Loop: Header=BB49_6 Depth=2
	global_load_b64 v[34:35], v[16:17], off offset:128
	s_waitcnt vmcnt(0)
	ds_store_b64 v32, v[34:35] offset:128
.LBB49_16:                              ;   in Loop: Header=BB49_6 Depth=2
	s_and_not1_saveexec_b32 s8, s8
	s_cbranch_execz .LBB49_22
; %bb.17:                               ;   in Loop: Header=BB49_6 Depth=2
	s_xor_b32 s9, s9, -1
	s_delay_alu instid0(SALU_CYCLE_1) | instskip(NEXT) | instid1(SALU_CYCLE_1)
	s_and_saveexec_b32 s38, s9
	s_xor_b32 s9, exec_lo, s38
	s_cbranch_execz .LBB49_19
; %bb.18:                               ;   in Loop: Header=BB49_6 Depth=2
	v_mov_b32_e32 v34, v4
	v_mov_b32_e32 v35, v4
	ds_store_b64 v32, v[34:35] offset:128
.LBB49_19:                              ;   in Loop: Header=BB49_6 Depth=2
	s_and_not1_saveexec_b32 s9, s9
	s_cbranch_execz .LBB49_21
; %bb.20:                               ;   in Loop: Header=BB49_6 Depth=2
	ds_store_b64 v32, v[4:5] offset:128
.LBB49_21:                              ;   in Loop: Header=BB49_6 Depth=2
	s_or_b32 exec_lo, exec_lo, s9
.LBB49_22:                              ;   in Loop: Header=BB49_6 Depth=2
	s_delay_alu instid0(SALU_CYCLE_1) | instskip(SKIP_2) | instid1(VALU_DEP_2)
	s_or_b32 exec_lo, exec_lo, s8
	v_cmp_eq_u64_e64 s8, v[8:9], v[14:15]
	v_cmp_lt_i64_e64 s9, v[8:9], v[14:15]
	s_and_b32 s8, s25, s8
	s_delay_alu instid0(VALU_DEP_1) | instskip(NEXT) | instid1(SALU_CYCLE_1)
	s_or_b32 s9, s4, s9
	s_or_b32 s9, s9, s8
	s_delay_alu instid0(SALU_CYCLE_1) | instskip(NEXT) | instid1(SALU_CYCLE_1)
	s_or_b32 s6, s6, s9
	s_xor_b32 s6, s6, -1
	s_delay_alu instid0(SALU_CYCLE_1) | instskip(NEXT) | instid1(SALU_CYCLE_1)
	s_and_saveexec_b32 s9, s6
	s_xor_b32 s9, exec_lo, s9
	s_cbranch_execz .LBB49_24
; %bb.23:                               ;   in Loop: Header=BB49_6 Depth=2
	s_lshl_b64 s[38:39], s[16:17], 3
	s_delay_alu instid0(SALU_CYCLE_1) | instskip(NEXT) | instid1(VALU_DEP_1)
	v_add_co_u32 v34, s6, v16, s38
	v_add_co_ci_u32_e64 v35, s6, s39, v17, s6
	global_load_b64 v[34:35], v[34:35], off
	s_waitcnt vmcnt(0)
	ds_store_b64 v32, v[34:35] offset:4096
.LBB49_24:                              ;   in Loop: Header=BB49_6 Depth=2
	s_and_not1_saveexec_b32 s6, s9
	s_cbranch_execz .LBB49_30
; %bb.25:                               ;   in Loop: Header=BB49_6 Depth=2
	s_xor_b32 s8, s8, -1
	s_delay_alu instid0(SALU_CYCLE_1) | instskip(NEXT) | instid1(SALU_CYCLE_1)
	s_and_saveexec_b32 s9, s8
	s_xor_b32 s8, exec_lo, s9
	s_cbranch_execz .LBB49_27
; %bb.26:                               ;   in Loop: Header=BB49_6 Depth=2
	v_mov_b32_e32 v34, v4
	v_mov_b32_e32 v35, v4
	ds_store_b64 v32, v[34:35] offset:4096
.LBB49_27:                              ;   in Loop: Header=BB49_6 Depth=2
	s_and_not1_saveexec_b32 s8, s8
	s_cbranch_execz .LBB49_29
; %bb.28:                               ;   in Loop: Header=BB49_6 Depth=2
	ds_store_b64 v32, v[4:5] offset:4096
.LBB49_29:                              ;   in Loop: Header=BB49_6 Depth=2
	s_or_b32 exec_lo, exec_lo, s8
.LBB49_30:                              ;   in Loop: Header=BB49_6 Depth=2
	s_delay_alu instid0(SALU_CYCLE_1) | instskip(SKIP_1) | instid1(SALU_CYCLE_1)
	s_or_b32 exec_lo, exec_lo, s6
	s_or_b32 s5, s4, s5
	s_or_b32 s5, s7, s5
	s_delay_alu instid0(SALU_CYCLE_1) | instskip(NEXT) | instid1(SALU_CYCLE_1)
	s_or_b32 s5, s5, s37
	s_xor_b32 s5, s5, -1
	s_delay_alu instid0(SALU_CYCLE_1) | instskip(NEXT) | instid1(SALU_CYCLE_1)
	s_and_saveexec_b32 s6, s5
	s_xor_b32 s6, exec_lo, s6
	s_cbranch_execz .LBB49_32
; %bb.31:                               ;   in Loop: Header=BB49_6 Depth=2
	s_lshl_b64 s[8:9], s[16:17], 3
	s_delay_alu instid0(SALU_CYCLE_1) | instskip(NEXT) | instid1(VALU_DEP_1)
	v_add_co_u32 v34, s5, v16, s8
	v_add_co_ci_u32_e64 v35, s5, s9, v17, s5
	global_load_b64 v[34:35], v[34:35], off offset:128
	s_waitcnt vmcnt(0)
	ds_store_b64 v32, v[34:35] offset:4224
.LBB49_32:                              ;   in Loop: Header=BB49_6 Depth=2
	s_and_not1_saveexec_b32 s5, s6
	s_cbranch_execz .LBB49_38
; %bb.33:                               ;   in Loop: Header=BB49_6 Depth=2
	s_and_saveexec_b32 s6, s36
	s_delay_alu instid0(SALU_CYCLE_1)
	s_xor_b32 s6, exec_lo, s6
	s_cbranch_execz .LBB49_35
; %bb.34:                               ;   in Loop: Header=BB49_6 Depth=2
	v_mov_b32_e32 v34, v4
	v_mov_b32_e32 v35, v4
	ds_store_b64 v32, v[34:35] offset:4224
.LBB49_35:                              ;   in Loop: Header=BB49_6 Depth=2
	s_and_not1_saveexec_b32 s6, s6
	s_cbranch_execz .LBB49_37
; %bb.36:                               ;   in Loop: Header=BB49_6 Depth=2
	ds_store_b64 v32, v[4:5] offset:4224
.LBB49_37:                              ;   in Loop: Header=BB49_6 Depth=2
	s_or_b32 exec_lo, exec_lo, s6
.LBB49_38:                              ;   in Loop: Header=BB49_6 Depth=2
	s_delay_alu instid0(SALU_CYCLE_1) | instskip(SKIP_1) | instid1(VALU_DEP_1)
	s_or_b32 exec_lo, exec_lo, s5
	v_cmp_le_i64_e64 s5, s[10:11], v[20:21]
	s_or_b32 s6, s5, vcc_lo
	s_delay_alu instid0(SALU_CYCLE_1) | instskip(NEXT) | instid1(SALU_CYCLE_1)
	s_xor_b32 s6, s6, -1
	s_and_saveexec_b32 s7, s6
	s_delay_alu instid0(SALU_CYCLE_1)
	s_xor_b32 s6, exec_lo, s7
	s_cbranch_execz .LBB49_40
; %bb.39:                               ;   in Loop: Header=BB49_6 Depth=2
	global_load_b64 v[34:35], v[10:11], off
	s_waitcnt vmcnt(0)
	ds_store_b64 v33, v[34:35]
.LBB49_40:                              ;   in Loop: Header=BB49_6 Depth=2
	s_and_not1_saveexec_b32 s6, s6
	s_cbranch_execz .LBB49_42
; %bb.41:                               ;   in Loop: Header=BB49_6 Depth=2
	v_mov_b32_e32 v34, v4
	v_mov_b32_e32 v35, v4
	ds_store_b64 v33, v[34:35]
.LBB49_42:                              ;   in Loop: Header=BB49_6 Depth=2
	s_or_b32 exec_lo, exec_lo, s6
	s_or_b32 s5, s5, s0
	s_delay_alu instid0(SALU_CYCLE_1) | instskip(NEXT) | instid1(SALU_CYCLE_1)
	s_xor_b32 s5, s5, -1
	s_and_saveexec_b32 s6, s5
	s_delay_alu instid0(SALU_CYCLE_1)
	s_xor_b32 s5, exec_lo, s6
	s_cbranch_execz .LBB49_44
; %bb.43:                               ;   in Loop: Header=BB49_6 Depth=2
	global_load_b64 v[34:35], v[10:11], off offset:128
	s_waitcnt vmcnt(0)
	ds_store_b64 v33, v[34:35] offset:128
.LBB49_44:                              ;   in Loop: Header=BB49_6 Depth=2
	s_and_not1_saveexec_b32 s5, s5
	s_cbranch_execz .LBB49_46
; %bb.45:                               ;   in Loop: Header=BB49_6 Depth=2
	v_mov_b32_e32 v34, v4
	v_mov_b32_e32 v35, v4
	ds_store_b64 v33, v[34:35] offset:128
.LBB49_46:                              ;   in Loop: Header=BB49_6 Depth=2
	s_or_b32 exec_lo, exec_lo, s5
	v_cmp_le_i64_e64 s5, s[18:19], v[20:21]
	s_delay_alu instid0(VALU_DEP_1) | instskip(NEXT) | instid1(SALU_CYCLE_1)
	s_or_b32 s6, s5, vcc_lo
	s_xor_b32 s6, s6, -1
	s_delay_alu instid0(SALU_CYCLE_1) | instskip(NEXT) | instid1(SALU_CYCLE_1)
	s_and_saveexec_b32 s7, s6
	s_xor_b32 s7, exec_lo, s7
	s_cbranch_execz .LBB49_48
; %bb.47:                               ;   in Loop: Header=BB49_6 Depth=2
	s_lshl_b64 s[8:9], s[22:23], 3
	s_delay_alu instid0(SALU_CYCLE_1) | instskip(NEXT) | instid1(VALU_DEP_1)
	v_add_co_u32 v34, s6, v10, s8
	v_add_co_ci_u32_e64 v35, s6, s9, v11, s6
	global_load_b64 v[34:35], v[34:35], off
	s_waitcnt vmcnt(0)
	ds_store_b64 v33, v[34:35] offset:4096
.LBB49_48:                              ;   in Loop: Header=BB49_6 Depth=2
	s_and_not1_saveexec_b32 s6, s7
	s_cbranch_execz .LBB49_50
; %bb.49:                               ;   in Loop: Header=BB49_6 Depth=2
	v_mov_b32_e32 v34, v4
	v_mov_b32_e32 v35, v4
	ds_store_b64 v33, v[34:35] offset:4096
.LBB49_50:                              ;   in Loop: Header=BB49_6 Depth=2
	s_or_b32 exec_lo, exec_lo, s6
	s_or_b32 s5, s5, s0
	s_delay_alu instid0(SALU_CYCLE_1) | instskip(NEXT) | instid1(SALU_CYCLE_1)
	s_xor_b32 s5, s5, -1
	s_and_saveexec_b32 s6, s5
	s_delay_alu instid0(SALU_CYCLE_1)
	s_xor_b32 s6, exec_lo, s6
	s_cbranch_execz .LBB49_52
; %bb.51:                               ;   in Loop: Header=BB49_6 Depth=2
	s_lshl_b64 s[8:9], s[22:23], 3
	s_delay_alu instid0(SALU_CYCLE_1) | instskip(NEXT) | instid1(VALU_DEP_1)
	v_add_co_u32 v34, s5, v10, s8
	v_add_co_ci_u32_e64 v35, s5, s9, v11, s5
	global_load_b64 v[34:35], v[34:35], off offset:128
	s_waitcnt vmcnt(0)
	ds_store_b64 v33, v[34:35] offset:4224
.LBB49_52:                              ;   in Loop: Header=BB49_6 Depth=2
	s_and_not1_saveexec_b32 s5, s6
	s_cbranch_execz .LBB49_54
; %bb.53:                               ;   in Loop: Header=BB49_6 Depth=2
	v_mov_b32_e32 v34, v4
	v_mov_b32_e32 v35, v4
	ds_store_b64 v33, v[34:35] offset:4224
.LBB49_54:                              ;   in Loop: Header=BB49_6 Depth=2
	s_or_b32 exec_lo, exec_lo, s5
	v_mov_b32_e32 v34, v31
	s_mov_b32 s5, 0
	s_waitcnt lgkmcnt(0)
	s_waitcnt_vscnt null, 0x0
	s_barrier
	buffer_gl0_inv
.LBB49_55:                              ;   Parent Loop BB49_4 Depth=1
                                        ;     Parent Loop BB49_6 Depth=2
                                        ; =>    This Inner Loop Header: Depth=3
	v_add_nc_u32_e32 v57, s5, v28
	s_add_i32 s5, s5, 64
	ds_load_2addr_b64 v[35:38], v34 offset1:16
	ds_load_b128 v[39:42], v57
	ds_load_b128 v[43:46], v57 offset:4096
	ds_load_b128 v[47:50], v57 offset:16
	;; [unrolled: 1-line block ×3, first 2 shown]
	s_cmpk_lg_i32 s5, 0x100
	s_waitcnt lgkmcnt(3)
	v_fma_f64 v[55:56], v[35:36], v[39:40], v[24:25]
	v_fma_f64 v[39:40], v[37:38], v[39:40], v[22:23]
	s_waitcnt lgkmcnt(2)
	v_fma_f64 v[18:19], v[35:36], v[43:44], v[18:19]
	v_fma_f64 v[12:13], v[37:38], v[43:44], v[12:13]
	ds_load_2addr_b64 v[22:25], v34 offset0:32 offset1:48
	s_waitcnt lgkmcnt(0)
	v_fma_f64 v[35:36], v[22:23], v[41:42], v[55:56]
	v_fma_f64 v[37:38], v[24:25], v[41:42], v[39:40]
	v_fma_f64 v[18:19], v[22:23], v[45:46], v[18:19]
	v_fma_f64 v[12:13], v[24:25], v[45:46], v[12:13]
	ds_load_2addr_b64 v[22:25], v34 offset0:64 offset1:80
	s_waitcnt lgkmcnt(0)
	v_fma_f64 v[35:36], v[22:23], v[47:48], v[35:36]
	v_fma_f64 v[37:38], v[24:25], v[47:48], v[37:38]
	;; [unrolled: 6-line block ×3, first 2 shown]
	v_fma_f64 v[18:19], v[22:23], v[53:54], v[18:19]
	v_fma_f64 v[12:13], v[24:25], v[53:54], v[12:13]
	ds_load_2addr_b64 v[22:25], v34 offset0:128 offset1:144
	ds_load_b128 v[35:38], v57 offset:32
	ds_load_b128 v[39:42], v57 offset:4128
	;; [unrolled: 1-line block ×4, first 2 shown]
	s_waitcnt lgkmcnt(3)
	v_fma_f64 v[51:52], v[22:23], v[35:36], v[51:52]
	v_fma_f64 v[35:36], v[24:25], v[35:36], v[55:56]
	s_waitcnt lgkmcnt(2)
	v_fma_f64 v[18:19], v[22:23], v[39:40], v[18:19]
	v_fma_f64 v[12:13], v[24:25], v[39:40], v[12:13]
	ds_load_2addr_b64 v[22:25], v34 offset0:160 offset1:176
	s_waitcnt lgkmcnt(0)
	v_fma_f64 v[39:40], v[22:23], v[37:38], v[51:52]
	v_fma_f64 v[35:36], v[24:25], v[37:38], v[35:36]
	;; [unrolled: 1-line block ×4, first 2 shown]
	ds_load_2addr_b64 v[22:25], v34 offset0:192 offset1:208
	s_waitcnt lgkmcnt(0)
	v_fma_f64 v[39:40], v[22:23], v[43:44], v[39:40]
	v_fma_f64 v[41:42], v[24:25], v[43:44], v[35:36]
	;; [unrolled: 1-line block ×4, first 2 shown]
	ds_load_2addr_b64 v[35:38], v34 offset0:224 offset1:240
	v_add_nc_u32_e32 v34, 0x800, v34
	s_waitcnt lgkmcnt(0)
	v_fma_f64 v[24:25], v[35:36], v[45:46], v[39:40]
	v_fma_f64 v[22:23], v[37:38], v[45:46], v[41:42]
	v_fma_f64 v[18:19], v[35:36], v[49:50], v[18:19]
	v_fma_f64 v[12:13], v[37:38], v[49:50], v[12:13]
	s_cbranch_scc1 .LBB49_55
; %bb.56:                               ;   in Loop: Header=BB49_6 Depth=2
	v_add_co_u32 v16, s5, 0x100, v16
	s_delay_alu instid0(VALU_DEP_1) | instskip(SKIP_1) | instid1(VALU_DEP_1)
	v_add_co_ci_u32_e64 v17, s5, 0, v17, s5
	v_add_co_u32 v8, s5, v8, 32
	v_add_co_ci_u32_e64 v9, s5, 0, v9, s5
	v_add_co_u32 v10, s5, v10, s12
	s_delay_alu instid0(VALU_DEP_1) | instskip(SKIP_1) | instid1(VALU_DEP_1)
	v_add_co_ci_u32_e64 v11, s5, s13, v11, s5
	v_add_co_u32 v20, s5, v20, 32
	v_add_co_ci_u32_e64 v21, s5, 0, v21, s5
	s_add_i32 s27, s27, 32
	s_delay_alu instid0(SALU_CYCLE_1)
	s_cmp_ge_i32 s27, s26
	s_barrier
	buffer_gl0_inv
	s_cbranch_scc0 .LBB49_6
.LBB49_57:                              ;   in Loop: Header=BB49_4 Depth=1
	s_delay_alu instid0(VALU_DEP_1) | instskip(SKIP_3) | instid1(VALU_DEP_2)
	v_mul_lo_u32 v9, v7, s40
	v_mul_lo_u32 v10, v6, s41
	v_mad_u64_u32 v[7:8], null, v6, s40, 0
	v_cmp_gt_i32_e64 s3, s10, v6
	v_add3_u32 v8, v8, v10, v9
	s_delay_alu instid0(VALU_DEP_1) | instskip(NEXT) | instid1(VALU_DEP_1)
	v_lshlrev_b64 v[7:8], 3, v[7:8]
	v_add_co_u32 v7, s4, s15, v7
	s_delay_alu instid0(VALU_DEP_1) | instskip(SKIP_1) | instid1(SALU_CYCLE_1)
	v_add_co_ci_u32_e64 v8, s4, s24, v8, s4
	s_and_b32 s4, s1, s3
	s_and_saveexec_b32 s5, s4
	s_cbranch_execz .LBB49_59
; %bb.58:                               ;   in Loop: Header=BB49_4 Depth=1
	v_add_co_u32 v9, s4, v7, v0
	s_delay_alu instid0(VALU_DEP_1)
	v_add_co_ci_u32_e64 v10, s4, v8, v1, s4
	global_load_b64 v[14:15], v[9:10], off
	s_waitcnt vmcnt(0)
	v_fma_f64 v[14:15], v[24:25], s[34:35], v[14:15]
	global_store_b64 v[9:10], v[14:15], off
.LBB49_59:                              ;   in Loop: Header=BB49_4 Depth=1
	s_or_b32 exec_lo, exec_lo, s5
	s_and_b32 s3, s2, s3
	s_delay_alu instid0(SALU_CYCLE_1)
	s_and_saveexec_b32 s4, s3
	s_cbranch_execz .LBB49_61
; %bb.60:                               ;   in Loop: Header=BB49_4 Depth=1
	v_lshlrev_b64 v[9:10], 3, v[2:3]
	s_delay_alu instid0(VALU_DEP_1) | instskip(NEXT) | instid1(VALU_DEP_1)
	v_add_co_u32 v7, s3, v7, v9
	v_add_co_ci_u32_e64 v8, s3, v8, v10, s3
	global_load_b64 v[9:10], v[7:8], off
	s_waitcnt vmcnt(0)
	v_fma_f64 v[9:10], v[22:23], s[34:35], v[9:10]
	global_store_b64 v[7:8], v[9:10], off
.LBB49_61:                              ;   in Loop: Header=BB49_4 Depth=1
	s_or_b32 exec_lo, exec_lo, s4
	v_add_nc_u32_e32 v8, 16, v6
	s_delay_alu instid0(VALU_DEP_1) | instskip(SKIP_3) | instid1(VALU_DEP_4)
	v_ashrrev_i32_e32 v9, 31, v8
	v_mul_lo_u32 v10, v8, s41
	v_mad_u64_u32 v[6:7], null, v8, s40, 0
	v_cmp_gt_i32_e64 s3, s10, v8
	v_mul_lo_u32 v9, v9, s40
	s_delay_alu instid0(VALU_DEP_1) | instskip(NEXT) | instid1(VALU_DEP_1)
	v_add3_u32 v7, v7, v10, v9
	v_lshlrev_b64 v[6:7], 3, v[6:7]
	s_delay_alu instid0(VALU_DEP_1) | instskip(NEXT) | instid1(VALU_DEP_1)
	v_add_co_u32 v6, s4, s15, v6
	v_add_co_ci_u32_e64 v7, s4, s24, v7, s4
	s_and_b32 s4, s1, s3
	s_delay_alu instid0(SALU_CYCLE_1)
	s_and_saveexec_b32 s5, s4
	s_cbranch_execnz .LBB49_63
; %bb.62:                               ;   in Loop: Header=BB49_4 Depth=1
	s_or_b32 exec_lo, exec_lo, s5
	s_and_b32 s3, s2, s3
	s_delay_alu instid0(SALU_CYCLE_1)
	s_and_saveexec_b32 s4, s3
	s_cbranch_execz .LBB49_3
	s_branch .LBB49_64
.LBB49_63:                              ;   in Loop: Header=BB49_4 Depth=1
	v_add_co_u32 v8, s4, v6, v0
	s_delay_alu instid0(VALU_DEP_1)
	v_add_co_ci_u32_e64 v9, s4, v7, v1, s4
	global_load_b64 v[10:11], v[8:9], off
	s_waitcnt vmcnt(0)
	v_fma_f64 v[10:11], v[18:19], s[34:35], v[10:11]
	global_store_b64 v[8:9], v[10:11], off
	s_or_b32 exec_lo, exec_lo, s5
	s_and_b32 s3, s2, s3
	s_delay_alu instid0(SALU_CYCLE_1)
	s_and_saveexec_b32 s4, s3
	s_cbranch_execz .LBB49_3
.LBB49_64:                              ;   in Loop: Header=BB49_4 Depth=1
	v_lshlrev_b64 v[8:9], 3, v[2:3]
	s_delay_alu instid0(VALU_DEP_1) | instskip(NEXT) | instid1(VALU_DEP_1)
	v_add_co_u32 v6, s3, v6, v8
	v_add_co_ci_u32_e64 v7, s3, v7, v9, s3
	global_load_b64 v[8:9], v[6:7], off
	s_waitcnt vmcnt(0)
	v_fma_f64 v[8:9], v[12:13], s[34:35], v[8:9]
	global_store_b64 v[6:7], v[8:9], off
	s_branch .LBB49_3
.LBB49_65:
	s_nop 0
	s_sendmsg sendmsg(MSG_DEALLOC_VGPRS)
	s_endpgm
	.section	.rodata,"a",@progbits
	.p2align	6, 0x0
	.amdhsa_kernel _ZL30rocblas_trmm_outofplace_kernelIdLi32ELi2ELb0ELb0ELb0ELb0EdKddEv17rocblas_diagonal_iiT6_lPT7_lllS4_lllPT8_llli
		.amdhsa_group_segment_fixed_size 16384
		.amdhsa_private_segment_fixed_size 0
		.amdhsa_kernarg_size 392
		.amdhsa_user_sgpr_count 13
		.amdhsa_user_sgpr_dispatch_ptr 0
		.amdhsa_user_sgpr_queue_ptr 0
		.amdhsa_user_sgpr_kernarg_segment_ptr 1
		.amdhsa_user_sgpr_dispatch_id 0
		.amdhsa_user_sgpr_private_segment_size 0
		.amdhsa_wavefront_size32 1
		.amdhsa_uses_dynamic_stack 0
		.amdhsa_enable_private_segment 0
		.amdhsa_system_sgpr_workgroup_id_x 1
		.amdhsa_system_sgpr_workgroup_id_y 1
		.amdhsa_system_sgpr_workgroup_id_z 1
		.amdhsa_system_sgpr_workgroup_info 0
		.amdhsa_system_vgpr_workitem_id 1
		.amdhsa_next_free_vgpr 58
		.amdhsa_next_free_sgpr 45
		.amdhsa_reserve_vcc 1
		.amdhsa_float_round_mode_32 0
		.amdhsa_float_round_mode_16_64 0
		.amdhsa_float_denorm_mode_32 3
		.amdhsa_float_denorm_mode_16_64 3
		.amdhsa_dx10_clamp 1
		.amdhsa_ieee_mode 1
		.amdhsa_fp16_overflow 0
		.amdhsa_workgroup_processor_mode 1
		.amdhsa_memory_ordered 1
		.amdhsa_forward_progress 0
		.amdhsa_shared_vgpr_count 0
		.amdhsa_exception_fp_ieee_invalid_op 0
		.amdhsa_exception_fp_denorm_src 0
		.amdhsa_exception_fp_ieee_div_zero 0
		.amdhsa_exception_fp_ieee_overflow 0
		.amdhsa_exception_fp_ieee_underflow 0
		.amdhsa_exception_fp_ieee_inexact 0
		.amdhsa_exception_int_div_zero 0
	.end_amdhsa_kernel
	.section	.text._ZL30rocblas_trmm_outofplace_kernelIdLi32ELi2ELb0ELb0ELb0ELb0EdKddEv17rocblas_diagonal_iiT6_lPT7_lllS4_lllPT8_llli,"axG",@progbits,_ZL30rocblas_trmm_outofplace_kernelIdLi32ELi2ELb0ELb0ELb0ELb0EdKddEv17rocblas_diagonal_iiT6_lPT7_lllS4_lllPT8_llli,comdat
.Lfunc_end49:
	.size	_ZL30rocblas_trmm_outofplace_kernelIdLi32ELi2ELb0ELb0ELb0ELb0EdKddEv17rocblas_diagonal_iiT6_lPT7_lllS4_lllPT8_llli, .Lfunc_end49-_ZL30rocblas_trmm_outofplace_kernelIdLi32ELi2ELb0ELb0ELb0ELb0EdKddEv17rocblas_diagonal_iiT6_lPT7_lllS4_lllPT8_llli
                                        ; -- End function
	.section	.AMDGPU.csdata,"",@progbits
; Kernel info:
; codeLenInByte = 2848
; NumSgprs: 47
; NumVgprs: 58
; ScratchSize: 0
; MemoryBound: 1
; FloatMode: 240
; IeeeMode: 1
; LDSByteSize: 16384 bytes/workgroup (compile time only)
; SGPRBlocks: 5
; VGPRBlocks: 7
; NumSGPRsForWavesPerEU: 47
; NumVGPRsForWavesPerEU: 58
; Occupancy: 16
; WaveLimiterHint : 0
; COMPUTE_PGM_RSRC2:SCRATCH_EN: 0
; COMPUTE_PGM_RSRC2:USER_SGPR: 13
; COMPUTE_PGM_RSRC2:TRAP_HANDLER: 0
; COMPUTE_PGM_RSRC2:TGID_X_EN: 1
; COMPUTE_PGM_RSRC2:TGID_Y_EN: 1
; COMPUTE_PGM_RSRC2:TGID_Z_EN: 1
; COMPUTE_PGM_RSRC2:TIDIG_COMP_CNT: 1
	.section	.text._ZL30rocblas_trmm_outofplace_kernelIdLi32ELi2ELb0ELb1ELb0ELb0EPKdS0_dEv17rocblas_diagonal_iiT6_lPT7_lllS5_lllPT8_llli,"axG",@progbits,_ZL30rocblas_trmm_outofplace_kernelIdLi32ELi2ELb0ELb1ELb0ELb0EPKdS0_dEv17rocblas_diagonal_iiT6_lPT7_lllS5_lllPT8_llli,comdat
	.globl	_ZL30rocblas_trmm_outofplace_kernelIdLi32ELi2ELb0ELb1ELb0ELb0EPKdS0_dEv17rocblas_diagonal_iiT6_lPT7_lllS5_lllPT8_llli ; -- Begin function _ZL30rocblas_trmm_outofplace_kernelIdLi32ELi2ELb0ELb1ELb0ELb0EPKdS0_dEv17rocblas_diagonal_iiT6_lPT7_lllS5_lllPT8_llli
	.p2align	8
	.type	_ZL30rocblas_trmm_outofplace_kernelIdLi32ELi2ELb0ELb1ELb0ELb0EPKdS0_dEv17rocblas_diagonal_iiT6_lPT7_lllS5_lllPT8_llli,@function
_ZL30rocblas_trmm_outofplace_kernelIdLi32ELi2ELb0ELb1ELb0ELb0EPKdS0_dEv17rocblas_diagonal_iiT6_lPT7_lllS5_lllPT8_llli: ; @_ZL30rocblas_trmm_outofplace_kernelIdLi32ELi2ELb0ELb1ELb0ELb0EPKdS0_dEv17rocblas_diagonal_iiT6_lPT7_lllS5_lllPT8_llli
; %bb.0:
	s_load_b512 s[16:31], s[0:1], 0x10
	s_waitcnt lgkmcnt(0)
	s_mul_i32 s2, s15, s19
	s_mul_hi_u32 s3, s15, s18
	s_delay_alu instid0(SALU_CYCLE_1) | instskip(SKIP_1) | instid1(SALU_CYCLE_1)
	s_add_i32 s3, s3, s2
	s_mul_i32 s2, s15, s18
	s_lshl_b64 s[2:3], s[2:3], 3
	s_delay_alu instid0(SALU_CYCLE_1) | instskip(SKIP_4) | instid1(VALU_DEP_1)
	s_add_u32 s2, s16, s2
	s_addc_u32 s3, s17, s3
	s_load_b64 s[34:35], s[2:3], 0x0
	s_waitcnt lgkmcnt(0)
	v_cmp_eq_f64_e64 s2, s[34:35], 0
	s_and_b32 vcc_lo, exec_lo, s2
	s_cbranch_vccnz .LBB50_66
; %bb.1:
	s_load_b128 s[16:19], s[0:1], 0x0
	s_waitcnt lgkmcnt(0)
	s_add_i32 s2, s18, -1
	s_delay_alu instid0(SALU_CYCLE_1) | instskip(NEXT) | instid1(SALU_CYCLE_1)
	s_ashr_i32 s3, s2, 31
	s_lshr_b32 s3, s3, 27
	s_delay_alu instid0(SALU_CYCLE_1) | instskip(NEXT) | instid1(SALU_CYCLE_1)
	s_add_i32 s2, s2, s3
	s_ashr_i32 s33, s2, 5
	s_delay_alu instid0(SALU_CYCLE_1)
	s_cmp_gt_i32 s14, s33
	s_cbranch_scc1 .LBB50_66
; %bb.2:
	s_clause 0x1
	s_load_b256 s[4:11], s[0:1], 0x50
	s_load_b128 s[36:39], s[0:1], 0x70
	v_bfe_u32 v1, v0, 10, 10
	s_mul_i32 s3, s15, s27
	s_mul_hi_u32 s12, s15, s26
	s_mul_i32 s2, s15, s26
	s_add_i32 s3, s12, s3
	v_lshlrev_b32_e32 v34, 8, v1
	s_lshl_b64 s[2:3], s[2:3], 3
	s_delay_alu instid0(SALU_CYCLE_1)
	s_add_u32 s12, s20, s2
	s_addc_u32 s19, s21, s3
	s_lshl_b64 s[2:3], s[22:23], 3
	s_load_b32 s22, s[0:1], 0x8c
	s_add_u32 s12, s12, s2
	s_addc_u32 s19, s19, s3
	s_waitcnt lgkmcnt(0)
	v_mad_u64_u32 v[9:10], null, v1, s4, 0
	v_and_b32_e32 v3, 0x3ff, v0
	s_mul_i32 s1, s15, s7
	s_mul_hi_u32 s2, s15, s6
	s_mul_i32 s0, s15, s6
	s_add_i32 s1, s2, s1
	s_mul_i32 s3, s15, s39
	s_delay_alu instid0(VALU_DEP_2)
	v_mov_b32_e32 v0, v10
	v_lshl_add_u32 v12, s13, 5, v3
	s_lshl_b64 s[0:1], s[0:1], 3
	s_mul_hi_u32 s6, s15, s38
	s_add_u32 s7, s28, s0
	v_mad_u64_u32 v[6:7], null, v1, s5, v[0:1]
	v_ashrrev_i32_e32 v13, 31, v12
	s_addc_u32 s20, s29, s1
	s_lshl_b64 s[0:1], s[30:31], 3
	v_mov_b32_e32 v5, 0
	s_add_u32 s7, s7, s0
	v_lshlrev_b64 v[7:8], 3, v[12:13]
	s_delay_alu instid0(VALU_DEP_4)
	v_mov_b32_e32 v10, v6
	s_mul_i32 s2, s15, s38
	s_addc_u32 s20, s20, s1
	s_add_i32 s3, s6, s3
	v_dual_mov_b32 v4, v5 :: v_dual_lshlrev_b32 v11, 3, v3
	s_lshl_b64 s[0:1], s[2:3], 3
	v_lshlrev_b64 v[9:10], 3, v[9:10]
	v_add_co_u32 v6, vcc_lo, s7, v7
	s_add_u32 s2, s8, s0
	s_addc_u32 s3, s9, s1
	s_lshl_b64 s[0:1], s[10:11], 3
	v_add_co_ci_u32_e32 v14, vcc_lo, s20, v8, vcc_lo
	s_add_u32 s15, s2, s0
	s_addc_u32 s23, s3, s1
	v_add_co_u32 v9, vcc_lo, v6, v9
	v_add_co_u32 v0, s0, s12, v11
	s_cmpk_eq_i32 s16, 0x84
	v_add_co_ci_u32_e32 v10, vcc_lo, v14, v10, vcc_lo
	v_add_co_ci_u32_e64 v33, null, s19, 0, s0
	s_cselect_b32 s26, -1, 0
	s_ashr_i32 s0, s17, 31
	v_sub_co_u32 v14, vcc_lo, s17, v12
	v_sub_co_ci_u32_e32 v15, vcc_lo, s0, v13, vcc_lo
	v_mov_b32_e32 v2, v5
	v_or_b32_e32 v35, 0x2000, v11
	v_add_nc_u32_e32 v36, v34, v11
	v_add_nc_u32_e32 v11, 16, v12
	v_cmp_gt_i64_e32 vcc_lo, 1, v[14:15]
	v_cmp_gt_i64_e64 s0, 17, v[14:15]
	v_dual_mov_b32 v6, 0x3ff00000 :: v_dual_add_nc_u32 v37, v35, v34
	v_cmp_gt_i32_e64 s1, s17, v12
	v_cmp_gt_i32_e64 s2, s17, v11
	v_ashrrev_i32_e32 v12, 31, v11
	s_ashr_i32 s19, s18, 31
	s_lshl_b64 s[10:11], s[4:5], 8
	s_lshl_b64 s[12:13], s[24:25], 4
	s_add_u32 s16, s18, -16
	s_addc_u32 s17, s19, -1
	s_lshl_b64 s[20:21], s[4:5], 4
	s_branch .LBB50_4
.LBB50_3:                               ;   in Loop: Header=BB50_4 Depth=1
	s_or_b32 exec_lo, exec_lo, s4
	s_add_i32 s14, s22, s14
	s_delay_alu instid0(SALU_CYCLE_1)
	s_cmp_le_i32 s14, s33
	s_cbranch_scc0 .LBB50_66
.LBB50_4:                               ; =>This Loop Header: Depth=1
                                        ;     Child Loop BB50_6 Depth 2
                                        ;       Child Loop BB50_55 Depth 3
	s_lshl_b32 s27, s14, 5
	v_mov_b32_e32 v31, 0
	v_dual_mov_b32 v32, 0 :: v_dual_add_nc_u32 v13, s27, v1
	s_delay_alu instid0(VALU_DEP_2) | instskip(SKIP_1) | instid1(VALU_DEP_3)
	v_mov_b32_e32 v29, v31
	v_mov_b32_e32 v19, v31
	v_dual_mov_b32 v15, v31 :: v_dual_mov_b32 v16, v32
	v_mov_b32_e32 v30, v32
	v_mov_b32_e32 v20, v32
	v_ashrrev_i32_e32 v14, 31, v13
	s_cmp_lt_i32 s14, 0
	s_cbranch_scc1 .LBB50_58
; %bb.5:                                ;   in Loop: Header=BB50_4 Depth=1
	s_delay_alu instid0(VALU_DEP_1) | instskip(SKIP_3) | instid1(VALU_DEP_1)
	v_mul_lo_u32 v15, v14, s24
	v_mul_lo_u32 v16, v13, s25
	v_mad_u64_u32 v[19:20], null, v13, s24, 0
	v_add_co_u32 v17, s3, v13, 16
	v_add_co_ci_u32_e64 v18, s3, 0, v14, s3
	v_mov_b32_e32 v24, v4
	v_cmp_le_i32_e64 s3, s18, v13
	v_add3_u32 v20, v20, v16, v15
	v_mov_b32_e32 v15, 0
	v_dual_mov_b32 v16, 0 :: v_dual_mov_b32 v23, v3
	v_cmp_le_i64_e64 s4, s[18:19], v[17:18]
	s_delay_alu instid0(VALU_DEP_4) | instskip(SKIP_1) | instid1(VALU_DEP_4)
	v_lshlrev_b64 v[21:22], 3, v[19:20]
	v_dual_mov_b32 v26, v2 :: v_dual_mov_b32 v25, v1
	v_dual_mov_b32 v20, v16 :: v_dual_mov_b32 v19, v15
	;; [unrolled: 1-line block ×3, first 2 shown]
	s_delay_alu instid0(VALU_DEP_4)
	v_add_co_u32 v21, s5, v0, v21
	v_dual_mov_b32 v32, v16 :: v_dual_mov_b32 v31, v15
	v_add_co_ci_u32_e64 v22, s5, v33, v22, s5
	v_dual_mov_b32 v28, v10 :: v_dual_mov_b32 v27, v9
	s_mov_b32 s28, 0
.LBB50_6:                               ;   Parent Loop BB50_4 Depth=1
                                        ; =>  This Loop Header: Depth=2
                                        ;       Child Loop BB50_55 Depth 3
	v_cmp_eq_u64_e64 s7, v[23:24], v[13:14]
	v_cmp_gt_i64_e64 s5, v[23:24], v[13:14]
	v_cmp_le_i64_e64 s6, s[18:19], v[23:24]
	s_delay_alu instid0(VALU_DEP_3) | instskip(NEXT) | instid1(VALU_DEP_2)
	s_and_b32 s30, s26, s7
	s_or_b32 s7, s3, s5
	s_delay_alu instid0(SALU_CYCLE_1)
	s_or_b32 s7, s7, s30
	s_delay_alu instid0(VALU_DEP_1) | instid1(SALU_CYCLE_1)
	s_or_b32 s7, s6, s7
	s_delay_alu instid0(SALU_CYCLE_1) | instskip(NEXT) | instid1(SALU_CYCLE_1)
	s_xor_b32 s7, s7, -1
	s_and_saveexec_b32 s8, s7
	s_delay_alu instid0(SALU_CYCLE_1)
	s_xor_b32 s7, exec_lo, s8
	s_cbranch_execz .LBB50_8
; %bb.7:                                ;   in Loop: Header=BB50_6 Depth=2
	global_load_b64 v[38:39], v[21:22], off
	s_waitcnt vmcnt(0)
	ds_store_b64 v36, v[38:39]
.LBB50_8:                               ;   in Loop: Header=BB50_6 Depth=2
	s_or_saveexec_b32 s7, s7
	s_xor_b32 s29, s30, -1
	s_xor_b32 exec_lo, exec_lo, s7
	s_cbranch_execz .LBB50_14
; %bb.9:                                ;   in Loop: Header=BB50_6 Depth=2
	s_and_saveexec_b32 s8, s29
	s_delay_alu instid0(SALU_CYCLE_1)
	s_xor_b32 s8, exec_lo, s8
	s_cbranch_execz .LBB50_11
; %bb.10:                               ;   in Loop: Header=BB50_6 Depth=2
	v_mov_b32_e32 v38, v5
	v_mov_b32_e32 v39, v5
	ds_store_b64 v36, v[38:39]
.LBB50_11:                              ;   in Loop: Header=BB50_6 Depth=2
	s_and_not1_saveexec_b32 s8, s8
	s_cbranch_execz .LBB50_13
; %bb.12:                               ;   in Loop: Header=BB50_6 Depth=2
	ds_store_b64 v36, v[5:6]
.LBB50_13:                              ;   in Loop: Header=BB50_6 Depth=2
	s_or_b32 exec_lo, exec_lo, s8
.LBB50_14:                              ;   in Loop: Header=BB50_6 Depth=2
	s_delay_alu instid0(SALU_CYCLE_1) | instskip(SKIP_1) | instid1(VALU_DEP_1)
	s_or_b32 exec_lo, exec_lo, s7
	v_add_co_u32 v38, s7, v23, 16
	v_add_co_ci_u32_e64 v39, s7, 0, v24, s7
	s_delay_alu instid0(VALU_DEP_1) | instskip(SKIP_2) | instid1(VALU_DEP_3)
	v_cmp_eq_u64_e64 s8, v[38:39], v[13:14]
	v_cmp_gt_i64_e64 s9, v[38:39], v[13:14]
	v_cmp_le_i64_e64 s7, s[18:19], v[38:39]
	s_and_b32 s31, s26, s8
	s_delay_alu instid0(VALU_DEP_2) | instskip(NEXT) | instid1(SALU_CYCLE_1)
	s_or_b32 s8, s3, s9
	s_or_b32 s8, s8, s31
	s_delay_alu instid0(VALU_DEP_1) | instid1(SALU_CYCLE_1)
	s_or_b32 s8, s7, s8
	s_delay_alu instid0(SALU_CYCLE_1) | instskip(NEXT) | instid1(SALU_CYCLE_1)
	s_xor_b32 s8, s8, -1
	s_and_saveexec_b32 s9, s8
	s_delay_alu instid0(SALU_CYCLE_1)
	s_xor_b32 s8, exec_lo, s9
	s_cbranch_execz .LBB50_16
; %bb.15:                               ;   in Loop: Header=BB50_6 Depth=2
	global_load_b64 v[38:39], v[21:22], off offset:128
	s_waitcnt vmcnt(0)
	ds_store_b64 v36, v[38:39] offset:128
.LBB50_16:                              ;   in Loop: Header=BB50_6 Depth=2
	s_and_not1_saveexec_b32 s8, s8
	s_cbranch_execz .LBB50_22
; %bb.17:                               ;   in Loop: Header=BB50_6 Depth=2
	s_xor_b32 s9, s31, -1
	s_delay_alu instid0(SALU_CYCLE_1) | instskip(NEXT) | instid1(SALU_CYCLE_1)
	s_and_saveexec_b32 s31, s9
	s_xor_b32 s9, exec_lo, s31
	s_cbranch_execz .LBB50_19
; %bb.18:                               ;   in Loop: Header=BB50_6 Depth=2
	v_mov_b32_e32 v38, v5
	v_mov_b32_e32 v39, v5
	ds_store_b64 v36, v[38:39] offset:128
.LBB50_19:                              ;   in Loop: Header=BB50_6 Depth=2
	s_and_not1_saveexec_b32 s9, s9
	s_cbranch_execz .LBB50_21
; %bb.20:                               ;   in Loop: Header=BB50_6 Depth=2
	ds_store_b64 v36, v[5:6] offset:128
.LBB50_21:                              ;   in Loop: Header=BB50_6 Depth=2
	s_or_b32 exec_lo, exec_lo, s9
.LBB50_22:                              ;   in Loop: Header=BB50_6 Depth=2
	s_delay_alu instid0(SALU_CYCLE_1) | instskip(SKIP_2) | instid1(VALU_DEP_2)
	s_or_b32 exec_lo, exec_lo, s8
	v_cmp_eq_u64_e64 s8, v[23:24], v[17:18]
	v_cmp_gt_i64_e64 s9, v[23:24], v[17:18]
	s_and_b32 s8, s26, s8
	s_delay_alu instid0(VALU_DEP_1) | instskip(NEXT) | instid1(SALU_CYCLE_1)
	s_or_b32 s9, s4, s9
	s_or_b32 s9, s9, s8
	s_delay_alu instid0(SALU_CYCLE_1) | instskip(NEXT) | instid1(SALU_CYCLE_1)
	s_or_b32 s6, s6, s9
	s_xor_b32 s6, s6, -1
	s_delay_alu instid0(SALU_CYCLE_1) | instskip(NEXT) | instid1(SALU_CYCLE_1)
	s_and_saveexec_b32 s9, s6
	s_xor_b32 s9, exec_lo, s9
	s_cbranch_execz .LBB50_24
; %bb.23:                               ;   in Loop: Header=BB50_6 Depth=2
	s_lshl_b64 s[38:39], s[12:13], 3
	s_delay_alu instid0(SALU_CYCLE_1) | instskip(NEXT) | instid1(VALU_DEP_1)
	v_add_co_u32 v38, s6, v21, s38
	v_add_co_ci_u32_e64 v39, s6, s39, v22, s6
	global_load_b64 v[38:39], v[38:39], off
	s_waitcnt vmcnt(0)
	ds_store_b64 v36, v[38:39] offset:4096
.LBB50_24:                              ;   in Loop: Header=BB50_6 Depth=2
	s_and_not1_saveexec_b32 s6, s9
	s_cbranch_execz .LBB50_30
; %bb.25:                               ;   in Loop: Header=BB50_6 Depth=2
	s_xor_b32 s8, s8, -1
	s_delay_alu instid0(SALU_CYCLE_1) | instskip(NEXT) | instid1(SALU_CYCLE_1)
	s_and_saveexec_b32 s9, s8
	s_xor_b32 s8, exec_lo, s9
	s_cbranch_execz .LBB50_27
; %bb.26:                               ;   in Loop: Header=BB50_6 Depth=2
	v_mov_b32_e32 v38, v5
	v_mov_b32_e32 v39, v5
	ds_store_b64 v36, v[38:39] offset:4096
.LBB50_27:                              ;   in Loop: Header=BB50_6 Depth=2
	s_and_not1_saveexec_b32 s8, s8
	s_cbranch_execz .LBB50_29
; %bb.28:                               ;   in Loop: Header=BB50_6 Depth=2
	ds_store_b64 v36, v[5:6] offset:4096
.LBB50_29:                              ;   in Loop: Header=BB50_6 Depth=2
	s_or_b32 exec_lo, exec_lo, s8
.LBB50_30:                              ;   in Loop: Header=BB50_6 Depth=2
	s_delay_alu instid0(SALU_CYCLE_1) | instskip(SKIP_1) | instid1(SALU_CYCLE_1)
	s_or_b32 exec_lo, exec_lo, s6
	s_or_b32 s5, s4, s5
	s_or_b32 s5, s5, s30
	s_delay_alu instid0(SALU_CYCLE_1) | instskip(NEXT) | instid1(SALU_CYCLE_1)
	s_or_b32 s5, s7, s5
	s_xor_b32 s5, s5, -1
	s_delay_alu instid0(SALU_CYCLE_1) | instskip(NEXT) | instid1(SALU_CYCLE_1)
	s_and_saveexec_b32 s6, s5
	s_xor_b32 s6, exec_lo, s6
	s_cbranch_execz .LBB50_32
; %bb.31:                               ;   in Loop: Header=BB50_6 Depth=2
	s_lshl_b64 s[8:9], s[12:13], 3
	s_delay_alu instid0(SALU_CYCLE_1) | instskip(NEXT) | instid1(VALU_DEP_1)
	v_add_co_u32 v38, s5, v21, s8
	v_add_co_ci_u32_e64 v39, s5, s9, v22, s5
	global_load_b64 v[38:39], v[38:39], off offset:128
	s_waitcnt vmcnt(0)
	ds_store_b64 v36, v[38:39] offset:4224
.LBB50_32:                              ;   in Loop: Header=BB50_6 Depth=2
	s_and_not1_saveexec_b32 s5, s6
	s_cbranch_execz .LBB50_38
; %bb.33:                               ;   in Loop: Header=BB50_6 Depth=2
	s_and_saveexec_b32 s6, s29
	s_delay_alu instid0(SALU_CYCLE_1)
	s_xor_b32 s6, exec_lo, s6
	s_cbranch_execz .LBB50_35
; %bb.34:                               ;   in Loop: Header=BB50_6 Depth=2
	v_mov_b32_e32 v38, v5
	v_mov_b32_e32 v39, v5
	ds_store_b64 v36, v[38:39] offset:4224
.LBB50_35:                              ;   in Loop: Header=BB50_6 Depth=2
	s_and_not1_saveexec_b32 s6, s6
	s_cbranch_execz .LBB50_37
; %bb.36:                               ;   in Loop: Header=BB50_6 Depth=2
	ds_store_b64 v36, v[5:6] offset:4224
.LBB50_37:                              ;   in Loop: Header=BB50_6 Depth=2
	s_or_b32 exec_lo, exec_lo, s6
.LBB50_38:                              ;   in Loop: Header=BB50_6 Depth=2
	s_delay_alu instid0(SALU_CYCLE_1) | instskip(SKIP_1) | instid1(VALU_DEP_1)
	s_or_b32 exec_lo, exec_lo, s5
	v_cmp_le_i64_e64 s5, s[18:19], v[25:26]
	s_or_b32 s6, s5, vcc_lo
	s_delay_alu instid0(SALU_CYCLE_1) | instskip(NEXT) | instid1(SALU_CYCLE_1)
	s_xor_b32 s6, s6, -1
	s_and_saveexec_b32 s7, s6
	s_delay_alu instid0(SALU_CYCLE_1)
	s_xor_b32 s6, exec_lo, s7
	s_cbranch_execz .LBB50_40
; %bb.39:                               ;   in Loop: Header=BB50_6 Depth=2
	global_load_b64 v[38:39], v[27:28], off
	s_waitcnt vmcnt(0)
	ds_store_b64 v37, v[38:39]
.LBB50_40:                              ;   in Loop: Header=BB50_6 Depth=2
	s_and_not1_saveexec_b32 s6, s6
	s_cbranch_execz .LBB50_42
; %bb.41:                               ;   in Loop: Header=BB50_6 Depth=2
	v_mov_b32_e32 v38, v5
	v_mov_b32_e32 v39, v5
	ds_store_b64 v37, v[38:39]
.LBB50_42:                              ;   in Loop: Header=BB50_6 Depth=2
	s_or_b32 exec_lo, exec_lo, s6
	s_or_b32 s5, s5, s0
	s_delay_alu instid0(SALU_CYCLE_1) | instskip(NEXT) | instid1(SALU_CYCLE_1)
	s_xor_b32 s5, s5, -1
	s_and_saveexec_b32 s6, s5
	s_delay_alu instid0(SALU_CYCLE_1)
	s_xor_b32 s5, exec_lo, s6
	s_cbranch_execz .LBB50_44
; %bb.43:                               ;   in Loop: Header=BB50_6 Depth=2
	global_load_b64 v[38:39], v[27:28], off offset:128
	s_waitcnt vmcnt(0)
	ds_store_b64 v37, v[38:39] offset:128
.LBB50_44:                              ;   in Loop: Header=BB50_6 Depth=2
	s_and_not1_saveexec_b32 s5, s5
	s_cbranch_execz .LBB50_46
; %bb.45:                               ;   in Loop: Header=BB50_6 Depth=2
	v_mov_b32_e32 v38, v5
	v_mov_b32_e32 v39, v5
	ds_store_b64 v37, v[38:39] offset:128
.LBB50_46:                              ;   in Loop: Header=BB50_6 Depth=2
	s_or_b32 exec_lo, exec_lo, s5
	v_cmp_le_i64_e64 s5, s[16:17], v[25:26]
	s_delay_alu instid0(VALU_DEP_1) | instskip(NEXT) | instid1(SALU_CYCLE_1)
	s_or_b32 s6, s5, vcc_lo
	s_xor_b32 s6, s6, -1
	s_delay_alu instid0(SALU_CYCLE_1) | instskip(NEXT) | instid1(SALU_CYCLE_1)
	s_and_saveexec_b32 s7, s6
	s_xor_b32 s7, exec_lo, s7
	s_cbranch_execz .LBB50_48
; %bb.47:                               ;   in Loop: Header=BB50_6 Depth=2
	s_lshl_b64 s[8:9], s[20:21], 3
	s_delay_alu instid0(SALU_CYCLE_1) | instskip(NEXT) | instid1(VALU_DEP_1)
	v_add_co_u32 v38, s6, v27, s8
	v_add_co_ci_u32_e64 v39, s6, s9, v28, s6
	global_load_b64 v[38:39], v[38:39], off
	s_waitcnt vmcnt(0)
	ds_store_b64 v37, v[38:39] offset:4096
.LBB50_48:                              ;   in Loop: Header=BB50_6 Depth=2
	s_and_not1_saveexec_b32 s6, s7
	s_cbranch_execz .LBB50_50
; %bb.49:                               ;   in Loop: Header=BB50_6 Depth=2
	v_mov_b32_e32 v38, v5
	v_mov_b32_e32 v39, v5
	ds_store_b64 v37, v[38:39] offset:4096
.LBB50_50:                              ;   in Loop: Header=BB50_6 Depth=2
	s_or_b32 exec_lo, exec_lo, s6
	s_or_b32 s5, s5, s0
	s_delay_alu instid0(SALU_CYCLE_1) | instskip(NEXT) | instid1(SALU_CYCLE_1)
	s_xor_b32 s5, s5, -1
	s_and_saveexec_b32 s6, s5
	s_delay_alu instid0(SALU_CYCLE_1)
	s_xor_b32 s6, exec_lo, s6
	s_cbranch_execz .LBB50_52
; %bb.51:                               ;   in Loop: Header=BB50_6 Depth=2
	s_lshl_b64 s[8:9], s[20:21], 3
	s_delay_alu instid0(SALU_CYCLE_1) | instskip(NEXT) | instid1(VALU_DEP_1)
	v_add_co_u32 v38, s5, v27, s8
	v_add_co_ci_u32_e64 v39, s5, s9, v28, s5
	global_load_b64 v[38:39], v[38:39], off offset:128
	s_waitcnt vmcnt(0)
	ds_store_b64 v37, v[38:39] offset:4224
.LBB50_52:                              ;   in Loop: Header=BB50_6 Depth=2
	s_and_not1_saveexec_b32 s5, s6
	s_cbranch_execz .LBB50_54
; %bb.53:                               ;   in Loop: Header=BB50_6 Depth=2
	v_mov_b32_e32 v38, v5
	v_mov_b32_e32 v39, v5
	ds_store_b64 v37, v[38:39] offset:4224
.LBB50_54:                              ;   in Loop: Header=BB50_6 Depth=2
	s_or_b32 exec_lo, exec_lo, s5
	v_mov_b32_e32 v38, v35
	s_mov_b32 s5, 0
	s_waitcnt lgkmcnt(0)
	s_waitcnt_vscnt null, 0x0
	s_barrier
	buffer_gl0_inv
.LBB50_55:                              ;   Parent Loop BB50_4 Depth=1
                                        ;     Parent Loop BB50_6 Depth=2
                                        ; =>    This Inner Loop Header: Depth=3
	v_add_nc_u32_e32 v61, s5, v34
	s_add_i32 s5, s5, 64
	ds_load_2addr_b64 v[39:42], v38 offset1:16
	ds_load_b128 v[43:46], v61
	ds_load_b128 v[47:50], v61 offset:4096
	ds_load_b128 v[51:54], v61 offset:16
	;; [unrolled: 1-line block ×3, first 2 shown]
	s_cmpk_lg_i32 s5, 0x100
	s_waitcnt lgkmcnt(3)
	v_fma_f64 v[59:60], v[39:40], v[43:44], v[31:32]
	v_fma_f64 v[43:44], v[41:42], v[43:44], v[29:30]
	s_waitcnt lgkmcnt(2)
	v_fma_f64 v[19:20], v[39:40], v[47:48], v[19:20]
	v_fma_f64 v[15:16], v[41:42], v[47:48], v[15:16]
	ds_load_2addr_b64 v[29:32], v38 offset0:32 offset1:48
	s_waitcnt lgkmcnt(0)
	v_fma_f64 v[39:40], v[29:30], v[45:46], v[59:60]
	v_fma_f64 v[41:42], v[31:32], v[45:46], v[43:44]
	v_fma_f64 v[19:20], v[29:30], v[49:50], v[19:20]
	v_fma_f64 v[15:16], v[31:32], v[49:50], v[15:16]
	ds_load_2addr_b64 v[29:32], v38 offset0:64 offset1:80
	s_waitcnt lgkmcnt(0)
	v_fma_f64 v[39:40], v[29:30], v[51:52], v[39:40]
	v_fma_f64 v[41:42], v[31:32], v[51:52], v[41:42]
	;; [unrolled: 6-line block ×3, first 2 shown]
	v_fma_f64 v[19:20], v[29:30], v[57:58], v[19:20]
	v_fma_f64 v[15:16], v[31:32], v[57:58], v[15:16]
	ds_load_2addr_b64 v[29:32], v38 offset0:128 offset1:144
	ds_load_b128 v[39:42], v61 offset:32
	ds_load_b128 v[43:46], v61 offset:4128
	;; [unrolled: 1-line block ×4, first 2 shown]
	s_waitcnt lgkmcnt(3)
	v_fma_f64 v[55:56], v[29:30], v[39:40], v[55:56]
	v_fma_f64 v[39:40], v[31:32], v[39:40], v[59:60]
	s_waitcnt lgkmcnt(2)
	v_fma_f64 v[19:20], v[29:30], v[43:44], v[19:20]
	v_fma_f64 v[15:16], v[31:32], v[43:44], v[15:16]
	ds_load_2addr_b64 v[29:32], v38 offset0:160 offset1:176
	s_waitcnt lgkmcnt(0)
	v_fma_f64 v[43:44], v[29:30], v[41:42], v[55:56]
	v_fma_f64 v[39:40], v[31:32], v[41:42], v[39:40]
	;; [unrolled: 1-line block ×4, first 2 shown]
	ds_load_2addr_b64 v[29:32], v38 offset0:192 offset1:208
	s_waitcnt lgkmcnt(0)
	v_fma_f64 v[43:44], v[29:30], v[47:48], v[43:44]
	v_fma_f64 v[45:46], v[31:32], v[47:48], v[39:40]
	v_fma_f64 v[19:20], v[29:30], v[51:52], v[19:20]
	v_fma_f64 v[15:16], v[31:32], v[51:52], v[15:16]
	ds_load_2addr_b64 v[39:42], v38 offset0:224 offset1:240
	v_add_nc_u32_e32 v38, 0x800, v38
	s_waitcnt lgkmcnt(0)
	v_fma_f64 v[31:32], v[39:40], v[49:50], v[43:44]
	v_fma_f64 v[29:30], v[41:42], v[49:50], v[45:46]
	;; [unrolled: 1-line block ×4, first 2 shown]
	s_cbranch_scc1 .LBB50_55
; %bb.56:                               ;   in Loop: Header=BB50_6 Depth=2
	v_add_co_u32 v21, s5, 0x100, v21
	s_delay_alu instid0(VALU_DEP_1) | instskip(SKIP_1) | instid1(VALU_DEP_1)
	v_add_co_ci_u32_e64 v22, s5, 0, v22, s5
	v_add_co_u32 v23, s5, v23, 32
	v_add_co_ci_u32_e64 v24, s5, 0, v24, s5
	v_add_co_u32 v27, s5, v27, s10
	s_delay_alu instid0(VALU_DEP_1) | instskip(SKIP_1) | instid1(VALU_DEP_1)
	v_add_co_ci_u32_e64 v28, s5, s11, v28, s5
	v_add_co_u32 v25, s5, v25, 32
	v_add_co_ci_u32_e64 v26, s5, 0, v26, s5
	s_add_i32 s5, s28, 32
	s_cmp_ge_i32 s28, s27
	s_barrier
	buffer_gl0_inv
	s_cbranch_scc1 .LBB50_58
; %bb.57:                               ;   in Loop: Header=BB50_6 Depth=2
	s_mov_b32 s28, s5
	s_branch .LBB50_6
.LBB50_58:                              ;   in Loop: Header=BB50_4 Depth=1
	s_delay_alu instid0(VALU_DEP_1) | instskip(SKIP_3) | instid1(VALU_DEP_2)
	v_mul_lo_u32 v14, v14, s36
	v_mul_lo_u32 v21, v13, s37
	v_mad_u64_u32 v[17:18], null, v13, s36, 0
	v_cmp_gt_i32_e64 s3, s18, v13
	v_add3_u32 v18, v18, v21, v14
	s_delay_alu instid0(VALU_DEP_1) | instskip(NEXT) | instid1(VALU_DEP_1)
	v_lshlrev_b64 v[17:18], 3, v[17:18]
	v_add_co_u32 v14, s4, s15, v17
	s_delay_alu instid0(VALU_DEP_1) | instskip(SKIP_1) | instid1(SALU_CYCLE_1)
	v_add_co_ci_u32_e64 v17, s4, s23, v18, s4
	s_and_b32 s4, s1, s3
	s_and_saveexec_b32 s5, s4
	s_cbranch_execz .LBB50_60
; %bb.59:                               ;   in Loop: Header=BB50_4 Depth=1
	v_add_co_u32 v21, s4, v14, v7
	s_delay_alu instid0(VALU_DEP_1)
	v_add_co_ci_u32_e64 v22, s4, v17, v8, s4
	global_load_b64 v[23:24], v[21:22], off
	s_waitcnt vmcnt(0)
	v_fma_f64 v[23:24], s[34:35], v[31:32], v[23:24]
	global_store_b64 v[21:22], v[23:24], off
.LBB50_60:                              ;   in Loop: Header=BB50_4 Depth=1
	s_or_b32 exec_lo, exec_lo, s5
	s_and_b32 s3, s2, s3
	s_delay_alu instid0(SALU_CYCLE_1)
	s_and_saveexec_b32 s4, s3
	s_cbranch_execz .LBB50_62
; %bb.61:                               ;   in Loop: Header=BB50_4 Depth=1
	v_lshlrev_b64 v[21:22], 3, v[11:12]
	s_delay_alu instid0(VALU_DEP_1) | instskip(NEXT) | instid1(VALU_DEP_1)
	v_add_co_u32 v21, s3, v14, v21
	v_add_co_ci_u32_e64 v22, s3, v17, v22, s3
	global_load_b64 v[17:18], v[21:22], off
	s_waitcnt vmcnt(0)
	v_fma_f64 v[17:18], s[34:35], v[29:30], v[17:18]
	global_store_b64 v[21:22], v[17:18], off
.LBB50_62:                              ;   in Loop: Header=BB50_4 Depth=1
	s_or_b32 exec_lo, exec_lo, s4
	v_add_nc_u32_e32 v17, 16, v13
	s_delay_alu instid0(VALU_DEP_1) | instskip(SKIP_3) | instid1(VALU_DEP_4)
	v_ashrrev_i32_e32 v18, 31, v17
	v_mul_lo_u32 v21, v17, s37
	v_mad_u64_u32 v[13:14], null, v17, s36, 0
	v_cmp_gt_i32_e64 s3, s18, v17
	v_mul_lo_u32 v18, v18, s36
	s_delay_alu instid0(VALU_DEP_1) | instskip(NEXT) | instid1(VALU_DEP_1)
	v_add3_u32 v14, v14, v21, v18
	v_lshlrev_b64 v[13:14], 3, v[13:14]
	s_delay_alu instid0(VALU_DEP_1) | instskip(NEXT) | instid1(VALU_DEP_1)
	v_add_co_u32 v13, s4, s15, v13
	v_add_co_ci_u32_e64 v14, s4, s23, v14, s4
	s_and_b32 s4, s1, s3
	s_delay_alu instid0(SALU_CYCLE_1)
	s_and_saveexec_b32 s5, s4
	s_cbranch_execnz .LBB50_64
; %bb.63:                               ;   in Loop: Header=BB50_4 Depth=1
	s_or_b32 exec_lo, exec_lo, s5
	s_and_b32 s3, s2, s3
	s_delay_alu instid0(SALU_CYCLE_1)
	s_and_saveexec_b32 s4, s3
	s_cbranch_execz .LBB50_3
	s_branch .LBB50_65
.LBB50_64:                              ;   in Loop: Header=BB50_4 Depth=1
	v_add_co_u32 v17, s4, v13, v7
	s_delay_alu instid0(VALU_DEP_1)
	v_add_co_ci_u32_e64 v18, s4, v14, v8, s4
	global_load_b64 v[21:22], v[17:18], off
	s_waitcnt vmcnt(0)
	v_fma_f64 v[19:20], s[34:35], v[19:20], v[21:22]
	global_store_b64 v[17:18], v[19:20], off
	s_or_b32 exec_lo, exec_lo, s5
	s_and_b32 s3, s2, s3
	s_delay_alu instid0(SALU_CYCLE_1)
	s_and_saveexec_b32 s4, s3
	s_cbranch_execz .LBB50_3
.LBB50_65:                              ;   in Loop: Header=BB50_4 Depth=1
	v_lshlrev_b64 v[17:18], 3, v[11:12]
	s_delay_alu instid0(VALU_DEP_1) | instskip(NEXT) | instid1(VALU_DEP_1)
	v_add_co_u32 v13, s3, v13, v17
	v_add_co_ci_u32_e64 v14, s3, v14, v18, s3
	global_load_b64 v[17:18], v[13:14], off
	s_waitcnt vmcnt(0)
	v_fma_f64 v[15:16], s[34:35], v[15:16], v[17:18]
	global_store_b64 v[13:14], v[15:16], off
	s_branch .LBB50_3
.LBB50_66:
	s_nop 0
	s_sendmsg sendmsg(MSG_DEALLOC_VGPRS)
	s_endpgm
	.section	.rodata,"a",@progbits
	.p2align	6, 0x0
	.amdhsa_kernel _ZL30rocblas_trmm_outofplace_kernelIdLi32ELi2ELb0ELb1ELb0ELb0EPKdS0_dEv17rocblas_diagonal_iiT6_lPT7_lllS5_lllPT8_llli
		.amdhsa_group_segment_fixed_size 16384
		.amdhsa_private_segment_fixed_size 0
		.amdhsa_kernarg_size 392
		.amdhsa_user_sgpr_count 13
		.amdhsa_user_sgpr_dispatch_ptr 0
		.amdhsa_user_sgpr_queue_ptr 0
		.amdhsa_user_sgpr_kernarg_segment_ptr 1
		.amdhsa_user_sgpr_dispatch_id 0
		.amdhsa_user_sgpr_private_segment_size 0
		.amdhsa_wavefront_size32 1
		.amdhsa_uses_dynamic_stack 0
		.amdhsa_enable_private_segment 0
		.amdhsa_system_sgpr_workgroup_id_x 1
		.amdhsa_system_sgpr_workgroup_id_y 1
		.amdhsa_system_sgpr_workgroup_id_z 1
		.amdhsa_system_sgpr_workgroup_info 0
		.amdhsa_system_vgpr_workitem_id 1
		.amdhsa_next_free_vgpr 62
		.amdhsa_next_free_sgpr 40
		.amdhsa_reserve_vcc 1
		.amdhsa_float_round_mode_32 0
		.amdhsa_float_round_mode_16_64 0
		.amdhsa_float_denorm_mode_32 3
		.amdhsa_float_denorm_mode_16_64 3
		.amdhsa_dx10_clamp 1
		.amdhsa_ieee_mode 1
		.amdhsa_fp16_overflow 0
		.amdhsa_workgroup_processor_mode 1
		.amdhsa_memory_ordered 1
		.amdhsa_forward_progress 0
		.amdhsa_shared_vgpr_count 0
		.amdhsa_exception_fp_ieee_invalid_op 0
		.amdhsa_exception_fp_denorm_src 0
		.amdhsa_exception_fp_ieee_div_zero 0
		.amdhsa_exception_fp_ieee_overflow 0
		.amdhsa_exception_fp_ieee_underflow 0
		.amdhsa_exception_fp_ieee_inexact 0
		.amdhsa_exception_int_div_zero 0
	.end_amdhsa_kernel
	.section	.text._ZL30rocblas_trmm_outofplace_kernelIdLi32ELi2ELb0ELb1ELb0ELb0EPKdS0_dEv17rocblas_diagonal_iiT6_lPT7_lllS5_lllPT8_llli,"axG",@progbits,_ZL30rocblas_trmm_outofplace_kernelIdLi32ELi2ELb0ELb1ELb0ELb0EPKdS0_dEv17rocblas_diagonal_iiT6_lPT7_lllS5_lllPT8_llli,comdat
.Lfunc_end50:
	.size	_ZL30rocblas_trmm_outofplace_kernelIdLi32ELi2ELb0ELb1ELb0ELb0EPKdS0_dEv17rocblas_diagonal_iiT6_lPT7_lllS5_lllPT8_llli, .Lfunc_end50-_ZL30rocblas_trmm_outofplace_kernelIdLi32ELi2ELb0ELb1ELb0ELb0EPKdS0_dEv17rocblas_diagonal_iiT6_lPT7_lllS5_lllPT8_llli
                                        ; -- End function
	.section	.AMDGPU.csdata,"",@progbits
; Kernel info:
; codeLenInByte = 2880
; NumSgprs: 42
; NumVgprs: 62
; ScratchSize: 0
; MemoryBound: 1
; FloatMode: 240
; IeeeMode: 1
; LDSByteSize: 16384 bytes/workgroup (compile time only)
; SGPRBlocks: 5
; VGPRBlocks: 7
; NumSGPRsForWavesPerEU: 42
; NumVGPRsForWavesPerEU: 62
; Occupancy: 16
; WaveLimiterHint : 0
; COMPUTE_PGM_RSRC2:SCRATCH_EN: 0
; COMPUTE_PGM_RSRC2:USER_SGPR: 13
; COMPUTE_PGM_RSRC2:TRAP_HANDLER: 0
; COMPUTE_PGM_RSRC2:TGID_X_EN: 1
; COMPUTE_PGM_RSRC2:TGID_Y_EN: 1
; COMPUTE_PGM_RSRC2:TGID_Z_EN: 1
; COMPUTE_PGM_RSRC2:TIDIG_COMP_CNT: 1
	.section	.text._ZL30rocblas_trmm_outofplace_kernelIdLi32ELi2ELb0ELb1ELb0ELb0EdKddEv17rocblas_diagonal_iiT6_lPT7_lllS4_lllPT8_llli,"axG",@progbits,_ZL30rocblas_trmm_outofplace_kernelIdLi32ELi2ELb0ELb1ELb0ELb0EdKddEv17rocblas_diagonal_iiT6_lPT7_lllS4_lllPT8_llli,comdat
	.globl	_ZL30rocblas_trmm_outofplace_kernelIdLi32ELi2ELb0ELb1ELb0ELb0EdKddEv17rocblas_diagonal_iiT6_lPT7_lllS4_lllPT8_llli ; -- Begin function _ZL30rocblas_trmm_outofplace_kernelIdLi32ELi2ELb0ELb1ELb0ELb0EdKddEv17rocblas_diagonal_iiT6_lPT7_lllS4_lllPT8_llli
	.p2align	8
	.type	_ZL30rocblas_trmm_outofplace_kernelIdLi32ELi2ELb0ELb1ELb0ELb0EdKddEv17rocblas_diagonal_iiT6_lPT7_lllS4_lllPT8_llli,@function
_ZL30rocblas_trmm_outofplace_kernelIdLi32ELi2ELb0ELb1ELb0ELb0EdKddEv17rocblas_diagonal_iiT6_lPT7_lllS4_lllPT8_llli: ; @_ZL30rocblas_trmm_outofplace_kernelIdLi32ELi2ELb0ELb1ELb0ELb0EdKddEv17rocblas_diagonal_iiT6_lPT7_lllS4_lllPT8_llli
; %bb.0:
	s_load_b64 s[34:35], s[0:1], 0x10
	s_waitcnt lgkmcnt(0)
	v_cmp_eq_f64_e64 s2, s[34:35], 0
	s_delay_alu instid0(VALU_DEP_1)
	s_and_b32 vcc_lo, exec_lo, s2
	s_cbranch_vccnz .LBB51_66
; %bb.1:
	s_load_b128 s[8:11], s[0:1], 0x0
	s_waitcnt lgkmcnt(0)
	s_add_i32 s2, s10, -1
	s_delay_alu instid0(SALU_CYCLE_1) | instskip(NEXT) | instid1(SALU_CYCLE_1)
	s_ashr_i32 s3, s2, 31
	s_lshr_b32 s3, s3, 27
	s_delay_alu instid0(SALU_CYCLE_1) | instskip(NEXT) | instid1(SALU_CYCLE_1)
	s_add_i32 s2, s2, s3
	s_ashr_i32 s33, s2, 5
	s_delay_alu instid0(SALU_CYCLE_1)
	s_cmp_gt_i32 s14, s33
	s_cbranch_scc1 .LBB51_66
; %bb.2:
	s_clause 0x1
	s_load_b512 s[16:31], s[0:1], 0x20
	s_load_b256 s[36:43], s[0:1], 0x60
	v_bfe_u32 v5, v0, 10, 10
	s_delay_alu instid0(VALU_DEP_1)
	v_lshlrev_b32_e32 v34, 8, v5
	s_waitcnt lgkmcnt(0)
	v_mad_u64_u32 v[9:10], null, v5, s28, 0
	v_mov_b32_e32 v3, 0
	v_and_b32_e32 v1, 0x3ff, v0
	s_mul_i32 s3, s15, s23
	s_mul_hi_u32 s5, s15, s22
	s_mul_i32 s2, s15, s22
	s_add_i32 s3, s5, s3
	s_delay_alu instid0(VALU_DEP_3)
	v_mov_b32_e32 v0, v10
	v_mov_b32_e32 v2, v3
	s_lshl_b64 s[2:3], s[2:3], 3
	v_lshl_add_u32 v12, s13, 5, v1
	s_add_u32 s5, s16, s2
	s_addc_u32 s12, s17, s3
	s_lshl_b64 s[2:3], s[18:19], 3
	s_mul_i32 s6, s15, s31
	s_mul_hi_u32 s7, s15, s30
	s_add_u32 s16, s5, s2
	v_ashrrev_i32_e32 v13, 31, v12
	s_mul_i32 s4, s15, s30
	s_addc_u32 s12, s12, s3
	s_add_i32 s5, s7, s6
	v_mad_u64_u32 v[10:11], null, v5, s29, v[0:1]
	s_lshl_b64 s[4:5], s[4:5], 3
	v_lshlrev_b64 v[7:8], 3, v[12:13]
	s_add_u32 s3, s24, s4
	s_addc_u32 s6, s25, s5
	s_lshl_b64 s[4:5], s[26:27], 3
	s_mul_i32 s11, s15, s43
	s_mul_hi_u32 s13, s15, s42
	s_add_u32 s4, s3, s4
	s_mul_i32 s2, s15, s42
	s_addc_u32 s5, s6, s5
	s_add_i32 s3, s13, s11
	v_lshlrev_b64 v[9:10], 3, v[9:10]
	s_lshl_b64 s[2:3], s[2:3], 3
	v_add_co_u32 v11, vcc_lo, s4, v7
	v_lshlrev_b32_e32 v4, 3, v1
	s_add_u32 s6, s36, s2
	s_load_b32 s26, s[0:1], 0x8c
	s_addc_u32 s7, s37, s3
	s_lshl_b64 s[2:3], s[38:39], 3
	v_add_co_ci_u32_e32 v14, vcc_lo, s5, v8, vcc_lo
	s_add_u32 s15, s6, s2
	s_addc_u32 s24, s7, s3
	v_add_co_u32 v9, vcc_lo, v11, v9
	v_add_co_u32 v0, s2, s16, v4
	s_cmpk_eq_i32 s8, 0x84
	v_add_co_ci_u32_e32 v10, vcc_lo, v14, v10, vcc_lo
	v_add_co_ci_u32_e64 v33, null, s12, 0, s2
	s_cselect_b32 s25, -1, 0
	s_ashr_i32 s2, s9, 31
	v_sub_co_u32 v14, vcc_lo, s9, v12
	v_sub_co_ci_u32_e32 v15, vcc_lo, s2, v13, vcc_lo
	v_dual_mov_b32 v6, v3 :: v_dual_add_nc_u32 v11, 16, v12
	v_or_b32_e32 v35, 0x2000, v4
	s_delay_alu instid0(VALU_DEP_3)
	v_cmp_gt_i64_e32 vcc_lo, 1, v[14:15]
	v_cmp_gt_i64_e64 s0, 17, v[14:15]
	v_add_nc_u32_e32 v36, v34, v4
	v_cmp_gt_i32_e64 s1, s9, v12
	v_dual_mov_b32 v4, 0x3ff00000 :: v_dual_add_nc_u32 v37, v35, v34
	v_cmp_gt_i32_e64 s2, s9, v11
	v_ashrrev_i32_e32 v12, 31, v11
	s_ashr_i32 s11, s10, 31
	s_lshl_b64 s[12:13], s[28:29], 8
	s_lshl_b64 s[16:17], s[20:21], 4
	s_add_u32 s18, s10, -16
	s_addc_u32 s19, s11, -1
	s_lshl_b64 s[22:23], s[28:29], 4
	s_branch .LBB51_4
.LBB51_3:                               ;   in Loop: Header=BB51_4 Depth=1
	s_or_b32 exec_lo, exec_lo, s4
	s_waitcnt lgkmcnt(0)
	s_add_i32 s14, s26, s14
	s_delay_alu instid0(SALU_CYCLE_1)
	s_cmp_le_i32 s14, s33
	s_cbranch_scc0 .LBB51_66
.LBB51_4:                               ; =>This Loop Header: Depth=1
                                        ;     Child Loop BB51_6 Depth 2
                                        ;       Child Loop BB51_55 Depth 3
	s_lshl_b32 s27, s14, 5
	v_mov_b32_e32 v31, 0
	v_dual_mov_b32 v32, 0 :: v_dual_add_nc_u32 v13, s27, v5
	s_delay_alu instid0(VALU_DEP_2) | instskip(SKIP_1) | instid1(VALU_DEP_3)
	v_mov_b32_e32 v29, v31
	v_mov_b32_e32 v19, v31
	v_dual_mov_b32 v15, v31 :: v_dual_mov_b32 v16, v32
	v_mov_b32_e32 v30, v32
	v_mov_b32_e32 v20, v32
	v_ashrrev_i32_e32 v14, 31, v13
	s_cmp_lt_i32 s14, 0
	s_cbranch_scc1 .LBB51_58
; %bb.5:                                ;   in Loop: Header=BB51_4 Depth=1
	s_delay_alu instid0(VALU_DEP_1) | instskip(SKIP_3) | instid1(VALU_DEP_1)
	v_mul_lo_u32 v15, v14, s20
	v_mul_lo_u32 v16, v13, s21
	v_mad_u64_u32 v[19:20], null, v13, s20, 0
	v_add_co_u32 v17, s3, v13, 16
	v_add_co_ci_u32_e64 v18, s3, 0, v14, s3
	v_mov_b32_e32 v24, v2
	v_cmp_le_i32_e64 s3, s10, v13
	v_add3_u32 v20, v20, v16, v15
	v_mov_b32_e32 v15, 0
	v_dual_mov_b32 v16, 0 :: v_dual_mov_b32 v23, v1
	v_cmp_le_i64_e64 s4, s[10:11], v[17:18]
	s_delay_alu instid0(VALU_DEP_4) | instskip(SKIP_1) | instid1(VALU_DEP_4)
	v_lshlrev_b64 v[21:22], 3, v[19:20]
	v_dual_mov_b32 v26, v6 :: v_dual_mov_b32 v25, v5
	v_dual_mov_b32 v20, v16 :: v_dual_mov_b32 v19, v15
	;; [unrolled: 1-line block ×3, first 2 shown]
	s_delay_alu instid0(VALU_DEP_4)
	v_add_co_u32 v21, s5, v0, v21
	v_dual_mov_b32 v32, v16 :: v_dual_mov_b32 v31, v15
	v_add_co_ci_u32_e64 v22, s5, v33, v22, s5
	v_dual_mov_b32 v28, v10 :: v_dual_mov_b32 v27, v9
	s_mov_b32 s28, 0
.LBB51_6:                               ;   Parent Loop BB51_4 Depth=1
                                        ; =>  This Loop Header: Depth=2
                                        ;       Child Loop BB51_55 Depth 3
	v_cmp_eq_u64_e64 s7, v[23:24], v[13:14]
	v_cmp_gt_i64_e64 s5, v[23:24], v[13:14]
	v_cmp_le_i64_e64 s6, s[10:11], v[23:24]
	s_delay_alu instid0(VALU_DEP_3) | instskip(NEXT) | instid1(VALU_DEP_2)
	s_and_b32 s30, s25, s7
	s_or_b32 s7, s3, s5
	s_delay_alu instid0(SALU_CYCLE_1)
	s_or_b32 s7, s7, s30
	s_delay_alu instid0(VALU_DEP_1) | instid1(SALU_CYCLE_1)
	s_or_b32 s7, s6, s7
	s_delay_alu instid0(SALU_CYCLE_1) | instskip(NEXT) | instid1(SALU_CYCLE_1)
	s_xor_b32 s7, s7, -1
	s_and_saveexec_b32 s8, s7
	s_delay_alu instid0(SALU_CYCLE_1)
	s_xor_b32 s7, exec_lo, s8
	s_cbranch_execz .LBB51_8
; %bb.7:                                ;   in Loop: Header=BB51_6 Depth=2
	global_load_b64 v[38:39], v[21:22], off
	s_waitcnt vmcnt(0)
	ds_store_b64 v36, v[38:39]
.LBB51_8:                               ;   in Loop: Header=BB51_6 Depth=2
	s_or_saveexec_b32 s7, s7
	s_xor_b32 s29, s30, -1
	s_xor_b32 exec_lo, exec_lo, s7
	s_cbranch_execz .LBB51_14
; %bb.9:                                ;   in Loop: Header=BB51_6 Depth=2
	s_and_saveexec_b32 s8, s29
	s_delay_alu instid0(SALU_CYCLE_1)
	s_xor_b32 s8, exec_lo, s8
	s_cbranch_execz .LBB51_11
; %bb.10:                               ;   in Loop: Header=BB51_6 Depth=2
	v_mov_b32_e32 v38, v3
	v_mov_b32_e32 v39, v3
	ds_store_b64 v36, v[38:39]
.LBB51_11:                              ;   in Loop: Header=BB51_6 Depth=2
	s_and_not1_saveexec_b32 s8, s8
	s_cbranch_execz .LBB51_13
; %bb.12:                               ;   in Loop: Header=BB51_6 Depth=2
	ds_store_b64 v36, v[3:4]
.LBB51_13:                              ;   in Loop: Header=BB51_6 Depth=2
	s_or_b32 exec_lo, exec_lo, s8
.LBB51_14:                              ;   in Loop: Header=BB51_6 Depth=2
	s_delay_alu instid0(SALU_CYCLE_1) | instskip(SKIP_1) | instid1(VALU_DEP_1)
	s_or_b32 exec_lo, exec_lo, s7
	v_add_co_u32 v38, s7, v23, 16
	v_add_co_ci_u32_e64 v39, s7, 0, v24, s7
	s_delay_alu instid0(VALU_DEP_1) | instskip(SKIP_2) | instid1(VALU_DEP_3)
	v_cmp_eq_u64_e64 s8, v[38:39], v[13:14]
	v_cmp_gt_i64_e64 s9, v[38:39], v[13:14]
	v_cmp_le_i64_e64 s7, s[10:11], v[38:39]
	s_and_b32 s31, s25, s8
	s_delay_alu instid0(VALU_DEP_2) | instskip(NEXT) | instid1(SALU_CYCLE_1)
	s_or_b32 s8, s3, s9
	s_or_b32 s8, s8, s31
	s_delay_alu instid0(VALU_DEP_1) | instid1(SALU_CYCLE_1)
	s_or_b32 s8, s7, s8
	s_delay_alu instid0(SALU_CYCLE_1) | instskip(NEXT) | instid1(SALU_CYCLE_1)
	s_xor_b32 s8, s8, -1
	s_and_saveexec_b32 s9, s8
	s_delay_alu instid0(SALU_CYCLE_1)
	s_xor_b32 s8, exec_lo, s9
	s_cbranch_execz .LBB51_16
; %bb.15:                               ;   in Loop: Header=BB51_6 Depth=2
	global_load_b64 v[38:39], v[21:22], off offset:128
	s_waitcnt vmcnt(0)
	ds_store_b64 v36, v[38:39] offset:128
.LBB51_16:                              ;   in Loop: Header=BB51_6 Depth=2
	s_and_not1_saveexec_b32 s8, s8
	s_cbranch_execz .LBB51_22
; %bb.17:                               ;   in Loop: Header=BB51_6 Depth=2
	s_xor_b32 s9, s31, -1
	s_delay_alu instid0(SALU_CYCLE_1) | instskip(NEXT) | instid1(SALU_CYCLE_1)
	s_and_saveexec_b32 s31, s9
	s_xor_b32 s9, exec_lo, s31
	s_cbranch_execz .LBB51_19
; %bb.18:                               ;   in Loop: Header=BB51_6 Depth=2
	v_mov_b32_e32 v38, v3
	v_mov_b32_e32 v39, v3
	ds_store_b64 v36, v[38:39] offset:128
.LBB51_19:                              ;   in Loop: Header=BB51_6 Depth=2
	s_and_not1_saveexec_b32 s9, s9
	s_cbranch_execz .LBB51_21
; %bb.20:                               ;   in Loop: Header=BB51_6 Depth=2
	ds_store_b64 v36, v[3:4] offset:128
.LBB51_21:                              ;   in Loop: Header=BB51_6 Depth=2
	s_or_b32 exec_lo, exec_lo, s9
.LBB51_22:                              ;   in Loop: Header=BB51_6 Depth=2
	s_delay_alu instid0(SALU_CYCLE_1) | instskip(SKIP_2) | instid1(VALU_DEP_2)
	s_or_b32 exec_lo, exec_lo, s8
	v_cmp_eq_u64_e64 s8, v[23:24], v[17:18]
	v_cmp_gt_i64_e64 s9, v[23:24], v[17:18]
	s_and_b32 s8, s25, s8
	s_delay_alu instid0(VALU_DEP_1) | instskip(NEXT) | instid1(SALU_CYCLE_1)
	s_or_b32 s9, s4, s9
	s_or_b32 s9, s9, s8
	s_delay_alu instid0(SALU_CYCLE_1) | instskip(NEXT) | instid1(SALU_CYCLE_1)
	s_or_b32 s6, s6, s9
	s_xor_b32 s6, s6, -1
	s_delay_alu instid0(SALU_CYCLE_1) | instskip(NEXT) | instid1(SALU_CYCLE_1)
	s_and_saveexec_b32 s9, s6
	s_xor_b32 s9, exec_lo, s9
	s_cbranch_execz .LBB51_24
; %bb.23:                               ;   in Loop: Header=BB51_6 Depth=2
	s_lshl_b64 s[36:37], s[16:17], 3
	s_delay_alu instid0(SALU_CYCLE_1) | instskip(NEXT) | instid1(VALU_DEP_1)
	v_add_co_u32 v38, s6, v21, s36
	v_add_co_ci_u32_e64 v39, s6, s37, v22, s6
	global_load_b64 v[38:39], v[38:39], off
	s_waitcnt vmcnt(0)
	ds_store_b64 v36, v[38:39] offset:4096
.LBB51_24:                              ;   in Loop: Header=BB51_6 Depth=2
	s_and_not1_saveexec_b32 s6, s9
	s_cbranch_execz .LBB51_30
; %bb.25:                               ;   in Loop: Header=BB51_6 Depth=2
	s_xor_b32 s8, s8, -1
	s_delay_alu instid0(SALU_CYCLE_1) | instskip(NEXT) | instid1(SALU_CYCLE_1)
	s_and_saveexec_b32 s9, s8
	s_xor_b32 s8, exec_lo, s9
	s_cbranch_execz .LBB51_27
; %bb.26:                               ;   in Loop: Header=BB51_6 Depth=2
	v_mov_b32_e32 v38, v3
	v_mov_b32_e32 v39, v3
	ds_store_b64 v36, v[38:39] offset:4096
.LBB51_27:                              ;   in Loop: Header=BB51_6 Depth=2
	s_and_not1_saveexec_b32 s8, s8
	s_cbranch_execz .LBB51_29
; %bb.28:                               ;   in Loop: Header=BB51_6 Depth=2
	ds_store_b64 v36, v[3:4] offset:4096
.LBB51_29:                              ;   in Loop: Header=BB51_6 Depth=2
	s_or_b32 exec_lo, exec_lo, s8
.LBB51_30:                              ;   in Loop: Header=BB51_6 Depth=2
	s_delay_alu instid0(SALU_CYCLE_1) | instskip(SKIP_1) | instid1(SALU_CYCLE_1)
	s_or_b32 exec_lo, exec_lo, s6
	s_or_b32 s5, s4, s5
	s_or_b32 s5, s5, s30
	s_delay_alu instid0(SALU_CYCLE_1) | instskip(NEXT) | instid1(SALU_CYCLE_1)
	s_or_b32 s5, s7, s5
	s_xor_b32 s5, s5, -1
	s_delay_alu instid0(SALU_CYCLE_1) | instskip(NEXT) | instid1(SALU_CYCLE_1)
	s_and_saveexec_b32 s6, s5
	s_xor_b32 s6, exec_lo, s6
	s_cbranch_execz .LBB51_32
; %bb.31:                               ;   in Loop: Header=BB51_6 Depth=2
	s_lshl_b64 s[8:9], s[16:17], 3
	s_delay_alu instid0(SALU_CYCLE_1) | instskip(NEXT) | instid1(VALU_DEP_1)
	v_add_co_u32 v38, s5, v21, s8
	v_add_co_ci_u32_e64 v39, s5, s9, v22, s5
	global_load_b64 v[38:39], v[38:39], off offset:128
	s_waitcnt vmcnt(0)
	ds_store_b64 v36, v[38:39] offset:4224
.LBB51_32:                              ;   in Loop: Header=BB51_6 Depth=2
	s_and_not1_saveexec_b32 s5, s6
	s_cbranch_execz .LBB51_38
; %bb.33:                               ;   in Loop: Header=BB51_6 Depth=2
	s_and_saveexec_b32 s6, s29
	s_delay_alu instid0(SALU_CYCLE_1)
	s_xor_b32 s6, exec_lo, s6
	s_cbranch_execz .LBB51_35
; %bb.34:                               ;   in Loop: Header=BB51_6 Depth=2
	v_mov_b32_e32 v38, v3
	v_mov_b32_e32 v39, v3
	ds_store_b64 v36, v[38:39] offset:4224
.LBB51_35:                              ;   in Loop: Header=BB51_6 Depth=2
	s_and_not1_saveexec_b32 s6, s6
	s_cbranch_execz .LBB51_37
; %bb.36:                               ;   in Loop: Header=BB51_6 Depth=2
	ds_store_b64 v36, v[3:4] offset:4224
.LBB51_37:                              ;   in Loop: Header=BB51_6 Depth=2
	s_or_b32 exec_lo, exec_lo, s6
.LBB51_38:                              ;   in Loop: Header=BB51_6 Depth=2
	s_delay_alu instid0(SALU_CYCLE_1) | instskip(SKIP_1) | instid1(VALU_DEP_1)
	s_or_b32 exec_lo, exec_lo, s5
	v_cmp_le_i64_e64 s5, s[10:11], v[25:26]
	s_or_b32 s6, s5, vcc_lo
	s_delay_alu instid0(SALU_CYCLE_1) | instskip(NEXT) | instid1(SALU_CYCLE_1)
	s_xor_b32 s6, s6, -1
	s_and_saveexec_b32 s7, s6
	s_delay_alu instid0(SALU_CYCLE_1)
	s_xor_b32 s6, exec_lo, s7
	s_cbranch_execz .LBB51_40
; %bb.39:                               ;   in Loop: Header=BB51_6 Depth=2
	global_load_b64 v[38:39], v[27:28], off
	s_waitcnt vmcnt(0)
	ds_store_b64 v37, v[38:39]
.LBB51_40:                              ;   in Loop: Header=BB51_6 Depth=2
	s_and_not1_saveexec_b32 s6, s6
	s_cbranch_execz .LBB51_42
; %bb.41:                               ;   in Loop: Header=BB51_6 Depth=2
	v_mov_b32_e32 v38, v3
	v_mov_b32_e32 v39, v3
	ds_store_b64 v37, v[38:39]
.LBB51_42:                              ;   in Loop: Header=BB51_6 Depth=2
	s_or_b32 exec_lo, exec_lo, s6
	s_or_b32 s5, s5, s0
	s_delay_alu instid0(SALU_CYCLE_1) | instskip(NEXT) | instid1(SALU_CYCLE_1)
	s_xor_b32 s5, s5, -1
	s_and_saveexec_b32 s6, s5
	s_delay_alu instid0(SALU_CYCLE_1)
	s_xor_b32 s5, exec_lo, s6
	s_cbranch_execz .LBB51_44
; %bb.43:                               ;   in Loop: Header=BB51_6 Depth=2
	global_load_b64 v[38:39], v[27:28], off offset:128
	s_waitcnt vmcnt(0)
	ds_store_b64 v37, v[38:39] offset:128
.LBB51_44:                              ;   in Loop: Header=BB51_6 Depth=2
	s_and_not1_saveexec_b32 s5, s5
	s_cbranch_execz .LBB51_46
; %bb.45:                               ;   in Loop: Header=BB51_6 Depth=2
	v_mov_b32_e32 v38, v3
	v_mov_b32_e32 v39, v3
	ds_store_b64 v37, v[38:39] offset:128
.LBB51_46:                              ;   in Loop: Header=BB51_6 Depth=2
	s_or_b32 exec_lo, exec_lo, s5
	v_cmp_le_i64_e64 s5, s[18:19], v[25:26]
	s_delay_alu instid0(VALU_DEP_1) | instskip(NEXT) | instid1(SALU_CYCLE_1)
	s_or_b32 s6, s5, vcc_lo
	s_xor_b32 s6, s6, -1
	s_delay_alu instid0(SALU_CYCLE_1) | instskip(NEXT) | instid1(SALU_CYCLE_1)
	s_and_saveexec_b32 s7, s6
	s_xor_b32 s7, exec_lo, s7
	s_cbranch_execz .LBB51_48
; %bb.47:                               ;   in Loop: Header=BB51_6 Depth=2
	s_lshl_b64 s[8:9], s[22:23], 3
	s_delay_alu instid0(SALU_CYCLE_1) | instskip(NEXT) | instid1(VALU_DEP_1)
	v_add_co_u32 v38, s6, v27, s8
	v_add_co_ci_u32_e64 v39, s6, s9, v28, s6
	global_load_b64 v[38:39], v[38:39], off
	s_waitcnt vmcnt(0)
	ds_store_b64 v37, v[38:39] offset:4096
.LBB51_48:                              ;   in Loop: Header=BB51_6 Depth=2
	s_and_not1_saveexec_b32 s6, s7
	s_cbranch_execz .LBB51_50
; %bb.49:                               ;   in Loop: Header=BB51_6 Depth=2
	v_mov_b32_e32 v38, v3
	v_mov_b32_e32 v39, v3
	ds_store_b64 v37, v[38:39] offset:4096
.LBB51_50:                              ;   in Loop: Header=BB51_6 Depth=2
	s_or_b32 exec_lo, exec_lo, s6
	s_or_b32 s5, s5, s0
	s_delay_alu instid0(SALU_CYCLE_1) | instskip(NEXT) | instid1(SALU_CYCLE_1)
	s_xor_b32 s5, s5, -1
	s_and_saveexec_b32 s6, s5
	s_delay_alu instid0(SALU_CYCLE_1)
	s_xor_b32 s6, exec_lo, s6
	s_cbranch_execz .LBB51_52
; %bb.51:                               ;   in Loop: Header=BB51_6 Depth=2
	s_lshl_b64 s[8:9], s[22:23], 3
	s_delay_alu instid0(SALU_CYCLE_1) | instskip(NEXT) | instid1(VALU_DEP_1)
	v_add_co_u32 v38, s5, v27, s8
	v_add_co_ci_u32_e64 v39, s5, s9, v28, s5
	global_load_b64 v[38:39], v[38:39], off offset:128
	s_waitcnt vmcnt(0)
	ds_store_b64 v37, v[38:39] offset:4224
.LBB51_52:                              ;   in Loop: Header=BB51_6 Depth=2
	s_and_not1_saveexec_b32 s5, s6
	s_cbranch_execz .LBB51_54
; %bb.53:                               ;   in Loop: Header=BB51_6 Depth=2
	v_mov_b32_e32 v38, v3
	v_mov_b32_e32 v39, v3
	ds_store_b64 v37, v[38:39] offset:4224
.LBB51_54:                              ;   in Loop: Header=BB51_6 Depth=2
	s_or_b32 exec_lo, exec_lo, s5
	v_mov_b32_e32 v38, v35
	s_mov_b32 s5, 0
	s_waitcnt lgkmcnt(0)
	s_waitcnt_vscnt null, 0x0
	s_barrier
	buffer_gl0_inv
.LBB51_55:                              ;   Parent Loop BB51_4 Depth=1
                                        ;     Parent Loop BB51_6 Depth=2
                                        ; =>    This Inner Loop Header: Depth=3
	v_add_nc_u32_e32 v61, s5, v34
	s_add_i32 s5, s5, 64
	ds_load_2addr_b64 v[39:42], v38 offset1:16
	ds_load_b128 v[43:46], v61
	ds_load_b128 v[47:50], v61 offset:4096
	ds_load_b128 v[51:54], v61 offset:16
	;; [unrolled: 1-line block ×3, first 2 shown]
	s_cmpk_lg_i32 s5, 0x100
	s_waitcnt lgkmcnt(3)
	v_fma_f64 v[59:60], v[39:40], v[43:44], v[31:32]
	v_fma_f64 v[43:44], v[41:42], v[43:44], v[29:30]
	s_waitcnt lgkmcnt(2)
	v_fma_f64 v[19:20], v[39:40], v[47:48], v[19:20]
	v_fma_f64 v[15:16], v[41:42], v[47:48], v[15:16]
	ds_load_2addr_b64 v[29:32], v38 offset0:32 offset1:48
	s_waitcnt lgkmcnt(0)
	v_fma_f64 v[39:40], v[29:30], v[45:46], v[59:60]
	v_fma_f64 v[41:42], v[31:32], v[45:46], v[43:44]
	v_fma_f64 v[19:20], v[29:30], v[49:50], v[19:20]
	v_fma_f64 v[15:16], v[31:32], v[49:50], v[15:16]
	ds_load_2addr_b64 v[29:32], v38 offset0:64 offset1:80
	s_waitcnt lgkmcnt(0)
	v_fma_f64 v[39:40], v[29:30], v[51:52], v[39:40]
	v_fma_f64 v[41:42], v[31:32], v[51:52], v[41:42]
	;; [unrolled: 6-line block ×3, first 2 shown]
	v_fma_f64 v[19:20], v[29:30], v[57:58], v[19:20]
	v_fma_f64 v[15:16], v[31:32], v[57:58], v[15:16]
	ds_load_2addr_b64 v[29:32], v38 offset0:128 offset1:144
	ds_load_b128 v[39:42], v61 offset:32
	ds_load_b128 v[43:46], v61 offset:4128
	;; [unrolled: 1-line block ×4, first 2 shown]
	s_waitcnt lgkmcnt(3)
	v_fma_f64 v[55:56], v[29:30], v[39:40], v[55:56]
	v_fma_f64 v[39:40], v[31:32], v[39:40], v[59:60]
	s_waitcnt lgkmcnt(2)
	v_fma_f64 v[19:20], v[29:30], v[43:44], v[19:20]
	v_fma_f64 v[15:16], v[31:32], v[43:44], v[15:16]
	ds_load_2addr_b64 v[29:32], v38 offset0:160 offset1:176
	s_waitcnt lgkmcnt(0)
	v_fma_f64 v[43:44], v[29:30], v[41:42], v[55:56]
	v_fma_f64 v[39:40], v[31:32], v[41:42], v[39:40]
	;; [unrolled: 1-line block ×4, first 2 shown]
	ds_load_2addr_b64 v[29:32], v38 offset0:192 offset1:208
	s_waitcnt lgkmcnt(0)
	v_fma_f64 v[43:44], v[29:30], v[47:48], v[43:44]
	v_fma_f64 v[45:46], v[31:32], v[47:48], v[39:40]
	;; [unrolled: 1-line block ×4, first 2 shown]
	ds_load_2addr_b64 v[39:42], v38 offset0:224 offset1:240
	v_add_nc_u32_e32 v38, 0x800, v38
	s_waitcnt lgkmcnt(0)
	v_fma_f64 v[31:32], v[39:40], v[49:50], v[43:44]
	v_fma_f64 v[29:30], v[41:42], v[49:50], v[45:46]
	;; [unrolled: 1-line block ×4, first 2 shown]
	s_cbranch_scc1 .LBB51_55
; %bb.56:                               ;   in Loop: Header=BB51_6 Depth=2
	v_add_co_u32 v21, s5, 0x100, v21
	s_delay_alu instid0(VALU_DEP_1) | instskip(SKIP_1) | instid1(VALU_DEP_1)
	v_add_co_ci_u32_e64 v22, s5, 0, v22, s5
	v_add_co_u32 v23, s5, v23, 32
	v_add_co_ci_u32_e64 v24, s5, 0, v24, s5
	v_add_co_u32 v27, s5, v27, s12
	s_delay_alu instid0(VALU_DEP_1) | instskip(SKIP_1) | instid1(VALU_DEP_1)
	v_add_co_ci_u32_e64 v28, s5, s13, v28, s5
	v_add_co_u32 v25, s5, v25, 32
	v_add_co_ci_u32_e64 v26, s5, 0, v26, s5
	s_add_i32 s5, s28, 32
	s_cmp_ge_i32 s28, s27
	s_barrier
	buffer_gl0_inv
	s_cbranch_scc1 .LBB51_58
; %bb.57:                               ;   in Loop: Header=BB51_6 Depth=2
	s_mov_b32 s28, s5
	s_branch .LBB51_6
.LBB51_58:                              ;   in Loop: Header=BB51_4 Depth=1
	s_delay_alu instid0(VALU_DEP_1) | instskip(SKIP_3) | instid1(VALU_DEP_2)
	v_mul_lo_u32 v14, v14, s40
	v_mul_lo_u32 v21, v13, s41
	v_mad_u64_u32 v[17:18], null, v13, s40, 0
	v_cmp_gt_i32_e64 s3, s10, v13
	v_add3_u32 v18, v18, v21, v14
	s_delay_alu instid0(VALU_DEP_1) | instskip(NEXT) | instid1(VALU_DEP_1)
	v_lshlrev_b64 v[17:18], 3, v[17:18]
	v_add_co_u32 v14, s4, s15, v17
	s_delay_alu instid0(VALU_DEP_1) | instskip(SKIP_1) | instid1(SALU_CYCLE_1)
	v_add_co_ci_u32_e64 v17, s4, s24, v18, s4
	s_and_b32 s4, s1, s3
	s_and_saveexec_b32 s5, s4
	s_cbranch_execz .LBB51_60
; %bb.59:                               ;   in Loop: Header=BB51_4 Depth=1
	v_add_co_u32 v21, s4, v14, v7
	s_delay_alu instid0(VALU_DEP_1)
	v_add_co_ci_u32_e64 v22, s4, v17, v8, s4
	global_load_b64 v[23:24], v[21:22], off
	s_waitcnt vmcnt(0)
	v_fma_f64 v[23:24], v[31:32], s[34:35], v[23:24]
	global_store_b64 v[21:22], v[23:24], off
.LBB51_60:                              ;   in Loop: Header=BB51_4 Depth=1
	s_or_b32 exec_lo, exec_lo, s5
	s_and_b32 s3, s2, s3
	s_delay_alu instid0(SALU_CYCLE_1)
	s_and_saveexec_b32 s4, s3
	s_cbranch_execz .LBB51_62
; %bb.61:                               ;   in Loop: Header=BB51_4 Depth=1
	v_lshlrev_b64 v[21:22], 3, v[11:12]
	s_delay_alu instid0(VALU_DEP_1) | instskip(NEXT) | instid1(VALU_DEP_1)
	v_add_co_u32 v21, s3, v14, v21
	v_add_co_ci_u32_e64 v22, s3, v17, v22, s3
	global_load_b64 v[17:18], v[21:22], off
	s_waitcnt vmcnt(0)
	v_fma_f64 v[17:18], v[29:30], s[34:35], v[17:18]
	global_store_b64 v[21:22], v[17:18], off
.LBB51_62:                              ;   in Loop: Header=BB51_4 Depth=1
	s_or_b32 exec_lo, exec_lo, s4
	v_add_nc_u32_e32 v17, 16, v13
	s_delay_alu instid0(VALU_DEP_1) | instskip(SKIP_3) | instid1(VALU_DEP_4)
	v_ashrrev_i32_e32 v18, 31, v17
	v_mul_lo_u32 v21, v17, s41
	v_mad_u64_u32 v[13:14], null, v17, s40, 0
	v_cmp_gt_i32_e64 s3, s10, v17
	v_mul_lo_u32 v18, v18, s40
	s_delay_alu instid0(VALU_DEP_1) | instskip(NEXT) | instid1(VALU_DEP_1)
	v_add3_u32 v14, v14, v21, v18
	v_lshlrev_b64 v[13:14], 3, v[13:14]
	s_delay_alu instid0(VALU_DEP_1) | instskip(NEXT) | instid1(VALU_DEP_1)
	v_add_co_u32 v13, s4, s15, v13
	v_add_co_ci_u32_e64 v14, s4, s24, v14, s4
	s_and_b32 s4, s1, s3
	s_delay_alu instid0(SALU_CYCLE_1)
	s_and_saveexec_b32 s5, s4
	s_cbranch_execnz .LBB51_64
; %bb.63:                               ;   in Loop: Header=BB51_4 Depth=1
	s_or_b32 exec_lo, exec_lo, s5
	s_and_b32 s3, s2, s3
	s_delay_alu instid0(SALU_CYCLE_1)
	s_and_saveexec_b32 s4, s3
	s_cbranch_execz .LBB51_3
	s_branch .LBB51_65
.LBB51_64:                              ;   in Loop: Header=BB51_4 Depth=1
	v_add_co_u32 v17, s4, v13, v7
	s_delay_alu instid0(VALU_DEP_1)
	v_add_co_ci_u32_e64 v18, s4, v14, v8, s4
	global_load_b64 v[21:22], v[17:18], off
	s_waitcnt vmcnt(0)
	v_fma_f64 v[19:20], v[19:20], s[34:35], v[21:22]
	global_store_b64 v[17:18], v[19:20], off
	s_or_b32 exec_lo, exec_lo, s5
	s_and_b32 s3, s2, s3
	s_delay_alu instid0(SALU_CYCLE_1)
	s_and_saveexec_b32 s4, s3
	s_cbranch_execz .LBB51_3
.LBB51_65:                              ;   in Loop: Header=BB51_4 Depth=1
	v_lshlrev_b64 v[17:18], 3, v[11:12]
	s_delay_alu instid0(VALU_DEP_1) | instskip(NEXT) | instid1(VALU_DEP_1)
	v_add_co_u32 v13, s3, v13, v17
	v_add_co_ci_u32_e64 v14, s3, v14, v18, s3
	global_load_b64 v[17:18], v[13:14], off
	s_waitcnt vmcnt(0)
	v_fma_f64 v[15:16], v[15:16], s[34:35], v[17:18]
	global_store_b64 v[13:14], v[15:16], off
	s_branch .LBB51_3
.LBB51_66:
	s_nop 0
	s_sendmsg sendmsg(MSG_DEALLOC_VGPRS)
	s_endpgm
	.section	.rodata,"a",@progbits
	.p2align	6, 0x0
	.amdhsa_kernel _ZL30rocblas_trmm_outofplace_kernelIdLi32ELi2ELb0ELb1ELb0ELb0EdKddEv17rocblas_diagonal_iiT6_lPT7_lllS4_lllPT8_llli
		.amdhsa_group_segment_fixed_size 16384
		.amdhsa_private_segment_fixed_size 0
		.amdhsa_kernarg_size 392
		.amdhsa_user_sgpr_count 13
		.amdhsa_user_sgpr_dispatch_ptr 0
		.amdhsa_user_sgpr_queue_ptr 0
		.amdhsa_user_sgpr_kernarg_segment_ptr 1
		.amdhsa_user_sgpr_dispatch_id 0
		.amdhsa_user_sgpr_private_segment_size 0
		.amdhsa_wavefront_size32 1
		.amdhsa_uses_dynamic_stack 0
		.amdhsa_enable_private_segment 0
		.amdhsa_system_sgpr_workgroup_id_x 1
		.amdhsa_system_sgpr_workgroup_id_y 1
		.amdhsa_system_sgpr_workgroup_id_z 1
		.amdhsa_system_sgpr_workgroup_info 0
		.amdhsa_system_vgpr_workitem_id 1
		.amdhsa_next_free_vgpr 62
		.amdhsa_next_free_sgpr 44
		.amdhsa_reserve_vcc 1
		.amdhsa_float_round_mode_32 0
		.amdhsa_float_round_mode_16_64 0
		.amdhsa_float_denorm_mode_32 3
		.amdhsa_float_denorm_mode_16_64 3
		.amdhsa_dx10_clamp 1
		.amdhsa_ieee_mode 1
		.amdhsa_fp16_overflow 0
		.amdhsa_workgroup_processor_mode 1
		.amdhsa_memory_ordered 1
		.amdhsa_forward_progress 0
		.amdhsa_shared_vgpr_count 0
		.amdhsa_exception_fp_ieee_invalid_op 0
		.amdhsa_exception_fp_denorm_src 0
		.amdhsa_exception_fp_ieee_div_zero 0
		.amdhsa_exception_fp_ieee_overflow 0
		.amdhsa_exception_fp_ieee_underflow 0
		.amdhsa_exception_fp_ieee_inexact 0
		.amdhsa_exception_int_div_zero 0
	.end_amdhsa_kernel
	.section	.text._ZL30rocblas_trmm_outofplace_kernelIdLi32ELi2ELb0ELb1ELb0ELb0EdKddEv17rocblas_diagonal_iiT6_lPT7_lllS4_lllPT8_llli,"axG",@progbits,_ZL30rocblas_trmm_outofplace_kernelIdLi32ELi2ELb0ELb1ELb0ELb0EdKddEv17rocblas_diagonal_iiT6_lPT7_lllS4_lllPT8_llli,comdat
.Lfunc_end51:
	.size	_ZL30rocblas_trmm_outofplace_kernelIdLi32ELi2ELb0ELb1ELb0ELb0EdKddEv17rocblas_diagonal_iiT6_lPT7_lllS4_lllPT8_llli, .Lfunc_end51-_ZL30rocblas_trmm_outofplace_kernelIdLi32ELi2ELb0ELb1ELb0ELb0EdKddEv17rocblas_diagonal_iiT6_lPT7_lllS4_lllPT8_llli
                                        ; -- End function
	.section	.AMDGPU.csdata,"",@progbits
; Kernel info:
; codeLenInByte = 2836
; NumSgprs: 46
; NumVgprs: 62
; ScratchSize: 0
; MemoryBound: 1
; FloatMode: 240
; IeeeMode: 1
; LDSByteSize: 16384 bytes/workgroup (compile time only)
; SGPRBlocks: 5
; VGPRBlocks: 7
; NumSGPRsForWavesPerEU: 46
; NumVGPRsForWavesPerEU: 62
; Occupancy: 16
; WaveLimiterHint : 0
; COMPUTE_PGM_RSRC2:SCRATCH_EN: 0
; COMPUTE_PGM_RSRC2:USER_SGPR: 13
; COMPUTE_PGM_RSRC2:TRAP_HANDLER: 0
; COMPUTE_PGM_RSRC2:TGID_X_EN: 1
; COMPUTE_PGM_RSRC2:TGID_Y_EN: 1
; COMPUTE_PGM_RSRC2:TGID_Z_EN: 1
; COMPUTE_PGM_RSRC2:TIDIG_COMP_CNT: 1
	.section	.text._ZL30rocblas_trmm_outofplace_kernelIdLi32ELi2ELb0ELb0ELb1ELb0EPKdS0_dEv17rocblas_diagonal_iiT6_lPT7_lllS5_lllPT8_llli,"axG",@progbits,_ZL30rocblas_trmm_outofplace_kernelIdLi32ELi2ELb0ELb0ELb1ELb0EPKdS0_dEv17rocblas_diagonal_iiT6_lPT7_lllS5_lllPT8_llli,comdat
	.globl	_ZL30rocblas_trmm_outofplace_kernelIdLi32ELi2ELb0ELb0ELb1ELb0EPKdS0_dEv17rocblas_diagonal_iiT6_lPT7_lllS5_lllPT8_llli ; -- Begin function _ZL30rocblas_trmm_outofplace_kernelIdLi32ELi2ELb0ELb0ELb1ELb0EPKdS0_dEv17rocblas_diagonal_iiT6_lPT7_lllS5_lllPT8_llli
	.p2align	8
	.type	_ZL30rocblas_trmm_outofplace_kernelIdLi32ELi2ELb0ELb0ELb1ELb0EPKdS0_dEv17rocblas_diagonal_iiT6_lPT7_lllS5_lllPT8_llli,@function
_ZL30rocblas_trmm_outofplace_kernelIdLi32ELi2ELb0ELb0ELb1ELb0EPKdS0_dEv17rocblas_diagonal_iiT6_lPT7_lllS5_lllPT8_llli: ; @_ZL30rocblas_trmm_outofplace_kernelIdLi32ELi2ELb0ELb0ELb1ELb0EPKdS0_dEv17rocblas_diagonal_iiT6_lPT7_lllS5_lllPT8_llli
; %bb.0:
	s_load_b512 s[16:31], s[0:1], 0x10
	s_waitcnt lgkmcnt(0)
	s_mul_i32 s2, s15, s19
	s_mul_hi_u32 s3, s15, s18
	s_delay_alu instid0(SALU_CYCLE_1) | instskip(SKIP_1) | instid1(SALU_CYCLE_1)
	s_add_i32 s3, s3, s2
	s_mul_i32 s2, s15, s18
	s_lshl_b64 s[2:3], s[2:3], 3
	s_delay_alu instid0(SALU_CYCLE_1) | instskip(SKIP_4) | instid1(VALU_DEP_1)
	s_add_u32 s2, s16, s2
	s_addc_u32 s3, s17, s3
	s_load_b64 s[34:35], s[2:3], 0x0
	s_waitcnt lgkmcnt(0)
	v_cmp_eq_f64_e64 s2, s[34:35], 0
	s_and_b32 vcc_lo, exec_lo, s2
	s_cbranch_vccnz .LBB52_66
; %bb.1:
	s_load_b128 s[16:19], s[0:1], 0x0
	s_waitcnt lgkmcnt(0)
	s_add_i32 s2, s18, -1
	s_delay_alu instid0(SALU_CYCLE_1) | instskip(NEXT) | instid1(SALU_CYCLE_1)
	s_ashr_i32 s3, s2, 31
	s_lshr_b32 s3, s3, 27
	s_delay_alu instid0(SALU_CYCLE_1) | instskip(NEXT) | instid1(SALU_CYCLE_1)
	s_add_i32 s2, s2, s3
	s_ashr_i32 s33, s2, 5
	s_delay_alu instid0(SALU_CYCLE_1)
	s_cmp_gt_i32 s14, s33
	s_cbranch_scc1 .LBB52_66
; %bb.2:
	s_clause 0x1
	s_load_b256 s[4:11], s[0:1], 0x50
	s_load_b128 s[36:39], s[0:1], 0x70
	v_and_b32_e32 v3, 0x3ff, v0
	v_bfe_u32 v1, v0, 10, 10
	s_mul_i32 s3, s15, s27
	s_mul_hi_u32 s12, s15, s26
	s_mul_i32 s2, s15, s26
	v_mad_u64_u32 v[6:7], null, v3, s24, 0
	s_add_i32 s3, s12, s3
	s_load_b32 s26, s[0:1], 0x8c
	s_lshl_b64 s[2:3], s[2:3], 3
	v_lshlrev_b32_e32 v34, 8, v1
	s_add_u32 s2, s20, s2
	s_addc_u32 s3, s21, s3
	s_delay_alu instid0(VALU_DEP_2)
	v_mov_b32_e32 v0, v7
	s_lshl_b64 s[0:1], s[22:23], 3
	v_lshl_add_u32 v12, s13, 5, v3
	s_add_u32 s12, s2, s0
	s_addc_u32 s19, s3, s1
	s_waitcnt lgkmcnt(0)
	v_mad_u64_u32 v[9:10], null, v1, s4, 0
	v_mad_u64_u32 v[4:5], null, v3, s25, v[0:1]
	s_mul_i32 s1, s15, s7
	s_mul_hi_u32 s2, s15, s6
	s_mul_i32 s0, s15, s6
	s_add_i32 s1, s2, s1
	s_delay_alu instid0(VALU_DEP_2) | instskip(NEXT) | instid1(VALU_DEP_2)
	v_dual_mov_b32 v0, v10 :: v_dual_mov_b32 v5, 0
	v_mov_b32_e32 v7, v4
	v_ashrrev_i32_e32 v13, 31, v12
	s_lshl_b64 s[0:1], s[0:1], 3
	s_delay_alu instid0(VALU_DEP_3)
	v_mad_u64_u32 v[10:11], null, v1, s5, v[0:1]
	v_mov_b32_e32 v4, v5
	v_lshlrev_b64 v[14:15], 3, v[6:7]
	s_add_u32 s7, s28, s0
	s_addc_u32 s20, s29, s1
	s_lshl_b64 s[0:1], s[30:31], 3
	v_lshlrev_b64 v[7:8], 3, v[12:13]
	s_mul_i32 s3, s15, s39
	s_mul_hi_u32 s6, s15, s38
	s_add_u32 s7, s7, s0
	s_mul_i32 s2, s15, s38
	s_addc_u32 s20, s20, s1
	s_add_i32 s3, s6, s3
	v_add_co_u32 v0, vcc_lo, s12, v14
	s_lshl_b64 s[0:1], s[2:3], 3
	v_add_co_ci_u32_e32 v33, vcc_lo, s19, v15, vcc_lo
	v_lshlrev_b64 v[9:10], 3, v[9:10]
	v_add_co_u32 v6, vcc_lo, s7, v7
	s_add_u32 s2, s8, s0
	s_addc_u32 s3, s9, s1
	s_lshl_b64 s[0:1], s[10:11], 3
	v_add_co_ci_u32_e32 v11, vcc_lo, s20, v8, vcc_lo
	s_add_u32 s15, s2, s0
	s_addc_u32 s27, s3, s1
	v_add_co_u32 v9, vcc_lo, v6, v9
	s_cmpk_eq_i32 s16, 0x84
	v_lshlrev_b32_e32 v6, 3, v3
	v_add_co_ci_u32_e32 v10, vcc_lo, v11, v10, vcc_lo
	s_cselect_b32 s28, -1, 0
	s_ashr_i32 s0, s17, 31
	v_sub_co_u32 v14, vcc_lo, s17, v12
	v_sub_co_ci_u32_e32 v15, vcc_lo, s0, v13, vcc_lo
	v_or_b32_e32 v36, 0x2000, v6
	v_dual_mov_b32 v2, v5 :: v_dual_add_nc_u32 v11, 16, v12
	v_add_nc_u32_e32 v35, v34, v6
	s_delay_alu instid0(VALU_DEP_4)
	v_cmp_gt_i64_e32 vcc_lo, 1, v[14:15]
	v_cmp_gt_i64_e64 s0, 17, v[14:15]
	v_add_nc_u32_e32 v37, v36, v34
	v_cmp_gt_i32_e64 s1, s17, v12
	v_mov_b32_e32 v6, 0x3ff00000
	v_cmp_gt_i32_e64 s2, s17, v11
	v_ashrrev_i32_e32 v12, 31, v11
	s_ashr_i32 s19, s18, 31
	s_lshl_b64 s[10:11], s[24:25], 8
	s_lshl_b64 s[12:13], s[4:5], 8
	;; [unrolled: 1-line block ×4, first 2 shown]
	s_add_u32 s16, s18, -16
	s_addc_u32 s17, s19, -1
	s_lshl_b64 s[22:23], s[4:5], 4
	s_lshl_b64 s[24:25], s[6:7], 3
	s_branch .LBB52_4
.LBB52_3:                               ;   in Loop: Header=BB52_4 Depth=1
	s_or_b32 exec_lo, exec_lo, s4
	s_add_i32 s14, s26, s14
	s_delay_alu instid0(SALU_CYCLE_1)
	s_cmp_le_i32 s14, s33
	s_cbranch_scc0 .LBB52_66
.LBB52_4:                               ; =>This Loop Header: Depth=1
                                        ;     Child Loop BB52_6 Depth 2
                                        ;       Child Loop BB52_55 Depth 3
	s_lshl_b32 s29, s14, 5
	v_mov_b32_e32 v31, 0
	v_dual_mov_b32 v32, 0 :: v_dual_add_nc_u32 v13, s29, v1
	s_delay_alu instid0(VALU_DEP_2) | instskip(SKIP_1) | instid1(VALU_DEP_3)
	v_mov_b32_e32 v29, v31
	v_mov_b32_e32 v21, v31
	v_dual_mov_b32 v15, v31 :: v_dual_mov_b32 v16, v32
	v_mov_b32_e32 v30, v32
	v_mov_b32_e32 v22, v32
	v_ashrrev_i32_e32 v14, 31, v13
	s_cmp_lt_i32 s14, 0
	s_cbranch_scc1 .LBB52_58
; %bb.5:                                ;   in Loop: Header=BB52_4 Depth=1
	s_delay_alu instid0(VALU_DEP_1) | instskip(SKIP_1) | instid1(VALU_DEP_1)
	v_lshlrev_b64 v[19:20], 3, v[13:14]
	v_add_co_u32 v17, s3, v13, 16
	v_add_co_ci_u32_e64 v18, s3, 0, v14, s3
	v_dual_mov_b32 v15, 0 :: v_dual_mov_b32 v24, v4
	v_dual_mov_b32 v16, 0 :: v_dual_mov_b32 v23, v3
	v_add_co_u32 v19, s3, v0, v19
	s_delay_alu instid0(VALU_DEP_1)
	v_add_co_ci_u32_e64 v20, s3, v33, v20, s3
	v_cmp_le_i64_e64 s4, s[18:19], v[17:18]
	v_cmp_le_i32_e64 s3, s18, v13
	v_dual_mov_b32 v22, v16 :: v_dual_mov_b32 v21, v15
	v_dual_mov_b32 v30, v16 :: v_dual_mov_b32 v29, v15
	;; [unrolled: 1-line block ×5, first 2 shown]
	s_mov_b32 s30, 0
.LBB52_6:                               ;   Parent Loop BB52_4 Depth=1
                                        ; =>  This Loop Header: Depth=2
                                        ;       Child Loop BB52_55 Depth 3
	v_cmp_eq_u64_e64 s7, v[23:24], v[13:14]
	v_cmp_gt_i64_e64 s5, v[23:24], v[13:14]
	v_cmp_le_i64_e64 s6, s[18:19], v[23:24]
	s_delay_alu instid0(VALU_DEP_3) | instskip(NEXT) | instid1(VALU_DEP_2)
	s_and_b32 s38, s28, s7
	s_or_b32 s7, s3, s5
	s_delay_alu instid0(SALU_CYCLE_1)
	s_or_b32 s7, s7, s38
	s_delay_alu instid0(VALU_DEP_1) | instid1(SALU_CYCLE_1)
	s_or_b32 s7, s6, s7
	s_delay_alu instid0(SALU_CYCLE_1) | instskip(NEXT) | instid1(SALU_CYCLE_1)
	s_xor_b32 s7, s7, -1
	s_and_saveexec_b32 s8, s7
	s_delay_alu instid0(SALU_CYCLE_1)
	s_xor_b32 s7, exec_lo, s8
	s_cbranch_execz .LBB52_8
; %bb.7:                                ;   in Loop: Header=BB52_6 Depth=2
	global_load_b64 v[38:39], v[19:20], off
	s_waitcnt vmcnt(0)
	ds_store_b64 v35, v[38:39]
.LBB52_8:                               ;   in Loop: Header=BB52_6 Depth=2
	s_or_saveexec_b32 s7, s7
	s_xor_b32 s31, s38, -1
	s_xor_b32 exec_lo, exec_lo, s7
	s_cbranch_execz .LBB52_14
; %bb.9:                                ;   in Loop: Header=BB52_6 Depth=2
	s_and_saveexec_b32 s8, s31
	s_delay_alu instid0(SALU_CYCLE_1)
	s_xor_b32 s8, exec_lo, s8
	s_cbranch_execz .LBB52_11
; %bb.10:                               ;   in Loop: Header=BB52_6 Depth=2
	v_mov_b32_e32 v38, v5
	v_mov_b32_e32 v39, v5
	ds_store_b64 v35, v[38:39]
.LBB52_11:                              ;   in Loop: Header=BB52_6 Depth=2
	s_and_not1_saveexec_b32 s8, s8
	s_cbranch_execz .LBB52_13
; %bb.12:                               ;   in Loop: Header=BB52_6 Depth=2
	ds_store_b64 v35, v[5:6]
.LBB52_13:                              ;   in Loop: Header=BB52_6 Depth=2
	s_or_b32 exec_lo, exec_lo, s8
.LBB52_14:                              ;   in Loop: Header=BB52_6 Depth=2
	s_delay_alu instid0(SALU_CYCLE_1) | instskip(SKIP_1) | instid1(VALU_DEP_1)
	s_or_b32 exec_lo, exec_lo, s7
	v_add_co_u32 v38, s7, v23, 16
	v_add_co_ci_u32_e64 v39, s7, 0, v24, s7
	s_delay_alu instid0(VALU_DEP_1) | instskip(SKIP_2) | instid1(VALU_DEP_3)
	v_cmp_eq_u64_e64 s8, v[38:39], v[13:14]
	v_cmp_gt_i64_e64 s9, v[38:39], v[13:14]
	v_cmp_le_i64_e64 s7, s[18:19], v[38:39]
	s_and_b32 s39, s28, s8
	s_delay_alu instid0(VALU_DEP_2) | instskip(NEXT) | instid1(SALU_CYCLE_1)
	s_or_b32 s8, s3, s9
	s_or_b32 s8, s8, s39
	s_delay_alu instid0(VALU_DEP_1) | instid1(SALU_CYCLE_1)
	s_or_b32 s8, s7, s8
	s_delay_alu instid0(SALU_CYCLE_1) | instskip(NEXT) | instid1(SALU_CYCLE_1)
	s_xor_b32 s8, s8, -1
	s_and_saveexec_b32 s9, s8
	s_delay_alu instid0(SALU_CYCLE_1)
	s_xor_b32 s9, exec_lo, s9
	s_cbranch_execz .LBB52_16
; %bb.15:                               ;   in Loop: Header=BB52_6 Depth=2
	v_add_co_u32 v38, s8, v19, s20
	s_delay_alu instid0(VALU_DEP_1)
	v_add_co_ci_u32_e64 v39, s8, s21, v20, s8
	global_load_b64 v[38:39], v[38:39], off
	s_waitcnt vmcnt(0)
	ds_store_b64 v35, v[38:39] offset:128
.LBB52_16:                              ;   in Loop: Header=BB52_6 Depth=2
	s_and_not1_saveexec_b32 s8, s9
	s_cbranch_execz .LBB52_22
; %bb.17:                               ;   in Loop: Header=BB52_6 Depth=2
	s_xor_b32 s9, s39, -1
	s_delay_alu instid0(SALU_CYCLE_1) | instskip(NEXT) | instid1(SALU_CYCLE_1)
	s_and_saveexec_b32 s39, s9
	s_xor_b32 s9, exec_lo, s39
	s_cbranch_execz .LBB52_19
; %bb.18:                               ;   in Loop: Header=BB52_6 Depth=2
	v_mov_b32_e32 v38, v5
	v_mov_b32_e32 v39, v5
	ds_store_b64 v35, v[38:39] offset:128
.LBB52_19:                              ;   in Loop: Header=BB52_6 Depth=2
	s_and_not1_saveexec_b32 s9, s9
	s_cbranch_execz .LBB52_21
; %bb.20:                               ;   in Loop: Header=BB52_6 Depth=2
	ds_store_b64 v35, v[5:6] offset:128
.LBB52_21:                              ;   in Loop: Header=BB52_6 Depth=2
	s_or_b32 exec_lo, exec_lo, s9
.LBB52_22:                              ;   in Loop: Header=BB52_6 Depth=2
	s_delay_alu instid0(SALU_CYCLE_1) | instskip(SKIP_2) | instid1(VALU_DEP_2)
	s_or_b32 exec_lo, exec_lo, s8
	v_cmp_eq_u64_e64 s8, v[23:24], v[17:18]
	v_cmp_gt_i64_e64 s9, v[23:24], v[17:18]
	s_and_b32 s8, s28, s8
	s_delay_alu instid0(VALU_DEP_1) | instskip(NEXT) | instid1(SALU_CYCLE_1)
	s_or_b32 s9, s4, s9
	s_or_b32 s9, s9, s8
	s_delay_alu instid0(SALU_CYCLE_1) | instskip(NEXT) | instid1(SALU_CYCLE_1)
	s_or_b32 s6, s6, s9
	s_xor_b32 s6, s6, -1
	s_delay_alu instid0(SALU_CYCLE_1) | instskip(NEXT) | instid1(SALU_CYCLE_1)
	s_and_saveexec_b32 s9, s6
	s_xor_b32 s6, exec_lo, s9
	s_cbranch_execz .LBB52_24
; %bb.23:                               ;   in Loop: Header=BB52_6 Depth=2
	global_load_b64 v[38:39], v[19:20], off offset:128
	s_waitcnt vmcnt(0)
	ds_store_b64 v35, v[38:39] offset:4096
.LBB52_24:                              ;   in Loop: Header=BB52_6 Depth=2
	s_and_not1_saveexec_b32 s6, s6
	s_cbranch_execz .LBB52_30
; %bb.25:                               ;   in Loop: Header=BB52_6 Depth=2
	s_xor_b32 s8, s8, -1
	s_delay_alu instid0(SALU_CYCLE_1) | instskip(NEXT) | instid1(SALU_CYCLE_1)
	s_and_saveexec_b32 s9, s8
	s_xor_b32 s8, exec_lo, s9
	s_cbranch_execz .LBB52_27
; %bb.26:                               ;   in Loop: Header=BB52_6 Depth=2
	v_mov_b32_e32 v38, v5
	v_mov_b32_e32 v39, v5
	ds_store_b64 v35, v[38:39] offset:4096
.LBB52_27:                              ;   in Loop: Header=BB52_6 Depth=2
	s_and_not1_saveexec_b32 s8, s8
	s_cbranch_execz .LBB52_29
; %bb.28:                               ;   in Loop: Header=BB52_6 Depth=2
	ds_store_b64 v35, v[5:6] offset:4096
.LBB52_29:                              ;   in Loop: Header=BB52_6 Depth=2
	s_or_b32 exec_lo, exec_lo, s8
.LBB52_30:                              ;   in Loop: Header=BB52_6 Depth=2
	s_delay_alu instid0(SALU_CYCLE_1) | instskip(SKIP_1) | instid1(SALU_CYCLE_1)
	s_or_b32 exec_lo, exec_lo, s6
	s_or_b32 s5, s4, s5
	s_or_b32 s5, s5, s38
	s_delay_alu instid0(SALU_CYCLE_1) | instskip(NEXT) | instid1(SALU_CYCLE_1)
	s_or_b32 s5, s7, s5
	s_xor_b32 s5, s5, -1
	s_delay_alu instid0(SALU_CYCLE_1) | instskip(NEXT) | instid1(SALU_CYCLE_1)
	s_and_saveexec_b32 s6, s5
	s_xor_b32 s6, exec_lo, s6
	s_cbranch_execz .LBB52_32
; %bb.31:                               ;   in Loop: Header=BB52_6 Depth=2
	v_add_co_u32 v38, s5, v19, s24
	s_delay_alu instid0(VALU_DEP_1)
	v_add_co_ci_u32_e64 v39, s5, s25, v20, s5
	global_load_b64 v[38:39], v[38:39], off offset:128
	s_waitcnt vmcnt(0)
	ds_store_b64 v35, v[38:39] offset:4224
.LBB52_32:                              ;   in Loop: Header=BB52_6 Depth=2
	s_and_not1_saveexec_b32 s5, s6
	s_cbranch_execz .LBB52_38
; %bb.33:                               ;   in Loop: Header=BB52_6 Depth=2
	s_and_saveexec_b32 s6, s31
	s_delay_alu instid0(SALU_CYCLE_1)
	s_xor_b32 s6, exec_lo, s6
	s_cbranch_execz .LBB52_35
; %bb.34:                               ;   in Loop: Header=BB52_6 Depth=2
	v_mov_b32_e32 v38, v5
	v_mov_b32_e32 v39, v5
	ds_store_b64 v35, v[38:39] offset:4224
.LBB52_35:                              ;   in Loop: Header=BB52_6 Depth=2
	s_and_not1_saveexec_b32 s6, s6
	s_cbranch_execz .LBB52_37
; %bb.36:                               ;   in Loop: Header=BB52_6 Depth=2
	ds_store_b64 v35, v[5:6] offset:4224
.LBB52_37:                              ;   in Loop: Header=BB52_6 Depth=2
	s_or_b32 exec_lo, exec_lo, s6
.LBB52_38:                              ;   in Loop: Header=BB52_6 Depth=2
	s_delay_alu instid0(SALU_CYCLE_1) | instskip(SKIP_1) | instid1(VALU_DEP_1)
	s_or_b32 exec_lo, exec_lo, s5
	v_cmp_le_i64_e64 s5, s[18:19], v[25:26]
	s_or_b32 s6, s5, vcc_lo
	s_delay_alu instid0(SALU_CYCLE_1) | instskip(NEXT) | instid1(SALU_CYCLE_1)
	s_xor_b32 s6, s6, -1
	s_and_saveexec_b32 s7, s6
	s_delay_alu instid0(SALU_CYCLE_1)
	s_xor_b32 s6, exec_lo, s7
	s_cbranch_execz .LBB52_40
; %bb.39:                               ;   in Loop: Header=BB52_6 Depth=2
	global_load_b64 v[38:39], v[27:28], off
	s_waitcnt vmcnt(0)
	ds_store_b64 v37, v[38:39]
.LBB52_40:                              ;   in Loop: Header=BB52_6 Depth=2
	s_and_not1_saveexec_b32 s6, s6
	s_cbranch_execz .LBB52_42
; %bb.41:                               ;   in Loop: Header=BB52_6 Depth=2
	v_mov_b32_e32 v38, v5
	v_mov_b32_e32 v39, v5
	ds_store_b64 v37, v[38:39]
.LBB52_42:                              ;   in Loop: Header=BB52_6 Depth=2
	s_or_b32 exec_lo, exec_lo, s6
	s_or_b32 s5, s5, s0
	s_delay_alu instid0(SALU_CYCLE_1) | instskip(NEXT) | instid1(SALU_CYCLE_1)
	s_xor_b32 s5, s5, -1
	s_and_saveexec_b32 s6, s5
	s_delay_alu instid0(SALU_CYCLE_1)
	s_xor_b32 s5, exec_lo, s6
	s_cbranch_execz .LBB52_44
; %bb.43:                               ;   in Loop: Header=BB52_6 Depth=2
	global_load_b64 v[38:39], v[27:28], off offset:128
	s_waitcnt vmcnt(0)
	ds_store_b64 v37, v[38:39] offset:128
.LBB52_44:                              ;   in Loop: Header=BB52_6 Depth=2
	s_and_not1_saveexec_b32 s5, s5
	s_cbranch_execz .LBB52_46
; %bb.45:                               ;   in Loop: Header=BB52_6 Depth=2
	v_mov_b32_e32 v38, v5
	v_mov_b32_e32 v39, v5
	ds_store_b64 v37, v[38:39] offset:128
.LBB52_46:                              ;   in Loop: Header=BB52_6 Depth=2
	s_or_b32 exec_lo, exec_lo, s5
	v_cmp_le_i64_e64 s5, s[16:17], v[25:26]
	s_delay_alu instid0(VALU_DEP_1) | instskip(NEXT) | instid1(SALU_CYCLE_1)
	s_or_b32 s6, s5, vcc_lo
	s_xor_b32 s6, s6, -1
	s_delay_alu instid0(SALU_CYCLE_1) | instskip(NEXT) | instid1(SALU_CYCLE_1)
	s_and_saveexec_b32 s7, s6
	s_xor_b32 s7, exec_lo, s7
	s_cbranch_execz .LBB52_48
; %bb.47:                               ;   in Loop: Header=BB52_6 Depth=2
	s_lshl_b64 s[8:9], s[22:23], 3
	s_delay_alu instid0(SALU_CYCLE_1) | instskip(NEXT) | instid1(VALU_DEP_1)
	v_add_co_u32 v38, s6, v27, s8
	v_add_co_ci_u32_e64 v39, s6, s9, v28, s6
	global_load_b64 v[38:39], v[38:39], off
	s_waitcnt vmcnt(0)
	ds_store_b64 v37, v[38:39] offset:4096
.LBB52_48:                              ;   in Loop: Header=BB52_6 Depth=2
	s_and_not1_saveexec_b32 s6, s7
	s_cbranch_execz .LBB52_50
; %bb.49:                               ;   in Loop: Header=BB52_6 Depth=2
	v_mov_b32_e32 v38, v5
	v_mov_b32_e32 v39, v5
	ds_store_b64 v37, v[38:39] offset:4096
.LBB52_50:                              ;   in Loop: Header=BB52_6 Depth=2
	s_or_b32 exec_lo, exec_lo, s6
	s_or_b32 s5, s5, s0
	s_delay_alu instid0(SALU_CYCLE_1) | instskip(NEXT) | instid1(SALU_CYCLE_1)
	s_xor_b32 s5, s5, -1
	s_and_saveexec_b32 s6, s5
	s_delay_alu instid0(SALU_CYCLE_1)
	s_xor_b32 s6, exec_lo, s6
	s_cbranch_execz .LBB52_52
; %bb.51:                               ;   in Loop: Header=BB52_6 Depth=2
	s_lshl_b64 s[8:9], s[22:23], 3
	s_delay_alu instid0(SALU_CYCLE_1) | instskip(NEXT) | instid1(VALU_DEP_1)
	v_add_co_u32 v38, s5, v27, s8
	v_add_co_ci_u32_e64 v39, s5, s9, v28, s5
	global_load_b64 v[38:39], v[38:39], off offset:128
	s_waitcnt vmcnt(0)
	ds_store_b64 v37, v[38:39] offset:4224
.LBB52_52:                              ;   in Loop: Header=BB52_6 Depth=2
	s_and_not1_saveexec_b32 s5, s6
	s_cbranch_execz .LBB52_54
; %bb.53:                               ;   in Loop: Header=BB52_6 Depth=2
	v_mov_b32_e32 v38, v5
	v_mov_b32_e32 v39, v5
	ds_store_b64 v37, v[38:39] offset:4224
.LBB52_54:                              ;   in Loop: Header=BB52_6 Depth=2
	s_or_b32 exec_lo, exec_lo, s5
	v_mov_b32_e32 v38, v36
	s_mov_b32 s5, 0
	s_waitcnt lgkmcnt(0)
	s_waitcnt_vscnt null, 0x0
	s_barrier
	buffer_gl0_inv
.LBB52_55:                              ;   Parent Loop BB52_4 Depth=1
                                        ;     Parent Loop BB52_6 Depth=2
                                        ; =>    This Inner Loop Header: Depth=3
	v_add_nc_u32_e32 v61, s5, v34
	s_add_i32 s5, s5, 64
	ds_load_2addr_b64 v[39:42], v38 offset1:16
	ds_load_b128 v[43:46], v61
	ds_load_b128 v[47:50], v61 offset:4096
	ds_load_b128 v[51:54], v61 offset:16
	;; [unrolled: 1-line block ×3, first 2 shown]
	s_cmpk_lg_i32 s5, 0x100
	s_waitcnt lgkmcnt(3)
	v_fma_f64 v[59:60], v[39:40], v[43:44], v[31:32]
	v_fma_f64 v[43:44], v[41:42], v[43:44], v[29:30]
	s_waitcnt lgkmcnt(2)
	v_fma_f64 v[21:22], v[39:40], v[47:48], v[21:22]
	v_fma_f64 v[15:16], v[41:42], v[47:48], v[15:16]
	ds_load_2addr_b64 v[29:32], v38 offset0:32 offset1:48
	s_waitcnt lgkmcnt(0)
	v_fma_f64 v[39:40], v[29:30], v[45:46], v[59:60]
	v_fma_f64 v[41:42], v[31:32], v[45:46], v[43:44]
	v_fma_f64 v[21:22], v[29:30], v[49:50], v[21:22]
	v_fma_f64 v[15:16], v[31:32], v[49:50], v[15:16]
	ds_load_2addr_b64 v[29:32], v38 offset0:64 offset1:80
	s_waitcnt lgkmcnt(0)
	v_fma_f64 v[39:40], v[29:30], v[51:52], v[39:40]
	v_fma_f64 v[41:42], v[31:32], v[51:52], v[41:42]
	;; [unrolled: 6-line block ×3, first 2 shown]
	v_fma_f64 v[21:22], v[29:30], v[57:58], v[21:22]
	v_fma_f64 v[15:16], v[31:32], v[57:58], v[15:16]
	ds_load_2addr_b64 v[29:32], v38 offset0:128 offset1:144
	ds_load_b128 v[39:42], v61 offset:32
	ds_load_b128 v[43:46], v61 offset:4128
	;; [unrolled: 1-line block ×4, first 2 shown]
	s_waitcnt lgkmcnt(3)
	v_fma_f64 v[55:56], v[29:30], v[39:40], v[55:56]
	v_fma_f64 v[39:40], v[31:32], v[39:40], v[59:60]
	s_waitcnt lgkmcnt(2)
	v_fma_f64 v[21:22], v[29:30], v[43:44], v[21:22]
	v_fma_f64 v[15:16], v[31:32], v[43:44], v[15:16]
	ds_load_2addr_b64 v[29:32], v38 offset0:160 offset1:176
	s_waitcnt lgkmcnt(0)
	v_fma_f64 v[43:44], v[29:30], v[41:42], v[55:56]
	v_fma_f64 v[39:40], v[31:32], v[41:42], v[39:40]
	;; [unrolled: 1-line block ×4, first 2 shown]
	ds_load_2addr_b64 v[29:32], v38 offset0:192 offset1:208
	s_waitcnt lgkmcnt(0)
	v_fma_f64 v[43:44], v[29:30], v[47:48], v[43:44]
	v_fma_f64 v[45:46], v[31:32], v[47:48], v[39:40]
	;; [unrolled: 1-line block ×4, first 2 shown]
	ds_load_2addr_b64 v[39:42], v38 offset0:224 offset1:240
	v_add_nc_u32_e32 v38, 0x800, v38
	s_waitcnt lgkmcnt(0)
	v_fma_f64 v[31:32], v[39:40], v[49:50], v[43:44]
	v_fma_f64 v[29:30], v[41:42], v[49:50], v[45:46]
	;; [unrolled: 1-line block ×4, first 2 shown]
	s_cbranch_scc1 .LBB52_55
; %bb.56:                               ;   in Loop: Header=BB52_6 Depth=2
	v_add_co_u32 v19, s5, v19, s10
	s_delay_alu instid0(VALU_DEP_1) | instskip(SKIP_1) | instid1(VALU_DEP_1)
	v_add_co_ci_u32_e64 v20, s5, s11, v20, s5
	v_add_co_u32 v23, s5, v23, 32
	v_add_co_ci_u32_e64 v24, s5, 0, v24, s5
	v_add_co_u32 v27, s5, v27, s12
	s_delay_alu instid0(VALU_DEP_1) | instskip(SKIP_1) | instid1(VALU_DEP_1)
	v_add_co_ci_u32_e64 v28, s5, s13, v28, s5
	v_add_co_u32 v25, s5, v25, 32
	v_add_co_ci_u32_e64 v26, s5, 0, v26, s5
	s_add_i32 s5, s30, 32
	s_cmp_ge_i32 s30, s29
	s_barrier
	buffer_gl0_inv
	s_cbranch_scc1 .LBB52_58
; %bb.57:                               ;   in Loop: Header=BB52_6 Depth=2
	s_mov_b32 s30, s5
	s_branch .LBB52_6
.LBB52_58:                              ;   in Loop: Header=BB52_4 Depth=1
	s_delay_alu instid0(VALU_DEP_1) | instskip(SKIP_3) | instid1(VALU_DEP_2)
	v_mul_lo_u32 v14, v14, s36
	v_mul_lo_u32 v19, v13, s37
	v_mad_u64_u32 v[17:18], null, v13, s36, 0
	v_cmp_gt_i32_e64 s3, s18, v13
	v_add3_u32 v18, v18, v19, v14
	s_delay_alu instid0(VALU_DEP_1) | instskip(NEXT) | instid1(VALU_DEP_1)
	v_lshlrev_b64 v[17:18], 3, v[17:18]
	v_add_co_u32 v14, s4, s15, v17
	s_delay_alu instid0(VALU_DEP_1) | instskip(SKIP_1) | instid1(SALU_CYCLE_1)
	v_add_co_ci_u32_e64 v17, s4, s27, v18, s4
	s_and_b32 s4, s1, s3
	s_and_saveexec_b32 s5, s4
	s_cbranch_execz .LBB52_60
; %bb.59:                               ;   in Loop: Header=BB52_4 Depth=1
	v_add_co_u32 v18, s4, v14, v7
	s_delay_alu instid0(VALU_DEP_1)
	v_add_co_ci_u32_e64 v19, s4, v17, v8, s4
	global_load_b64 v[23:24], v[18:19], off
	s_waitcnt vmcnt(0)
	v_fma_f64 v[23:24], s[34:35], v[31:32], v[23:24]
	global_store_b64 v[18:19], v[23:24], off
.LBB52_60:                              ;   in Loop: Header=BB52_4 Depth=1
	s_or_b32 exec_lo, exec_lo, s5
	s_and_b32 s3, s2, s3
	s_delay_alu instid0(SALU_CYCLE_1)
	s_and_saveexec_b32 s4, s3
	s_cbranch_execz .LBB52_62
; %bb.61:                               ;   in Loop: Header=BB52_4 Depth=1
	v_lshlrev_b64 v[18:19], 3, v[11:12]
	s_delay_alu instid0(VALU_DEP_1) | instskip(NEXT) | instid1(VALU_DEP_1)
	v_add_co_u32 v18, s3, v14, v18
	v_add_co_ci_u32_e64 v19, s3, v17, v19, s3
	global_load_b64 v[23:24], v[18:19], off
	s_waitcnt vmcnt(0)
	v_fma_f64 v[23:24], s[34:35], v[29:30], v[23:24]
	global_store_b64 v[18:19], v[23:24], off
.LBB52_62:                              ;   in Loop: Header=BB52_4 Depth=1
	s_or_b32 exec_lo, exec_lo, s4
	v_add_nc_u32_e32 v17, 16, v13
	s_delay_alu instid0(VALU_DEP_1) | instskip(SKIP_3) | instid1(VALU_DEP_4)
	v_ashrrev_i32_e32 v18, 31, v17
	v_mul_lo_u32 v19, v17, s37
	v_mad_u64_u32 v[13:14], null, v17, s36, 0
	v_cmp_gt_i32_e64 s3, s18, v17
	v_mul_lo_u32 v18, v18, s36
	s_delay_alu instid0(VALU_DEP_1) | instskip(NEXT) | instid1(VALU_DEP_1)
	v_add3_u32 v14, v14, v19, v18
	v_lshlrev_b64 v[13:14], 3, v[13:14]
	s_delay_alu instid0(VALU_DEP_1) | instskip(NEXT) | instid1(VALU_DEP_1)
	v_add_co_u32 v13, s4, s15, v13
	v_add_co_ci_u32_e64 v14, s4, s27, v14, s4
	s_and_b32 s4, s1, s3
	s_delay_alu instid0(SALU_CYCLE_1)
	s_and_saveexec_b32 s5, s4
	s_cbranch_execnz .LBB52_64
; %bb.63:                               ;   in Loop: Header=BB52_4 Depth=1
	s_or_b32 exec_lo, exec_lo, s5
	s_and_b32 s3, s2, s3
	s_delay_alu instid0(SALU_CYCLE_1)
	s_and_saveexec_b32 s4, s3
	s_cbranch_execz .LBB52_3
	s_branch .LBB52_65
.LBB52_64:                              ;   in Loop: Header=BB52_4 Depth=1
	v_add_co_u32 v17, s4, v13, v7
	s_delay_alu instid0(VALU_DEP_1)
	v_add_co_ci_u32_e64 v18, s4, v14, v8, s4
	global_load_b64 v[19:20], v[17:18], off
	s_waitcnt vmcnt(0)
	v_fma_f64 v[19:20], s[34:35], v[21:22], v[19:20]
	global_store_b64 v[17:18], v[19:20], off
	s_or_b32 exec_lo, exec_lo, s5
	s_and_b32 s3, s2, s3
	s_delay_alu instid0(SALU_CYCLE_1)
	s_and_saveexec_b32 s4, s3
	s_cbranch_execz .LBB52_3
.LBB52_65:                              ;   in Loop: Header=BB52_4 Depth=1
	v_lshlrev_b64 v[17:18], 3, v[11:12]
	s_delay_alu instid0(VALU_DEP_1) | instskip(NEXT) | instid1(VALU_DEP_1)
	v_add_co_u32 v13, s3, v13, v17
	v_add_co_ci_u32_e64 v14, s3, v14, v18, s3
	global_load_b64 v[17:18], v[13:14], off
	s_waitcnt vmcnt(0)
	v_fma_f64 v[15:16], s[34:35], v[15:16], v[17:18]
	global_store_b64 v[13:14], v[15:16], off
	s_branch .LBB52_3
.LBB52_66:
	s_nop 0
	s_sendmsg sendmsg(MSG_DEALLOC_VGPRS)
	s_endpgm
	.section	.rodata,"a",@progbits
	.p2align	6, 0x0
	.amdhsa_kernel _ZL30rocblas_trmm_outofplace_kernelIdLi32ELi2ELb0ELb0ELb1ELb0EPKdS0_dEv17rocblas_diagonal_iiT6_lPT7_lllS5_lllPT8_llli
		.amdhsa_group_segment_fixed_size 16384
		.amdhsa_private_segment_fixed_size 0
		.amdhsa_kernarg_size 392
		.amdhsa_user_sgpr_count 13
		.amdhsa_user_sgpr_dispatch_ptr 0
		.amdhsa_user_sgpr_queue_ptr 0
		.amdhsa_user_sgpr_kernarg_segment_ptr 1
		.amdhsa_user_sgpr_dispatch_id 0
		.amdhsa_user_sgpr_private_segment_size 0
		.amdhsa_wavefront_size32 1
		.amdhsa_uses_dynamic_stack 0
		.amdhsa_enable_private_segment 0
		.amdhsa_system_sgpr_workgroup_id_x 1
		.amdhsa_system_sgpr_workgroup_id_y 1
		.amdhsa_system_sgpr_workgroup_id_z 1
		.amdhsa_system_sgpr_workgroup_info 0
		.amdhsa_system_vgpr_workitem_id 1
		.amdhsa_next_free_vgpr 62
		.amdhsa_next_free_sgpr 40
		.amdhsa_reserve_vcc 1
		.amdhsa_float_round_mode_32 0
		.amdhsa_float_round_mode_16_64 0
		.amdhsa_float_denorm_mode_32 3
		.amdhsa_float_denorm_mode_16_64 3
		.amdhsa_dx10_clamp 1
		.amdhsa_ieee_mode 1
		.amdhsa_fp16_overflow 0
		.amdhsa_workgroup_processor_mode 1
		.amdhsa_memory_ordered 1
		.amdhsa_forward_progress 0
		.amdhsa_shared_vgpr_count 0
		.amdhsa_exception_fp_ieee_invalid_op 0
		.amdhsa_exception_fp_denorm_src 0
		.amdhsa_exception_fp_ieee_div_zero 0
		.amdhsa_exception_fp_ieee_overflow 0
		.amdhsa_exception_fp_ieee_underflow 0
		.amdhsa_exception_fp_ieee_inexact 0
		.amdhsa_exception_int_div_zero 0
	.end_amdhsa_kernel
	.section	.text._ZL30rocblas_trmm_outofplace_kernelIdLi32ELi2ELb0ELb0ELb1ELb0EPKdS0_dEv17rocblas_diagonal_iiT6_lPT7_lllS5_lllPT8_llli,"axG",@progbits,_ZL30rocblas_trmm_outofplace_kernelIdLi32ELi2ELb0ELb0ELb1ELb0EPKdS0_dEv17rocblas_diagonal_iiT6_lPT7_lllS5_lllPT8_llli,comdat
.Lfunc_end52:
	.size	_ZL30rocblas_trmm_outofplace_kernelIdLi32ELi2ELb0ELb0ELb1ELb0EPKdS0_dEv17rocblas_diagonal_iiT6_lPT7_lllS5_lllPT8_llli, .Lfunc_end52-_ZL30rocblas_trmm_outofplace_kernelIdLi32ELi2ELb0ELb0ELb1ELb0EPKdS0_dEv17rocblas_diagonal_iiT6_lPT7_lllS5_lllPT8_llli
                                        ; -- End function
	.section	.AMDGPU.csdata,"",@progbits
; Kernel info:
; codeLenInByte = 2872
; NumSgprs: 42
; NumVgprs: 62
; ScratchSize: 0
; MemoryBound: 1
; FloatMode: 240
; IeeeMode: 1
; LDSByteSize: 16384 bytes/workgroup (compile time only)
; SGPRBlocks: 5
; VGPRBlocks: 7
; NumSGPRsForWavesPerEU: 42
; NumVGPRsForWavesPerEU: 62
; Occupancy: 16
; WaveLimiterHint : 0
; COMPUTE_PGM_RSRC2:SCRATCH_EN: 0
; COMPUTE_PGM_RSRC2:USER_SGPR: 13
; COMPUTE_PGM_RSRC2:TRAP_HANDLER: 0
; COMPUTE_PGM_RSRC2:TGID_X_EN: 1
; COMPUTE_PGM_RSRC2:TGID_Y_EN: 1
; COMPUTE_PGM_RSRC2:TGID_Z_EN: 1
; COMPUTE_PGM_RSRC2:TIDIG_COMP_CNT: 1
	.section	.text._ZL30rocblas_trmm_outofplace_kernelIdLi32ELi2ELb0ELb0ELb1ELb0EdKddEv17rocblas_diagonal_iiT6_lPT7_lllS4_lllPT8_llli,"axG",@progbits,_ZL30rocblas_trmm_outofplace_kernelIdLi32ELi2ELb0ELb0ELb1ELb0EdKddEv17rocblas_diagonal_iiT6_lPT7_lllS4_lllPT8_llli,comdat
	.globl	_ZL30rocblas_trmm_outofplace_kernelIdLi32ELi2ELb0ELb0ELb1ELb0EdKddEv17rocblas_diagonal_iiT6_lPT7_lllS4_lllPT8_llli ; -- Begin function _ZL30rocblas_trmm_outofplace_kernelIdLi32ELi2ELb0ELb0ELb1ELb0EdKddEv17rocblas_diagonal_iiT6_lPT7_lllS4_lllPT8_llli
	.p2align	8
	.type	_ZL30rocblas_trmm_outofplace_kernelIdLi32ELi2ELb0ELb0ELb1ELb0EdKddEv17rocblas_diagonal_iiT6_lPT7_lllS4_lllPT8_llli,@function
_ZL30rocblas_trmm_outofplace_kernelIdLi32ELi2ELb0ELb0ELb1ELb0EdKddEv17rocblas_diagonal_iiT6_lPT7_lllS4_lllPT8_llli: ; @_ZL30rocblas_trmm_outofplace_kernelIdLi32ELi2ELb0ELb0ELb1ELb0EdKddEv17rocblas_diagonal_iiT6_lPT7_lllS4_lllPT8_llli
; %bb.0:
	s_load_b64 s[34:35], s[0:1], 0x10
	s_waitcnt lgkmcnt(0)
	v_cmp_eq_f64_e64 s2, s[34:35], 0
	s_delay_alu instid0(VALU_DEP_1)
	s_and_b32 vcc_lo, exec_lo, s2
	s_cbranch_vccnz .LBB53_66
; %bb.1:
	s_load_b128 s[8:11], s[0:1], 0x0
	s_waitcnt lgkmcnt(0)
	s_add_i32 s2, s10, -1
	s_delay_alu instid0(SALU_CYCLE_1) | instskip(NEXT) | instid1(SALU_CYCLE_1)
	s_ashr_i32 s3, s2, 31
	s_lshr_b32 s3, s3, 27
	s_delay_alu instid0(SALU_CYCLE_1) | instskip(NEXT) | instid1(SALU_CYCLE_1)
	s_add_i32 s2, s2, s3
	s_ashr_i32 s33, s2, 5
	s_delay_alu instid0(SALU_CYCLE_1)
	s_cmp_gt_i32 s14, s33
	s_cbranch_scc1 .LBB53_66
; %bb.2:
	s_clause 0x1
	s_load_b512 s[16:31], s[0:1], 0x20
	s_load_b256 s[36:43], s[0:1], 0x60
	v_and_b32_e32 v1, 0x3ff, v0
	v_bfe_u32 v3, v0, 10, 10
	s_delay_alu instid0(VALU_DEP_1) | instskip(SKIP_1) | instid1(VALU_DEP_3)
	v_lshlrev_b32_e32 v34, 8, v3
	s_waitcnt lgkmcnt(0)
	v_mad_u64_u32 v[6:7], null, v1, s20, 0
	v_mad_u64_u32 v[9:10], null, v3, s28, 0
	s_mul_i32 s3, s15, s23
	s_mul_hi_u32 s5, s15, s22
	s_mul_i32 s2, s15, s22
	s_add_i32 s3, s5, s3
	s_delay_alu instid0(VALU_DEP_2)
	v_mov_b32_e32 v0, v7
	s_lshl_b64 s[2:3], s[2:3], 3
	v_lshl_add_u32 v12, s13, 5, v1
	s_add_u32 s5, s16, s2
	v_mov_b32_e32 v5, 0
	v_mad_u64_u32 v[7:8], null, v1, s21, v[0:1]
	v_mov_b32_e32 v0, v10
	s_addc_u32 s13, s17, s3
	s_lshl_b64 s[2:3], s[18:19], 3
	s_mul_i32 s6, s15, s31
	s_mul_hi_u32 s7, s15, s30
	s_add_u32 s16, s5, s2
	s_mul_i32 s4, s15, s30
	s_addc_u32 s13, s13, s3
	s_add_i32 s5, s7, s6
	v_ashrrev_i32_e32 v13, 31, v12
	s_lshl_b64 s[2:3], s[4:5], 3
	v_mad_u64_u32 v[10:11], null, v3, s29, v[0:1]
	v_lshlrev_b64 v[14:15], 3, v[6:7]
	s_add_u32 s5, s24, s2
	s_addc_u32 s6, s25, s3
	s_lshl_b64 s[2:3], s[26:27], 3
	v_lshlrev_b64 v[7:8], 3, v[12:13]
	s_mul_i32 s11, s15, s43
	s_mul_hi_u32 s12, s15, s42
	s_add_u32 s7, s5, s2
	s_mul_i32 s4, s15, s42
	s_addc_u32 s6, s6, s3
	s_add_i32 s5, s12, s11
	v_add_co_u32 v0, vcc_lo, s16, v14
	s_lshl_b64 s[2:3], s[4:5], 3
	v_add_co_ci_u32_e32 v33, vcc_lo, s13, v15, vcc_lo
	v_lshlrev_b64 v[9:10], 3, v[9:10]
	v_add_co_u32 v6, vcc_lo, s7, v7
	s_add_u32 s4, s36, s2
	s_load_b32 s30, s[0:1], 0x8c
	s_addc_u32 s5, s37, s3
	s_lshl_b64 s[2:3], s[38:39], 3
	v_add_co_ci_u32_e32 v11, vcc_lo, s6, v8, vcc_lo
	s_add_u32 s15, s4, s2
	s_addc_u32 s26, s5, s3
	v_add_co_u32 v9, vcc_lo, v6, v9
	s_cmpk_eq_i32 s8, 0x84
	v_lshlrev_b32_e32 v6, 3, v1
	v_add_co_ci_u32_e32 v10, vcc_lo, v11, v10, vcc_lo
	s_cselect_b32 s27, -1, 0
	s_ashr_i32 s2, s9, 31
	v_sub_co_u32 v14, vcc_lo, s9, v12
	v_sub_co_ci_u32_e32 v15, vcc_lo, s2, v13, vcc_lo
	v_dual_mov_b32 v4, v5 :: v_dual_add_nc_u32 v11, 16, v12
	v_or_b32_e32 v36, 0x2000, v6
	s_delay_alu instid0(VALU_DEP_3) | instskip(SKIP_2) | instid1(VALU_DEP_4)
	v_cmp_gt_i64_e32 vcc_lo, 1, v[14:15]
	v_cmp_gt_i64_e64 s0, 17, v[14:15]
	v_dual_mov_b32 v2, v5 :: v_dual_add_nc_u32 v35, v34, v6
	v_dual_mov_b32 v6, 0x3ff00000 :: v_dual_add_nc_u32 v37, v36, v34
	v_cmp_gt_i32_e64 s1, s9, v12
	v_cmp_gt_i32_e64 s2, s9, v11
	v_ashrrev_i32_e32 v12, 31, v11
	s_ashr_i32 s11, s10, 31
	s_lshl_b64 s[12:13], s[20:21], 8
	s_lshl_b64 s[16:17], s[28:29], 8
	;; [unrolled: 1-line block ×4, first 2 shown]
	s_add_u32 s20, s10, -16
	s_addc_u32 s21, s11, -1
	s_lshl_b64 s[22:23], s[28:29], 4
	s_lshl_b64 s[24:25], s[4:5], 3
	s_branch .LBB53_4
.LBB53_3:                               ;   in Loop: Header=BB53_4 Depth=1
	s_or_b32 exec_lo, exec_lo, s4
	s_waitcnt lgkmcnt(0)
	s_add_i32 s14, s30, s14
	s_delay_alu instid0(SALU_CYCLE_1)
	s_cmp_le_i32 s14, s33
	s_cbranch_scc0 .LBB53_66
.LBB53_4:                               ; =>This Loop Header: Depth=1
                                        ;     Child Loop BB53_6 Depth 2
                                        ;       Child Loop BB53_55 Depth 3
	s_lshl_b32 s28, s14, 5
	v_mov_b32_e32 v31, 0
	v_dual_mov_b32 v32, 0 :: v_dual_add_nc_u32 v13, s28, v3
	s_delay_alu instid0(VALU_DEP_2) | instskip(SKIP_1) | instid1(VALU_DEP_3)
	v_mov_b32_e32 v29, v31
	v_mov_b32_e32 v21, v31
	v_dual_mov_b32 v15, v31 :: v_dual_mov_b32 v16, v32
	v_mov_b32_e32 v30, v32
	v_mov_b32_e32 v22, v32
	v_ashrrev_i32_e32 v14, 31, v13
	s_cmp_lt_i32 s14, 0
	s_cbranch_scc1 .LBB53_58
; %bb.5:                                ;   in Loop: Header=BB53_4 Depth=1
	s_delay_alu instid0(VALU_DEP_1) | instskip(SKIP_1) | instid1(VALU_DEP_1)
	v_lshlrev_b64 v[19:20], 3, v[13:14]
	v_add_co_u32 v17, s3, v13, 16
	v_add_co_ci_u32_e64 v18, s3, 0, v14, s3
	v_dual_mov_b32 v15, 0 :: v_dual_mov_b32 v24, v2
	v_dual_mov_b32 v16, 0 :: v_dual_mov_b32 v23, v1
	v_add_co_u32 v19, s3, v0, v19
	s_delay_alu instid0(VALU_DEP_1)
	v_add_co_ci_u32_e64 v20, s3, v33, v20, s3
	v_cmp_le_i64_e64 s4, s[10:11], v[17:18]
	v_cmp_le_i32_e64 s3, s10, v13
	v_dual_mov_b32 v22, v16 :: v_dual_mov_b32 v21, v15
	v_dual_mov_b32 v30, v16 :: v_dual_mov_b32 v29, v15
	;; [unrolled: 1-line block ×5, first 2 shown]
	s_mov_b32 s29, 0
.LBB53_6:                               ;   Parent Loop BB53_4 Depth=1
                                        ; =>  This Loop Header: Depth=2
                                        ;       Child Loop BB53_55 Depth 3
	v_cmp_eq_u64_e64 s7, v[23:24], v[13:14]
	v_cmp_gt_i64_e64 s5, v[23:24], v[13:14]
	v_cmp_le_i64_e64 s6, s[10:11], v[23:24]
	s_delay_alu instid0(VALU_DEP_3) | instskip(NEXT) | instid1(VALU_DEP_2)
	s_and_b32 s36, s27, s7
	s_or_b32 s7, s3, s5
	s_delay_alu instid0(SALU_CYCLE_1)
	s_or_b32 s7, s7, s36
	s_delay_alu instid0(VALU_DEP_1) | instid1(SALU_CYCLE_1)
	s_or_b32 s7, s6, s7
	s_delay_alu instid0(SALU_CYCLE_1) | instskip(NEXT) | instid1(SALU_CYCLE_1)
	s_xor_b32 s7, s7, -1
	s_and_saveexec_b32 s8, s7
	s_delay_alu instid0(SALU_CYCLE_1)
	s_xor_b32 s7, exec_lo, s8
	s_cbranch_execz .LBB53_8
; %bb.7:                                ;   in Loop: Header=BB53_6 Depth=2
	global_load_b64 v[38:39], v[19:20], off
	s_waitcnt vmcnt(0)
	ds_store_b64 v35, v[38:39]
.LBB53_8:                               ;   in Loop: Header=BB53_6 Depth=2
	s_or_saveexec_b32 s7, s7
	s_xor_b32 s31, s36, -1
	s_xor_b32 exec_lo, exec_lo, s7
	s_cbranch_execz .LBB53_14
; %bb.9:                                ;   in Loop: Header=BB53_6 Depth=2
	s_and_saveexec_b32 s8, s31
	s_delay_alu instid0(SALU_CYCLE_1)
	s_xor_b32 s8, exec_lo, s8
	s_cbranch_execz .LBB53_11
; %bb.10:                               ;   in Loop: Header=BB53_6 Depth=2
	v_mov_b32_e32 v38, v5
	v_mov_b32_e32 v39, v5
	ds_store_b64 v35, v[38:39]
.LBB53_11:                              ;   in Loop: Header=BB53_6 Depth=2
	s_and_not1_saveexec_b32 s8, s8
	s_cbranch_execz .LBB53_13
; %bb.12:                               ;   in Loop: Header=BB53_6 Depth=2
	ds_store_b64 v35, v[5:6]
.LBB53_13:                              ;   in Loop: Header=BB53_6 Depth=2
	s_or_b32 exec_lo, exec_lo, s8
.LBB53_14:                              ;   in Loop: Header=BB53_6 Depth=2
	s_delay_alu instid0(SALU_CYCLE_1) | instskip(SKIP_1) | instid1(VALU_DEP_1)
	s_or_b32 exec_lo, exec_lo, s7
	v_add_co_u32 v38, s7, v23, 16
	v_add_co_ci_u32_e64 v39, s7, 0, v24, s7
	s_delay_alu instid0(VALU_DEP_1) | instskip(SKIP_2) | instid1(VALU_DEP_3)
	v_cmp_eq_u64_e64 s8, v[38:39], v[13:14]
	v_cmp_gt_i64_e64 s9, v[38:39], v[13:14]
	v_cmp_le_i64_e64 s7, s[10:11], v[38:39]
	s_and_b32 s37, s27, s8
	s_delay_alu instid0(VALU_DEP_2) | instskip(NEXT) | instid1(SALU_CYCLE_1)
	s_or_b32 s8, s3, s9
	s_or_b32 s8, s8, s37
	s_delay_alu instid0(VALU_DEP_1) | instid1(SALU_CYCLE_1)
	s_or_b32 s8, s7, s8
	s_delay_alu instid0(SALU_CYCLE_1) | instskip(NEXT) | instid1(SALU_CYCLE_1)
	s_xor_b32 s8, s8, -1
	s_and_saveexec_b32 s9, s8
	s_delay_alu instid0(SALU_CYCLE_1)
	s_xor_b32 s9, exec_lo, s9
	s_cbranch_execz .LBB53_16
; %bb.15:                               ;   in Loop: Header=BB53_6 Depth=2
	v_add_co_u32 v38, s8, v19, s18
	s_delay_alu instid0(VALU_DEP_1)
	v_add_co_ci_u32_e64 v39, s8, s19, v20, s8
	global_load_b64 v[38:39], v[38:39], off
	s_waitcnt vmcnt(0)
	ds_store_b64 v35, v[38:39] offset:128
.LBB53_16:                              ;   in Loop: Header=BB53_6 Depth=2
	s_and_not1_saveexec_b32 s8, s9
	s_cbranch_execz .LBB53_22
; %bb.17:                               ;   in Loop: Header=BB53_6 Depth=2
	s_xor_b32 s9, s37, -1
	s_delay_alu instid0(SALU_CYCLE_1) | instskip(NEXT) | instid1(SALU_CYCLE_1)
	s_and_saveexec_b32 s37, s9
	s_xor_b32 s9, exec_lo, s37
	s_cbranch_execz .LBB53_19
; %bb.18:                               ;   in Loop: Header=BB53_6 Depth=2
	v_mov_b32_e32 v38, v5
	v_mov_b32_e32 v39, v5
	ds_store_b64 v35, v[38:39] offset:128
.LBB53_19:                              ;   in Loop: Header=BB53_6 Depth=2
	s_and_not1_saveexec_b32 s9, s9
	s_cbranch_execz .LBB53_21
; %bb.20:                               ;   in Loop: Header=BB53_6 Depth=2
	ds_store_b64 v35, v[5:6] offset:128
.LBB53_21:                              ;   in Loop: Header=BB53_6 Depth=2
	s_or_b32 exec_lo, exec_lo, s9
.LBB53_22:                              ;   in Loop: Header=BB53_6 Depth=2
	s_delay_alu instid0(SALU_CYCLE_1) | instskip(SKIP_2) | instid1(VALU_DEP_2)
	s_or_b32 exec_lo, exec_lo, s8
	v_cmp_eq_u64_e64 s8, v[23:24], v[17:18]
	v_cmp_gt_i64_e64 s9, v[23:24], v[17:18]
	s_and_b32 s8, s27, s8
	s_delay_alu instid0(VALU_DEP_1) | instskip(NEXT) | instid1(SALU_CYCLE_1)
	s_or_b32 s9, s4, s9
	s_or_b32 s9, s9, s8
	s_delay_alu instid0(SALU_CYCLE_1) | instskip(NEXT) | instid1(SALU_CYCLE_1)
	s_or_b32 s6, s6, s9
	s_xor_b32 s6, s6, -1
	s_delay_alu instid0(SALU_CYCLE_1) | instskip(NEXT) | instid1(SALU_CYCLE_1)
	s_and_saveexec_b32 s9, s6
	s_xor_b32 s6, exec_lo, s9
	s_cbranch_execz .LBB53_24
; %bb.23:                               ;   in Loop: Header=BB53_6 Depth=2
	global_load_b64 v[38:39], v[19:20], off offset:128
	s_waitcnt vmcnt(0)
	ds_store_b64 v35, v[38:39] offset:4096
.LBB53_24:                              ;   in Loop: Header=BB53_6 Depth=2
	s_and_not1_saveexec_b32 s6, s6
	s_cbranch_execz .LBB53_30
; %bb.25:                               ;   in Loop: Header=BB53_6 Depth=2
	s_xor_b32 s8, s8, -1
	s_delay_alu instid0(SALU_CYCLE_1) | instskip(NEXT) | instid1(SALU_CYCLE_1)
	s_and_saveexec_b32 s9, s8
	s_xor_b32 s8, exec_lo, s9
	s_cbranch_execz .LBB53_27
; %bb.26:                               ;   in Loop: Header=BB53_6 Depth=2
	v_mov_b32_e32 v38, v5
	v_mov_b32_e32 v39, v5
	ds_store_b64 v35, v[38:39] offset:4096
.LBB53_27:                              ;   in Loop: Header=BB53_6 Depth=2
	s_and_not1_saveexec_b32 s8, s8
	s_cbranch_execz .LBB53_29
; %bb.28:                               ;   in Loop: Header=BB53_6 Depth=2
	ds_store_b64 v35, v[5:6] offset:4096
.LBB53_29:                              ;   in Loop: Header=BB53_6 Depth=2
	s_or_b32 exec_lo, exec_lo, s8
.LBB53_30:                              ;   in Loop: Header=BB53_6 Depth=2
	s_delay_alu instid0(SALU_CYCLE_1) | instskip(SKIP_1) | instid1(SALU_CYCLE_1)
	s_or_b32 exec_lo, exec_lo, s6
	s_or_b32 s5, s4, s5
	s_or_b32 s5, s5, s36
	s_delay_alu instid0(SALU_CYCLE_1) | instskip(NEXT) | instid1(SALU_CYCLE_1)
	s_or_b32 s5, s7, s5
	s_xor_b32 s5, s5, -1
	s_delay_alu instid0(SALU_CYCLE_1) | instskip(NEXT) | instid1(SALU_CYCLE_1)
	s_and_saveexec_b32 s6, s5
	s_xor_b32 s6, exec_lo, s6
	s_cbranch_execz .LBB53_32
; %bb.31:                               ;   in Loop: Header=BB53_6 Depth=2
	v_add_co_u32 v38, s5, v19, s24
	s_delay_alu instid0(VALU_DEP_1)
	v_add_co_ci_u32_e64 v39, s5, s25, v20, s5
	global_load_b64 v[38:39], v[38:39], off offset:128
	s_waitcnt vmcnt(0)
	ds_store_b64 v35, v[38:39] offset:4224
.LBB53_32:                              ;   in Loop: Header=BB53_6 Depth=2
	s_and_not1_saveexec_b32 s5, s6
	s_cbranch_execz .LBB53_38
; %bb.33:                               ;   in Loop: Header=BB53_6 Depth=2
	s_and_saveexec_b32 s6, s31
	s_delay_alu instid0(SALU_CYCLE_1)
	s_xor_b32 s6, exec_lo, s6
	s_cbranch_execz .LBB53_35
; %bb.34:                               ;   in Loop: Header=BB53_6 Depth=2
	v_mov_b32_e32 v38, v5
	v_mov_b32_e32 v39, v5
	ds_store_b64 v35, v[38:39] offset:4224
.LBB53_35:                              ;   in Loop: Header=BB53_6 Depth=2
	s_and_not1_saveexec_b32 s6, s6
	s_cbranch_execz .LBB53_37
; %bb.36:                               ;   in Loop: Header=BB53_6 Depth=2
	ds_store_b64 v35, v[5:6] offset:4224
.LBB53_37:                              ;   in Loop: Header=BB53_6 Depth=2
	s_or_b32 exec_lo, exec_lo, s6
.LBB53_38:                              ;   in Loop: Header=BB53_6 Depth=2
	s_delay_alu instid0(SALU_CYCLE_1) | instskip(SKIP_1) | instid1(VALU_DEP_1)
	s_or_b32 exec_lo, exec_lo, s5
	v_cmp_le_i64_e64 s5, s[10:11], v[25:26]
	s_or_b32 s6, s5, vcc_lo
	s_delay_alu instid0(SALU_CYCLE_1) | instskip(NEXT) | instid1(SALU_CYCLE_1)
	s_xor_b32 s6, s6, -1
	s_and_saveexec_b32 s7, s6
	s_delay_alu instid0(SALU_CYCLE_1)
	s_xor_b32 s6, exec_lo, s7
	s_cbranch_execz .LBB53_40
; %bb.39:                               ;   in Loop: Header=BB53_6 Depth=2
	global_load_b64 v[38:39], v[27:28], off
	s_waitcnt vmcnt(0)
	ds_store_b64 v37, v[38:39]
.LBB53_40:                              ;   in Loop: Header=BB53_6 Depth=2
	s_and_not1_saveexec_b32 s6, s6
	s_cbranch_execz .LBB53_42
; %bb.41:                               ;   in Loop: Header=BB53_6 Depth=2
	v_mov_b32_e32 v38, v5
	v_mov_b32_e32 v39, v5
	ds_store_b64 v37, v[38:39]
.LBB53_42:                              ;   in Loop: Header=BB53_6 Depth=2
	s_or_b32 exec_lo, exec_lo, s6
	s_or_b32 s5, s5, s0
	s_delay_alu instid0(SALU_CYCLE_1) | instskip(NEXT) | instid1(SALU_CYCLE_1)
	s_xor_b32 s5, s5, -1
	s_and_saveexec_b32 s6, s5
	s_delay_alu instid0(SALU_CYCLE_1)
	s_xor_b32 s5, exec_lo, s6
	s_cbranch_execz .LBB53_44
; %bb.43:                               ;   in Loop: Header=BB53_6 Depth=2
	global_load_b64 v[38:39], v[27:28], off offset:128
	s_waitcnt vmcnt(0)
	ds_store_b64 v37, v[38:39] offset:128
.LBB53_44:                              ;   in Loop: Header=BB53_6 Depth=2
	s_and_not1_saveexec_b32 s5, s5
	s_cbranch_execz .LBB53_46
; %bb.45:                               ;   in Loop: Header=BB53_6 Depth=2
	v_mov_b32_e32 v38, v5
	v_mov_b32_e32 v39, v5
	ds_store_b64 v37, v[38:39] offset:128
.LBB53_46:                              ;   in Loop: Header=BB53_6 Depth=2
	s_or_b32 exec_lo, exec_lo, s5
	v_cmp_le_i64_e64 s5, s[20:21], v[25:26]
	s_delay_alu instid0(VALU_DEP_1) | instskip(NEXT) | instid1(SALU_CYCLE_1)
	s_or_b32 s6, s5, vcc_lo
	s_xor_b32 s6, s6, -1
	s_delay_alu instid0(SALU_CYCLE_1) | instskip(NEXT) | instid1(SALU_CYCLE_1)
	s_and_saveexec_b32 s7, s6
	s_xor_b32 s7, exec_lo, s7
	s_cbranch_execz .LBB53_48
; %bb.47:                               ;   in Loop: Header=BB53_6 Depth=2
	s_lshl_b64 s[8:9], s[22:23], 3
	s_delay_alu instid0(SALU_CYCLE_1) | instskip(NEXT) | instid1(VALU_DEP_1)
	v_add_co_u32 v38, s6, v27, s8
	v_add_co_ci_u32_e64 v39, s6, s9, v28, s6
	global_load_b64 v[38:39], v[38:39], off
	s_waitcnt vmcnt(0)
	ds_store_b64 v37, v[38:39] offset:4096
.LBB53_48:                              ;   in Loop: Header=BB53_6 Depth=2
	s_and_not1_saveexec_b32 s6, s7
	s_cbranch_execz .LBB53_50
; %bb.49:                               ;   in Loop: Header=BB53_6 Depth=2
	v_mov_b32_e32 v38, v5
	v_mov_b32_e32 v39, v5
	ds_store_b64 v37, v[38:39] offset:4096
.LBB53_50:                              ;   in Loop: Header=BB53_6 Depth=2
	s_or_b32 exec_lo, exec_lo, s6
	s_or_b32 s5, s5, s0
	s_delay_alu instid0(SALU_CYCLE_1) | instskip(NEXT) | instid1(SALU_CYCLE_1)
	s_xor_b32 s5, s5, -1
	s_and_saveexec_b32 s6, s5
	s_delay_alu instid0(SALU_CYCLE_1)
	s_xor_b32 s6, exec_lo, s6
	s_cbranch_execz .LBB53_52
; %bb.51:                               ;   in Loop: Header=BB53_6 Depth=2
	s_lshl_b64 s[8:9], s[22:23], 3
	s_delay_alu instid0(SALU_CYCLE_1) | instskip(NEXT) | instid1(VALU_DEP_1)
	v_add_co_u32 v38, s5, v27, s8
	v_add_co_ci_u32_e64 v39, s5, s9, v28, s5
	global_load_b64 v[38:39], v[38:39], off offset:128
	s_waitcnt vmcnt(0)
	ds_store_b64 v37, v[38:39] offset:4224
.LBB53_52:                              ;   in Loop: Header=BB53_6 Depth=2
	s_and_not1_saveexec_b32 s5, s6
	s_cbranch_execz .LBB53_54
; %bb.53:                               ;   in Loop: Header=BB53_6 Depth=2
	v_mov_b32_e32 v38, v5
	v_mov_b32_e32 v39, v5
	ds_store_b64 v37, v[38:39] offset:4224
.LBB53_54:                              ;   in Loop: Header=BB53_6 Depth=2
	s_or_b32 exec_lo, exec_lo, s5
	v_mov_b32_e32 v38, v36
	s_mov_b32 s5, 0
	s_waitcnt lgkmcnt(0)
	s_waitcnt_vscnt null, 0x0
	s_barrier
	buffer_gl0_inv
.LBB53_55:                              ;   Parent Loop BB53_4 Depth=1
                                        ;     Parent Loop BB53_6 Depth=2
                                        ; =>    This Inner Loop Header: Depth=3
	v_add_nc_u32_e32 v61, s5, v34
	s_add_i32 s5, s5, 64
	ds_load_2addr_b64 v[39:42], v38 offset1:16
	ds_load_b128 v[43:46], v61
	ds_load_b128 v[47:50], v61 offset:4096
	ds_load_b128 v[51:54], v61 offset:16
	;; [unrolled: 1-line block ×3, first 2 shown]
	s_cmpk_lg_i32 s5, 0x100
	s_waitcnt lgkmcnt(3)
	v_fma_f64 v[59:60], v[39:40], v[43:44], v[31:32]
	v_fma_f64 v[43:44], v[41:42], v[43:44], v[29:30]
	s_waitcnt lgkmcnt(2)
	v_fma_f64 v[21:22], v[39:40], v[47:48], v[21:22]
	v_fma_f64 v[15:16], v[41:42], v[47:48], v[15:16]
	ds_load_2addr_b64 v[29:32], v38 offset0:32 offset1:48
	s_waitcnt lgkmcnt(0)
	v_fma_f64 v[39:40], v[29:30], v[45:46], v[59:60]
	v_fma_f64 v[41:42], v[31:32], v[45:46], v[43:44]
	v_fma_f64 v[21:22], v[29:30], v[49:50], v[21:22]
	v_fma_f64 v[15:16], v[31:32], v[49:50], v[15:16]
	ds_load_2addr_b64 v[29:32], v38 offset0:64 offset1:80
	s_waitcnt lgkmcnt(0)
	v_fma_f64 v[39:40], v[29:30], v[51:52], v[39:40]
	v_fma_f64 v[41:42], v[31:32], v[51:52], v[41:42]
	;; [unrolled: 6-line block ×3, first 2 shown]
	v_fma_f64 v[21:22], v[29:30], v[57:58], v[21:22]
	v_fma_f64 v[15:16], v[31:32], v[57:58], v[15:16]
	ds_load_2addr_b64 v[29:32], v38 offset0:128 offset1:144
	ds_load_b128 v[39:42], v61 offset:32
	ds_load_b128 v[43:46], v61 offset:4128
	;; [unrolled: 1-line block ×4, first 2 shown]
	s_waitcnt lgkmcnt(3)
	v_fma_f64 v[55:56], v[29:30], v[39:40], v[55:56]
	v_fma_f64 v[39:40], v[31:32], v[39:40], v[59:60]
	s_waitcnt lgkmcnt(2)
	v_fma_f64 v[21:22], v[29:30], v[43:44], v[21:22]
	v_fma_f64 v[15:16], v[31:32], v[43:44], v[15:16]
	ds_load_2addr_b64 v[29:32], v38 offset0:160 offset1:176
	s_waitcnt lgkmcnt(0)
	v_fma_f64 v[43:44], v[29:30], v[41:42], v[55:56]
	v_fma_f64 v[39:40], v[31:32], v[41:42], v[39:40]
	;; [unrolled: 1-line block ×4, first 2 shown]
	ds_load_2addr_b64 v[29:32], v38 offset0:192 offset1:208
	s_waitcnt lgkmcnt(0)
	v_fma_f64 v[43:44], v[29:30], v[47:48], v[43:44]
	v_fma_f64 v[45:46], v[31:32], v[47:48], v[39:40]
	;; [unrolled: 1-line block ×4, first 2 shown]
	ds_load_2addr_b64 v[39:42], v38 offset0:224 offset1:240
	v_add_nc_u32_e32 v38, 0x800, v38
	s_waitcnt lgkmcnt(0)
	v_fma_f64 v[31:32], v[39:40], v[49:50], v[43:44]
	v_fma_f64 v[29:30], v[41:42], v[49:50], v[45:46]
	;; [unrolled: 1-line block ×4, first 2 shown]
	s_cbranch_scc1 .LBB53_55
; %bb.56:                               ;   in Loop: Header=BB53_6 Depth=2
	v_add_co_u32 v19, s5, v19, s12
	s_delay_alu instid0(VALU_DEP_1) | instskip(SKIP_1) | instid1(VALU_DEP_1)
	v_add_co_ci_u32_e64 v20, s5, s13, v20, s5
	v_add_co_u32 v23, s5, v23, 32
	v_add_co_ci_u32_e64 v24, s5, 0, v24, s5
	v_add_co_u32 v27, s5, v27, s16
	s_delay_alu instid0(VALU_DEP_1) | instskip(SKIP_1) | instid1(VALU_DEP_1)
	v_add_co_ci_u32_e64 v28, s5, s17, v28, s5
	v_add_co_u32 v25, s5, v25, 32
	v_add_co_ci_u32_e64 v26, s5, 0, v26, s5
	s_add_i32 s5, s29, 32
	s_cmp_ge_i32 s29, s28
	s_barrier
	buffer_gl0_inv
	s_cbranch_scc1 .LBB53_58
; %bb.57:                               ;   in Loop: Header=BB53_6 Depth=2
	s_mov_b32 s29, s5
	s_branch .LBB53_6
.LBB53_58:                              ;   in Loop: Header=BB53_4 Depth=1
	s_delay_alu instid0(VALU_DEP_1) | instskip(SKIP_3) | instid1(VALU_DEP_2)
	v_mul_lo_u32 v14, v14, s40
	v_mul_lo_u32 v19, v13, s41
	v_mad_u64_u32 v[17:18], null, v13, s40, 0
	v_cmp_gt_i32_e64 s3, s10, v13
	v_add3_u32 v18, v18, v19, v14
	s_delay_alu instid0(VALU_DEP_1) | instskip(NEXT) | instid1(VALU_DEP_1)
	v_lshlrev_b64 v[17:18], 3, v[17:18]
	v_add_co_u32 v14, s4, s15, v17
	s_delay_alu instid0(VALU_DEP_1) | instskip(SKIP_1) | instid1(SALU_CYCLE_1)
	v_add_co_ci_u32_e64 v17, s4, s26, v18, s4
	s_and_b32 s4, s1, s3
	s_and_saveexec_b32 s5, s4
	s_cbranch_execz .LBB53_60
; %bb.59:                               ;   in Loop: Header=BB53_4 Depth=1
	v_add_co_u32 v18, s4, v14, v7
	s_delay_alu instid0(VALU_DEP_1)
	v_add_co_ci_u32_e64 v19, s4, v17, v8, s4
	global_load_b64 v[23:24], v[18:19], off
	s_waitcnt vmcnt(0)
	v_fma_f64 v[23:24], v[31:32], s[34:35], v[23:24]
	global_store_b64 v[18:19], v[23:24], off
.LBB53_60:                              ;   in Loop: Header=BB53_4 Depth=1
	s_or_b32 exec_lo, exec_lo, s5
	s_and_b32 s3, s2, s3
	s_delay_alu instid0(SALU_CYCLE_1)
	s_and_saveexec_b32 s4, s3
	s_cbranch_execz .LBB53_62
; %bb.61:                               ;   in Loop: Header=BB53_4 Depth=1
	v_lshlrev_b64 v[18:19], 3, v[11:12]
	s_delay_alu instid0(VALU_DEP_1) | instskip(NEXT) | instid1(VALU_DEP_1)
	v_add_co_u32 v18, s3, v14, v18
	v_add_co_ci_u32_e64 v19, s3, v17, v19, s3
	global_load_b64 v[23:24], v[18:19], off
	s_waitcnt vmcnt(0)
	v_fma_f64 v[23:24], v[29:30], s[34:35], v[23:24]
	global_store_b64 v[18:19], v[23:24], off
.LBB53_62:                              ;   in Loop: Header=BB53_4 Depth=1
	s_or_b32 exec_lo, exec_lo, s4
	v_add_nc_u32_e32 v17, 16, v13
	s_delay_alu instid0(VALU_DEP_1) | instskip(SKIP_3) | instid1(VALU_DEP_4)
	v_ashrrev_i32_e32 v18, 31, v17
	v_mul_lo_u32 v19, v17, s41
	v_mad_u64_u32 v[13:14], null, v17, s40, 0
	v_cmp_gt_i32_e64 s3, s10, v17
	v_mul_lo_u32 v18, v18, s40
	s_delay_alu instid0(VALU_DEP_1) | instskip(NEXT) | instid1(VALU_DEP_1)
	v_add3_u32 v14, v14, v19, v18
	v_lshlrev_b64 v[13:14], 3, v[13:14]
	s_delay_alu instid0(VALU_DEP_1) | instskip(NEXT) | instid1(VALU_DEP_1)
	v_add_co_u32 v13, s4, s15, v13
	v_add_co_ci_u32_e64 v14, s4, s26, v14, s4
	s_and_b32 s4, s1, s3
	s_delay_alu instid0(SALU_CYCLE_1)
	s_and_saveexec_b32 s5, s4
	s_cbranch_execnz .LBB53_64
; %bb.63:                               ;   in Loop: Header=BB53_4 Depth=1
	s_or_b32 exec_lo, exec_lo, s5
	s_and_b32 s3, s2, s3
	s_delay_alu instid0(SALU_CYCLE_1)
	s_and_saveexec_b32 s4, s3
	s_cbranch_execz .LBB53_3
	s_branch .LBB53_65
.LBB53_64:                              ;   in Loop: Header=BB53_4 Depth=1
	v_add_co_u32 v17, s4, v13, v7
	s_delay_alu instid0(VALU_DEP_1)
	v_add_co_ci_u32_e64 v18, s4, v14, v8, s4
	global_load_b64 v[19:20], v[17:18], off
	s_waitcnt vmcnt(0)
	v_fma_f64 v[19:20], v[21:22], s[34:35], v[19:20]
	global_store_b64 v[17:18], v[19:20], off
	s_or_b32 exec_lo, exec_lo, s5
	s_and_b32 s3, s2, s3
	s_delay_alu instid0(SALU_CYCLE_1)
	s_and_saveexec_b32 s4, s3
	s_cbranch_execz .LBB53_3
.LBB53_65:                              ;   in Loop: Header=BB53_4 Depth=1
	v_lshlrev_b64 v[17:18], 3, v[11:12]
	s_delay_alu instid0(VALU_DEP_1) | instskip(NEXT) | instid1(VALU_DEP_1)
	v_add_co_u32 v13, s3, v13, v17
	v_add_co_ci_u32_e64 v14, s3, v14, v18, s3
	global_load_b64 v[17:18], v[13:14], off
	s_waitcnt vmcnt(0)
	v_fma_f64 v[15:16], v[15:16], s[34:35], v[17:18]
	global_store_b64 v[13:14], v[15:16], off
	s_branch .LBB53_3
.LBB53_66:
	s_nop 0
	s_sendmsg sendmsg(MSG_DEALLOC_VGPRS)
	s_endpgm
	.section	.rodata,"a",@progbits
	.p2align	6, 0x0
	.amdhsa_kernel _ZL30rocblas_trmm_outofplace_kernelIdLi32ELi2ELb0ELb0ELb1ELb0EdKddEv17rocblas_diagonal_iiT6_lPT7_lllS4_lllPT8_llli
		.amdhsa_group_segment_fixed_size 16384
		.amdhsa_private_segment_fixed_size 0
		.amdhsa_kernarg_size 392
		.amdhsa_user_sgpr_count 13
		.amdhsa_user_sgpr_dispatch_ptr 0
		.amdhsa_user_sgpr_queue_ptr 0
		.amdhsa_user_sgpr_kernarg_segment_ptr 1
		.amdhsa_user_sgpr_dispatch_id 0
		.amdhsa_user_sgpr_private_segment_size 0
		.amdhsa_wavefront_size32 1
		.amdhsa_uses_dynamic_stack 0
		.amdhsa_enable_private_segment 0
		.amdhsa_system_sgpr_workgroup_id_x 1
		.amdhsa_system_sgpr_workgroup_id_y 1
		.amdhsa_system_sgpr_workgroup_id_z 1
		.amdhsa_system_sgpr_workgroup_info 0
		.amdhsa_system_vgpr_workitem_id 1
		.amdhsa_next_free_vgpr 62
		.amdhsa_next_free_sgpr 44
		.amdhsa_reserve_vcc 1
		.amdhsa_float_round_mode_32 0
		.amdhsa_float_round_mode_16_64 0
		.amdhsa_float_denorm_mode_32 3
		.amdhsa_float_denorm_mode_16_64 3
		.amdhsa_dx10_clamp 1
		.amdhsa_ieee_mode 1
		.amdhsa_fp16_overflow 0
		.amdhsa_workgroup_processor_mode 1
		.amdhsa_memory_ordered 1
		.amdhsa_forward_progress 0
		.amdhsa_shared_vgpr_count 0
		.amdhsa_exception_fp_ieee_invalid_op 0
		.amdhsa_exception_fp_denorm_src 0
		.amdhsa_exception_fp_ieee_div_zero 0
		.amdhsa_exception_fp_ieee_overflow 0
		.amdhsa_exception_fp_ieee_underflow 0
		.amdhsa_exception_fp_ieee_inexact 0
		.amdhsa_exception_int_div_zero 0
	.end_amdhsa_kernel
	.section	.text._ZL30rocblas_trmm_outofplace_kernelIdLi32ELi2ELb0ELb0ELb1ELb0EdKddEv17rocblas_diagonal_iiT6_lPT7_lllS4_lllPT8_llli,"axG",@progbits,_ZL30rocblas_trmm_outofplace_kernelIdLi32ELi2ELb0ELb0ELb1ELb0EdKddEv17rocblas_diagonal_iiT6_lPT7_lllS4_lllPT8_llli,comdat
.Lfunc_end53:
	.size	_ZL30rocblas_trmm_outofplace_kernelIdLi32ELi2ELb0ELb0ELb1ELb0EdKddEv17rocblas_diagonal_iiT6_lPT7_lllS4_lllPT8_llli, .Lfunc_end53-_ZL30rocblas_trmm_outofplace_kernelIdLi32ELi2ELb0ELb0ELb1ELb0EdKddEv17rocblas_diagonal_iiT6_lPT7_lllS4_lllPT8_llli
                                        ; -- End function
	.section	.AMDGPU.csdata,"",@progbits
; Kernel info:
; codeLenInByte = 2824
; NumSgprs: 46
; NumVgprs: 62
; ScratchSize: 0
; MemoryBound: 1
; FloatMode: 240
; IeeeMode: 1
; LDSByteSize: 16384 bytes/workgroup (compile time only)
; SGPRBlocks: 5
; VGPRBlocks: 7
; NumSGPRsForWavesPerEU: 46
; NumVGPRsForWavesPerEU: 62
; Occupancy: 16
; WaveLimiterHint : 0
; COMPUTE_PGM_RSRC2:SCRATCH_EN: 0
; COMPUTE_PGM_RSRC2:USER_SGPR: 13
; COMPUTE_PGM_RSRC2:TRAP_HANDLER: 0
; COMPUTE_PGM_RSRC2:TGID_X_EN: 1
; COMPUTE_PGM_RSRC2:TGID_Y_EN: 1
; COMPUTE_PGM_RSRC2:TGID_Z_EN: 1
; COMPUTE_PGM_RSRC2:TIDIG_COMP_CNT: 1
	.section	.text._ZL30rocblas_trmm_outofplace_kernelIdLi32ELi2ELb0ELb1ELb1ELb0EPKdS0_dEv17rocblas_diagonal_iiT6_lPT7_lllS5_lllPT8_llli,"axG",@progbits,_ZL30rocblas_trmm_outofplace_kernelIdLi32ELi2ELb0ELb1ELb1ELb0EPKdS0_dEv17rocblas_diagonal_iiT6_lPT7_lllS5_lllPT8_llli,comdat
	.globl	_ZL30rocblas_trmm_outofplace_kernelIdLi32ELi2ELb0ELb1ELb1ELb0EPKdS0_dEv17rocblas_diagonal_iiT6_lPT7_lllS5_lllPT8_llli ; -- Begin function _ZL30rocblas_trmm_outofplace_kernelIdLi32ELi2ELb0ELb1ELb1ELb0EPKdS0_dEv17rocblas_diagonal_iiT6_lPT7_lllS5_lllPT8_llli
	.p2align	8
	.type	_ZL30rocblas_trmm_outofplace_kernelIdLi32ELi2ELb0ELb1ELb1ELb0EPKdS0_dEv17rocblas_diagonal_iiT6_lPT7_lllS5_lllPT8_llli,@function
_ZL30rocblas_trmm_outofplace_kernelIdLi32ELi2ELb0ELb1ELb1ELb0EPKdS0_dEv17rocblas_diagonal_iiT6_lPT7_lllS5_lllPT8_llli: ; @_ZL30rocblas_trmm_outofplace_kernelIdLi32ELi2ELb0ELb1ELb1ELb0EPKdS0_dEv17rocblas_diagonal_iiT6_lPT7_lllS5_lllPT8_llli
; %bb.0:
	s_load_b512 s[16:31], s[0:1], 0x10
	s_waitcnt lgkmcnt(0)
	s_mul_i32 s2, s15, s19
	s_mul_hi_u32 s3, s15, s18
	s_delay_alu instid0(SALU_CYCLE_1) | instskip(SKIP_1) | instid1(SALU_CYCLE_1)
	s_add_i32 s3, s3, s2
	s_mul_i32 s2, s15, s18
	s_lshl_b64 s[2:3], s[2:3], 3
	s_delay_alu instid0(SALU_CYCLE_1) | instskip(SKIP_4) | instid1(VALU_DEP_1)
	s_add_u32 s2, s16, s2
	s_addc_u32 s3, s17, s3
	s_load_b64 s[34:35], s[2:3], 0x0
	s_waitcnt lgkmcnt(0)
	v_cmp_eq_f64_e64 s2, s[34:35], 0
	s_and_b32 vcc_lo, exec_lo, s2
	s_cbranch_vccnz .LBB54_65
; %bb.1:
	s_load_b128 s[8:11], s[0:1], 0x0
	s_waitcnt lgkmcnt(0)
	s_add_i32 s2, s10, -1
	s_delay_alu instid0(SALU_CYCLE_1) | instskip(NEXT) | instid1(SALU_CYCLE_1)
	s_ashr_i32 s3, s2, 31
	s_lshr_b32 s3, s3, 27
	s_delay_alu instid0(SALU_CYCLE_1) | instskip(NEXT) | instid1(SALU_CYCLE_1)
	s_add_i32 s2, s2, s3
	s_ashr_i32 s33, s2, 5
	s_delay_alu instid0(SALU_CYCLE_1)
	s_cmp_gt_i32 s14, s33
	s_cbranch_scc1 .LBB54_65
; %bb.2:
	s_clause 0x1
	s_load_b256 s[36:43], s[0:1], 0x50
	s_load_b128 s[16:19], s[0:1], 0x70
	s_mul_i32 s3, s15, s27
	s_mul_hi_u32 s4, s15, s26
	s_mul_i32 s2, s15, s26
	s_add_i32 s3, s4, s3
	v_and_b32_e32 v27, 0x3ff, v0
	s_lshl_b64 s[2:3], s[2:3], 3
	s_load_b32 s44, s[0:1], 0x8c
	s_add_u32 s4, s20, s2
	s_addc_u32 s5, s21, s3
	s_lshl_b64 s[2:3], s[22:23], 3
	v_lshl_add_u32 v4, s13, 5, v27
	s_add_u32 s45, s4, s2
	s_addc_u32 s46, s5, s3
	v_bfe_u32 v0, v0, 10, 10
	v_lshlrev_b32_e32 v3, 3, v27
	v_ashrrev_i32_e32 v5, 31, v4
	s_delay_alu instid0(VALU_DEP_3)
	v_lshlrev_b32_e32 v30, 8, v0
	s_waitcnt lgkmcnt(0)
	s_mul_i32 s1, s15, s39
	s_mul_hi_u32 s2, s15, s38
	s_mul_i32 s0, s15, s38
	s_add_i32 s1, s2, s1
	s_mul_i32 s3, s15, s19
	s_lshl_b64 s[0:1], s[0:1], 3
	s_mul_hi_u32 s4, s15, s18
	s_add_u32 s5, s28, s0
	s_addc_u32 s6, s29, s1
	s_lshl_b64 s[0:1], s[30:31], 3
	s_mul_i32 s2, s15, s18
	s_add_u32 s5, s5, s0
	s_addc_u32 s6, s6, s1
	s_add_i32 s3, s4, s3
	v_lshlrev_b64 v[1:2], 3, v[4:5]
	s_lshl_b64 s[0:1], s[2:3], 3
	s_delay_alu instid0(SALU_CYCLE_1) | instskip(SKIP_2) | instid1(VALU_DEP_1)
	s_add_u32 s2, s40, s0
	s_addc_u32 s3, s41, s1
	s_lshl_b64 s[0:1], s[42:43], 3
	v_add_co_u32 v28, vcc_lo, s5, v1
	s_add_u32 s15, s2, s0
	s_addc_u32 s30, s3, s1
	s_cmpk_eq_i32 s8, 0x84
	v_add_co_ci_u32_e32 v29, vcc_lo, s6, v2, vcc_lo
	s_cselect_b32 s31, -1, 0
	s_ashr_i32 s0, s9, 31
	v_sub_co_u32 v6, vcc_lo, s9, v4
	v_sub_co_ci_u32_e32 v7, vcc_lo, s0, v5, vcc_lo
	v_mov_b32_e32 v5, 0
	v_cmp_gt_i32_e64 s1, s9, v4
	s_ashr_i32 s11, s10, 31
	s_delay_alu instid0(VALU_DEP_3)
	v_cmp_gt_i64_e32 vcc_lo, 1, v[6:7]
	v_cmp_gt_i64_e64 s0, 17, v[6:7]
	v_dual_mov_b32 v6, 0x3ff00000 :: v_dual_add_nc_u32 v31, v30, v3
	v_or_b32_e32 v32, 0x2000, v3
	v_add_nc_u32_e32 v3, 16, v4
	s_lshl_b64 s[12:13], s[24:25], 8
	s_lshl_b64 s[18:19], s[36:37], 8
	;; [unrolled: 1-line block ×3, first 2 shown]
	v_add_nc_u32_e32 v33, v32, v30
	v_cmp_gt_i32_e64 s2, s9, v3
	v_ashrrev_i32_e32 v4, 31, v3
	s_lshl_b64 s[4:5], s[24:25], 4
	s_add_u32 s22, s10, -16
	s_addc_u32 s23, s11, -1
	s_lshl_b64 s[26:27], s[36:37], 4
	s_lshl_b64 s[28:29], s[4:5], 3
	s_branch .LBB54_4
.LBB54_3:                               ;   in Loop: Header=BB54_4 Depth=1
	s_or_b32 exec_lo, exec_lo, s4
	s_add_i32 s14, s44, s14
	s_delay_alu instid0(SALU_CYCLE_1)
	s_cmp_le_i32 s14, s33
	s_cbranch_scc0 .LBB54_65
.LBB54_4:                               ; =>This Loop Header: Depth=1
                                        ;     Child Loop BB54_6 Depth 2
                                        ;       Child Loop BB54_55 Depth 3
	s_lshl_b32 s3, s14, 5
	v_mov_b32_e32 v25, 0
	v_dual_mov_b32 v26, 0 :: v_dual_add_nc_u32 v7, s3, v0
	s_delay_alu instid0(VALU_DEP_2) | instskip(SKIP_1) | instid1(VALU_DEP_3)
	v_mov_b32_e32 v23, v25
	v_mov_b32_e32 v15, v25
	v_dual_mov_b32 v11, v25 :: v_dual_mov_b32 v12, v26
	v_mov_b32_e32 v24, v26
	v_mov_b32_e32 v16, v26
	v_ashrrev_i32_e32 v8, 31, v7
	s_sub_i32 s38, s10, s3
	s_delay_alu instid0(SALU_CYCLE_1)
	s_cmp_lt_i32 s38, 1
	s_cbranch_scc1 .LBB54_57
; %bb.5:                                ;   in Loop: Header=BB54_4 Depth=1
	v_add_nc_u32_e32 v9, s3, v27
	v_mul_lo_u32 v21, v8, s36
	v_mul_lo_u32 v22, v7, s37
	v_mad_u64_u32 v[17:18], null, v7, s36, 0
	s_delay_alu instid0(VALU_DEP_4) | instskip(SKIP_3) | instid1(VALU_DEP_4)
	v_ashrrev_i32_e32 v10, 31, v9
	v_mul_lo_u32 v11, v9, s25
	v_mad_u64_u32 v[15:16], null, v9, s24, 0
	v_lshlrev_b64 v[19:20], 3, v[7:8]
	v_mul_lo_u32 v12, v10, s24
	v_add3_u32 v18, v18, v22, v21
	v_add_co_u32 v13, s3, v7, 16
	s_delay_alu instid0(VALU_DEP_1) | instskip(NEXT) | instid1(VALU_DEP_3)
	v_add_co_ci_u32_e64 v14, s3, 0, v8, s3
	v_lshlrev_b64 v[17:18], 3, v[17:18]
	v_cmp_le_i32_e64 s3, s10, v7
	v_add3_u32 v16, v16, v11, v12
	v_mov_b32_e32 v11, 0
	v_mov_b32_e32 v12, 0
	v_cmp_le_i64_e64 s4, s[10:11], v[13:14]
	s_mov_b32 s39, 0
	v_lshlrev_b64 v[21:22], 3, v[15:16]
	s_delay_alu instid0(VALU_DEP_3) | instskip(SKIP_1) | instid1(VALU_DEP_3)
	v_dual_mov_b32 v16, v12 :: v_dual_mov_b32 v15, v11
	v_dual_mov_b32 v24, v12 :: v_dual_mov_b32 v23, v11
	v_add_co_u32 v21, s5, s45, v21
	s_delay_alu instid0(VALU_DEP_1) | instskip(SKIP_1) | instid1(VALU_DEP_1)
	v_add_co_ci_u32_e64 v22, s5, s46, v22, s5
	v_add_co_u32 v17, s5, v28, v17
	v_add_co_ci_u32_e64 v18, s5, v29, v18, s5
	s_delay_alu instid0(VALU_DEP_4) | instskip(NEXT) | instid1(VALU_DEP_1)
	v_add_co_u32 v19, s5, v21, v19
	v_add_co_ci_u32_e64 v20, s5, v22, v20, s5
	v_mov_b32_e32 v22, v8
	v_dual_mov_b32 v26, v12 :: v_dual_mov_b32 v25, v11
	v_mov_b32_e32 v21, v7
.LBB54_6:                               ;   Parent Loop BB54_4 Depth=1
                                        ; =>  This Loop Header: Depth=2
                                        ;       Child Loop BB54_55 Depth 3
	v_cmp_lt_i64_e64 s5, v[9:10], v[7:8]
	v_cmp_eq_u64_e64 s7, v[9:10], v[7:8]
	v_cmp_le_i64_e64 s6, s[10:11], v[9:10]
	s_delay_alu instid0(VALU_DEP_3) | instskip(NEXT) | instid1(VALU_DEP_2)
	s_or_b32 s8, s3, s5
	s_and_b32 s41, s31, s7
	s_delay_alu instid0(VALU_DEP_1) | instskip(NEXT) | instid1(SALU_CYCLE_1)
	s_or_b32 s7, s6, s8
	s_or_b32 s7, s7, s41
	s_delay_alu instid0(SALU_CYCLE_1) | instskip(NEXT) | instid1(SALU_CYCLE_1)
	s_xor_b32 s7, s7, -1
	s_and_saveexec_b32 s8, s7
	s_delay_alu instid0(SALU_CYCLE_1)
	s_xor_b32 s7, exec_lo, s8
	s_cbranch_execz .LBB54_8
; %bb.7:                                ;   in Loop: Header=BB54_6 Depth=2
	global_load_b64 v[34:35], v[19:20], off
	s_waitcnt vmcnt(0)
	ds_store_b64 v31, v[34:35]
.LBB54_8:                               ;   in Loop: Header=BB54_6 Depth=2
	s_or_saveexec_b32 s7, s7
	s_xor_b32 s40, s41, -1
	s_xor_b32 exec_lo, exec_lo, s7
	s_cbranch_execz .LBB54_14
; %bb.9:                                ;   in Loop: Header=BB54_6 Depth=2
	s_and_saveexec_b32 s8, s40
	s_delay_alu instid0(SALU_CYCLE_1)
	s_xor_b32 s8, exec_lo, s8
	s_cbranch_execz .LBB54_11
; %bb.10:                               ;   in Loop: Header=BB54_6 Depth=2
	v_mov_b32_e32 v34, v5
	v_mov_b32_e32 v35, v5
	ds_store_b64 v31, v[34:35]
.LBB54_11:                              ;   in Loop: Header=BB54_6 Depth=2
	s_and_not1_saveexec_b32 s8, s8
	s_cbranch_execz .LBB54_13
; %bb.12:                               ;   in Loop: Header=BB54_6 Depth=2
	ds_store_b64 v31, v[5:6]
.LBB54_13:                              ;   in Loop: Header=BB54_6 Depth=2
	s_or_b32 exec_lo, exec_lo, s8
.LBB54_14:                              ;   in Loop: Header=BB54_6 Depth=2
	s_delay_alu instid0(SALU_CYCLE_1) | instskip(SKIP_1) | instid1(VALU_DEP_1)
	s_or_b32 exec_lo, exec_lo, s7
	v_add_co_u32 v34, s7, v9, 16
	v_add_co_ci_u32_e64 v35, s7, 0, v10, s7
	s_delay_alu instid0(VALU_DEP_1) | instskip(SKIP_2) | instid1(VALU_DEP_3)
	v_cmp_lt_i64_e64 s8, v[34:35], v[7:8]
	v_cmp_eq_u64_e64 s9, v[34:35], v[7:8]
	v_cmp_le_i64_e64 s7, s[10:11], v[34:35]
	s_or_b32 s8, s3, s8
	s_delay_alu instid0(VALU_DEP_2) | instskip(NEXT) | instid1(VALU_DEP_1)
	s_and_b32 s9, s31, s9
	s_or_b32 s8, s7, s8
	s_delay_alu instid0(SALU_CYCLE_1) | instskip(NEXT) | instid1(SALU_CYCLE_1)
	s_or_b32 s8, s8, s9
	s_xor_b32 s8, s8, -1
	s_delay_alu instid0(SALU_CYCLE_1) | instskip(NEXT) | instid1(SALU_CYCLE_1)
	s_and_saveexec_b32 s42, s8
	s_xor_b32 s42, exec_lo, s42
	s_cbranch_execz .LBB54_16
; %bb.15:                               ;   in Loop: Header=BB54_6 Depth=2
	v_add_co_u32 v34, s8, v19, s20
	s_delay_alu instid0(VALU_DEP_1)
	v_add_co_ci_u32_e64 v35, s8, s21, v20, s8
	global_load_b64 v[34:35], v[34:35], off
	s_waitcnt vmcnt(0)
	ds_store_b64 v31, v[34:35] offset:128
.LBB54_16:                              ;   in Loop: Header=BB54_6 Depth=2
	s_and_not1_saveexec_b32 s8, s42
	s_cbranch_execz .LBB54_22
; %bb.17:                               ;   in Loop: Header=BB54_6 Depth=2
	s_xor_b32 s9, s9, -1
	s_delay_alu instid0(SALU_CYCLE_1) | instskip(NEXT) | instid1(SALU_CYCLE_1)
	s_and_saveexec_b32 s42, s9
	s_xor_b32 s9, exec_lo, s42
	s_cbranch_execz .LBB54_19
; %bb.18:                               ;   in Loop: Header=BB54_6 Depth=2
	v_mov_b32_e32 v34, v5
	v_mov_b32_e32 v35, v5
	ds_store_b64 v31, v[34:35] offset:128
.LBB54_19:                              ;   in Loop: Header=BB54_6 Depth=2
	s_and_not1_saveexec_b32 s9, s9
	s_cbranch_execz .LBB54_21
; %bb.20:                               ;   in Loop: Header=BB54_6 Depth=2
	ds_store_b64 v31, v[5:6] offset:128
.LBB54_21:                              ;   in Loop: Header=BB54_6 Depth=2
	s_or_b32 exec_lo, exec_lo, s9
.LBB54_22:                              ;   in Loop: Header=BB54_6 Depth=2
	s_delay_alu instid0(SALU_CYCLE_1) | instskip(SKIP_2) | instid1(VALU_DEP_2)
	s_or_b32 exec_lo, exec_lo, s8
	v_cmp_eq_u64_e64 s8, v[9:10], v[13:14]
	v_cmp_lt_i64_e64 s9, v[9:10], v[13:14]
	s_and_b32 s8, s31, s8
	s_delay_alu instid0(VALU_DEP_1) | instskip(NEXT) | instid1(SALU_CYCLE_1)
	s_or_b32 s9, s4, s9
	s_or_b32 s9, s9, s8
	s_delay_alu instid0(SALU_CYCLE_1) | instskip(NEXT) | instid1(SALU_CYCLE_1)
	s_or_b32 s6, s6, s9
	s_xor_b32 s6, s6, -1
	s_delay_alu instid0(SALU_CYCLE_1) | instskip(NEXT) | instid1(SALU_CYCLE_1)
	s_and_saveexec_b32 s9, s6
	s_xor_b32 s6, exec_lo, s9
	s_cbranch_execz .LBB54_24
; %bb.23:                               ;   in Loop: Header=BB54_6 Depth=2
	global_load_b64 v[34:35], v[19:20], off offset:128
	s_waitcnt vmcnt(0)
	ds_store_b64 v31, v[34:35] offset:4096
.LBB54_24:                              ;   in Loop: Header=BB54_6 Depth=2
	s_and_not1_saveexec_b32 s6, s6
	s_cbranch_execz .LBB54_30
; %bb.25:                               ;   in Loop: Header=BB54_6 Depth=2
	s_xor_b32 s8, s8, -1
	s_delay_alu instid0(SALU_CYCLE_1) | instskip(NEXT) | instid1(SALU_CYCLE_1)
	s_and_saveexec_b32 s9, s8
	s_xor_b32 s8, exec_lo, s9
	s_cbranch_execz .LBB54_27
; %bb.26:                               ;   in Loop: Header=BB54_6 Depth=2
	v_mov_b32_e32 v34, v5
	v_mov_b32_e32 v35, v5
	ds_store_b64 v31, v[34:35] offset:4096
.LBB54_27:                              ;   in Loop: Header=BB54_6 Depth=2
	s_and_not1_saveexec_b32 s8, s8
	s_cbranch_execz .LBB54_29
; %bb.28:                               ;   in Loop: Header=BB54_6 Depth=2
	ds_store_b64 v31, v[5:6] offset:4096
.LBB54_29:                              ;   in Loop: Header=BB54_6 Depth=2
	s_or_b32 exec_lo, exec_lo, s8
.LBB54_30:                              ;   in Loop: Header=BB54_6 Depth=2
	s_delay_alu instid0(SALU_CYCLE_1) | instskip(SKIP_1) | instid1(SALU_CYCLE_1)
	s_or_b32 exec_lo, exec_lo, s6
	s_or_b32 s5, s4, s5
	s_or_b32 s5, s7, s5
	s_delay_alu instid0(SALU_CYCLE_1) | instskip(NEXT) | instid1(SALU_CYCLE_1)
	s_or_b32 s5, s5, s41
	s_xor_b32 s5, s5, -1
	s_delay_alu instid0(SALU_CYCLE_1) | instskip(NEXT) | instid1(SALU_CYCLE_1)
	s_and_saveexec_b32 s6, s5
	s_xor_b32 s6, exec_lo, s6
	s_cbranch_execz .LBB54_32
; %bb.31:                               ;   in Loop: Header=BB54_6 Depth=2
	v_add_co_u32 v34, s5, v19, s28
	s_delay_alu instid0(VALU_DEP_1)
	v_add_co_ci_u32_e64 v35, s5, s29, v20, s5
	global_load_b64 v[34:35], v[34:35], off offset:128
	s_waitcnt vmcnt(0)
	ds_store_b64 v31, v[34:35] offset:4224
.LBB54_32:                              ;   in Loop: Header=BB54_6 Depth=2
	s_and_not1_saveexec_b32 s5, s6
	s_cbranch_execz .LBB54_38
; %bb.33:                               ;   in Loop: Header=BB54_6 Depth=2
	s_and_saveexec_b32 s6, s40
	s_delay_alu instid0(SALU_CYCLE_1)
	s_xor_b32 s6, exec_lo, s6
	s_cbranch_execz .LBB54_35
; %bb.34:                               ;   in Loop: Header=BB54_6 Depth=2
	v_mov_b32_e32 v34, v5
	v_mov_b32_e32 v35, v5
	ds_store_b64 v31, v[34:35] offset:4224
.LBB54_35:                              ;   in Loop: Header=BB54_6 Depth=2
	s_and_not1_saveexec_b32 s6, s6
	s_cbranch_execz .LBB54_37
; %bb.36:                               ;   in Loop: Header=BB54_6 Depth=2
	ds_store_b64 v31, v[5:6] offset:4224
.LBB54_37:                              ;   in Loop: Header=BB54_6 Depth=2
	s_or_b32 exec_lo, exec_lo, s6
.LBB54_38:                              ;   in Loop: Header=BB54_6 Depth=2
	s_delay_alu instid0(SALU_CYCLE_1) | instskip(SKIP_1) | instid1(VALU_DEP_1)
	s_or_b32 exec_lo, exec_lo, s5
	v_cmp_le_i64_e64 s5, s[10:11], v[21:22]
	s_or_b32 s6, s5, vcc_lo
	s_delay_alu instid0(SALU_CYCLE_1) | instskip(NEXT) | instid1(SALU_CYCLE_1)
	s_xor_b32 s6, s6, -1
	s_and_saveexec_b32 s7, s6
	s_delay_alu instid0(SALU_CYCLE_1)
	s_xor_b32 s6, exec_lo, s7
	s_cbranch_execz .LBB54_40
; %bb.39:                               ;   in Loop: Header=BB54_6 Depth=2
	global_load_b64 v[34:35], v[17:18], off
	s_waitcnt vmcnt(0)
	ds_store_b64 v33, v[34:35]
.LBB54_40:                              ;   in Loop: Header=BB54_6 Depth=2
	s_and_not1_saveexec_b32 s6, s6
	s_cbranch_execz .LBB54_42
; %bb.41:                               ;   in Loop: Header=BB54_6 Depth=2
	v_mov_b32_e32 v34, v5
	v_mov_b32_e32 v35, v5
	ds_store_b64 v33, v[34:35]
.LBB54_42:                              ;   in Loop: Header=BB54_6 Depth=2
	s_or_b32 exec_lo, exec_lo, s6
	s_or_b32 s5, s5, s0
	s_delay_alu instid0(SALU_CYCLE_1) | instskip(NEXT) | instid1(SALU_CYCLE_1)
	s_xor_b32 s5, s5, -1
	s_and_saveexec_b32 s6, s5
	s_delay_alu instid0(SALU_CYCLE_1)
	s_xor_b32 s5, exec_lo, s6
	s_cbranch_execz .LBB54_44
; %bb.43:                               ;   in Loop: Header=BB54_6 Depth=2
	global_load_b64 v[34:35], v[17:18], off offset:128
	s_waitcnt vmcnt(0)
	ds_store_b64 v33, v[34:35] offset:128
.LBB54_44:                              ;   in Loop: Header=BB54_6 Depth=2
	s_and_not1_saveexec_b32 s5, s5
	s_cbranch_execz .LBB54_46
; %bb.45:                               ;   in Loop: Header=BB54_6 Depth=2
	v_mov_b32_e32 v34, v5
	v_mov_b32_e32 v35, v5
	ds_store_b64 v33, v[34:35] offset:128
.LBB54_46:                              ;   in Loop: Header=BB54_6 Depth=2
	s_or_b32 exec_lo, exec_lo, s5
	v_cmp_le_i64_e64 s5, s[22:23], v[21:22]
	s_delay_alu instid0(VALU_DEP_1) | instskip(NEXT) | instid1(SALU_CYCLE_1)
	s_or_b32 s6, s5, vcc_lo
	s_xor_b32 s6, s6, -1
	s_delay_alu instid0(SALU_CYCLE_1) | instskip(NEXT) | instid1(SALU_CYCLE_1)
	s_and_saveexec_b32 s7, s6
	s_xor_b32 s7, exec_lo, s7
	s_cbranch_execz .LBB54_48
; %bb.47:                               ;   in Loop: Header=BB54_6 Depth=2
	s_lshl_b64 s[8:9], s[26:27], 3
	s_delay_alu instid0(SALU_CYCLE_1) | instskip(NEXT) | instid1(VALU_DEP_1)
	v_add_co_u32 v34, s6, v17, s8
	v_add_co_ci_u32_e64 v35, s6, s9, v18, s6
	global_load_b64 v[34:35], v[34:35], off
	s_waitcnt vmcnt(0)
	ds_store_b64 v33, v[34:35] offset:4096
.LBB54_48:                              ;   in Loop: Header=BB54_6 Depth=2
	s_and_not1_saveexec_b32 s6, s7
	s_cbranch_execz .LBB54_50
; %bb.49:                               ;   in Loop: Header=BB54_6 Depth=2
	v_mov_b32_e32 v34, v5
	v_mov_b32_e32 v35, v5
	ds_store_b64 v33, v[34:35] offset:4096
.LBB54_50:                              ;   in Loop: Header=BB54_6 Depth=2
	s_or_b32 exec_lo, exec_lo, s6
	s_or_b32 s5, s5, s0
	s_delay_alu instid0(SALU_CYCLE_1) | instskip(NEXT) | instid1(SALU_CYCLE_1)
	s_xor_b32 s5, s5, -1
	s_and_saveexec_b32 s6, s5
	s_delay_alu instid0(SALU_CYCLE_1)
	s_xor_b32 s6, exec_lo, s6
	s_cbranch_execz .LBB54_52
; %bb.51:                               ;   in Loop: Header=BB54_6 Depth=2
	s_lshl_b64 s[8:9], s[26:27], 3
	s_delay_alu instid0(SALU_CYCLE_1) | instskip(NEXT) | instid1(VALU_DEP_1)
	v_add_co_u32 v34, s5, v17, s8
	v_add_co_ci_u32_e64 v35, s5, s9, v18, s5
	global_load_b64 v[34:35], v[34:35], off offset:128
	s_waitcnt vmcnt(0)
	ds_store_b64 v33, v[34:35] offset:4224
.LBB54_52:                              ;   in Loop: Header=BB54_6 Depth=2
	s_and_not1_saveexec_b32 s5, s6
	s_cbranch_execz .LBB54_54
; %bb.53:                               ;   in Loop: Header=BB54_6 Depth=2
	v_mov_b32_e32 v34, v5
	v_mov_b32_e32 v35, v5
	ds_store_b64 v33, v[34:35] offset:4224
.LBB54_54:                              ;   in Loop: Header=BB54_6 Depth=2
	s_or_b32 exec_lo, exec_lo, s5
	v_mov_b32_e32 v34, v32
	s_mov_b32 s5, 0
	s_waitcnt lgkmcnt(0)
	s_waitcnt_vscnt null, 0x0
	s_barrier
	buffer_gl0_inv
.LBB54_55:                              ;   Parent Loop BB54_4 Depth=1
                                        ;     Parent Loop BB54_6 Depth=2
                                        ; =>    This Inner Loop Header: Depth=3
	v_add_nc_u32_e32 v57, s5, v30
	s_add_i32 s5, s5, 64
	ds_load_2addr_b64 v[35:38], v34 offset1:16
	ds_load_b128 v[39:42], v57
	ds_load_b128 v[43:46], v57 offset:4096
	ds_load_b128 v[47:50], v57 offset:16
	;; [unrolled: 1-line block ×3, first 2 shown]
	s_cmpk_lg_i32 s5, 0x100
	s_waitcnt lgkmcnt(3)
	v_fma_f64 v[55:56], v[35:36], v[39:40], v[25:26]
	v_fma_f64 v[39:40], v[37:38], v[39:40], v[23:24]
	s_waitcnt lgkmcnt(2)
	v_fma_f64 v[15:16], v[35:36], v[43:44], v[15:16]
	v_fma_f64 v[11:12], v[37:38], v[43:44], v[11:12]
	ds_load_2addr_b64 v[23:26], v34 offset0:32 offset1:48
	s_waitcnt lgkmcnt(0)
	v_fma_f64 v[35:36], v[23:24], v[41:42], v[55:56]
	v_fma_f64 v[37:38], v[25:26], v[41:42], v[39:40]
	v_fma_f64 v[15:16], v[23:24], v[45:46], v[15:16]
	v_fma_f64 v[11:12], v[25:26], v[45:46], v[11:12]
	ds_load_2addr_b64 v[23:26], v34 offset0:64 offset1:80
	s_waitcnt lgkmcnt(0)
	v_fma_f64 v[35:36], v[23:24], v[47:48], v[35:36]
	v_fma_f64 v[37:38], v[25:26], v[47:48], v[37:38]
	;; [unrolled: 6-line block ×3, first 2 shown]
	v_fma_f64 v[15:16], v[23:24], v[53:54], v[15:16]
	v_fma_f64 v[11:12], v[25:26], v[53:54], v[11:12]
	ds_load_2addr_b64 v[23:26], v34 offset0:128 offset1:144
	ds_load_b128 v[35:38], v57 offset:32
	ds_load_b128 v[39:42], v57 offset:4128
	;; [unrolled: 1-line block ×4, first 2 shown]
	s_waitcnt lgkmcnt(3)
	v_fma_f64 v[51:52], v[23:24], v[35:36], v[51:52]
	v_fma_f64 v[35:36], v[25:26], v[35:36], v[55:56]
	s_waitcnt lgkmcnt(2)
	v_fma_f64 v[15:16], v[23:24], v[39:40], v[15:16]
	v_fma_f64 v[11:12], v[25:26], v[39:40], v[11:12]
	ds_load_2addr_b64 v[23:26], v34 offset0:160 offset1:176
	s_waitcnt lgkmcnt(0)
	v_fma_f64 v[39:40], v[23:24], v[37:38], v[51:52]
	v_fma_f64 v[35:36], v[25:26], v[37:38], v[35:36]
	;; [unrolled: 1-line block ×4, first 2 shown]
	ds_load_2addr_b64 v[23:26], v34 offset0:192 offset1:208
	s_waitcnt lgkmcnt(0)
	v_fma_f64 v[39:40], v[23:24], v[43:44], v[39:40]
	v_fma_f64 v[41:42], v[25:26], v[43:44], v[35:36]
	;; [unrolled: 1-line block ×4, first 2 shown]
	ds_load_2addr_b64 v[35:38], v34 offset0:224 offset1:240
	v_add_nc_u32_e32 v34, 0x800, v34
	s_waitcnt lgkmcnt(0)
	v_fma_f64 v[25:26], v[35:36], v[45:46], v[39:40]
	v_fma_f64 v[23:24], v[37:38], v[45:46], v[41:42]
	;; [unrolled: 1-line block ×4, first 2 shown]
	s_cbranch_scc1 .LBB54_55
; %bb.56:                               ;   in Loop: Header=BB54_6 Depth=2
	v_add_co_u32 v19, s5, v19, s12
	s_delay_alu instid0(VALU_DEP_1) | instskip(SKIP_1) | instid1(VALU_DEP_1)
	v_add_co_ci_u32_e64 v20, s5, s13, v20, s5
	v_add_co_u32 v9, s5, v9, 32
	v_add_co_ci_u32_e64 v10, s5, 0, v10, s5
	v_add_co_u32 v17, s5, v17, s18
	s_delay_alu instid0(VALU_DEP_1) | instskip(SKIP_1) | instid1(VALU_DEP_1)
	v_add_co_ci_u32_e64 v18, s5, s19, v18, s5
	v_add_co_u32 v21, s5, v21, 32
	v_add_co_ci_u32_e64 v22, s5, 0, v22, s5
	s_add_i32 s39, s39, 32
	s_delay_alu instid0(SALU_CYCLE_1)
	s_cmp_ge_i32 s39, s38
	s_barrier
	buffer_gl0_inv
	s_cbranch_scc0 .LBB54_6
.LBB54_57:                              ;   in Loop: Header=BB54_4 Depth=1
	s_delay_alu instid0(VALU_DEP_1) | instskip(SKIP_3) | instid1(VALU_DEP_2)
	v_mul_lo_u32 v10, v8, s16
	v_mul_lo_u32 v13, v7, s17
	v_mad_u64_u32 v[8:9], null, v7, s16, 0
	v_cmp_gt_i32_e64 s3, s10, v7
	v_add3_u32 v9, v9, v13, v10
	s_delay_alu instid0(VALU_DEP_1) | instskip(NEXT) | instid1(VALU_DEP_1)
	v_lshlrev_b64 v[8:9], 3, v[8:9]
	v_add_co_u32 v8, s4, s15, v8
	s_delay_alu instid0(VALU_DEP_1) | instskip(SKIP_1) | instid1(SALU_CYCLE_1)
	v_add_co_ci_u32_e64 v9, s4, s30, v9, s4
	s_and_b32 s4, s1, s3
	s_and_saveexec_b32 s5, s4
	s_cbranch_execz .LBB54_59
; %bb.58:                               ;   in Loop: Header=BB54_4 Depth=1
	v_add_co_u32 v13, s4, v8, v1
	s_delay_alu instid0(VALU_DEP_1)
	v_add_co_ci_u32_e64 v14, s4, v9, v2, s4
	global_load_b64 v[17:18], v[13:14], off
	s_waitcnt vmcnt(0)
	v_fma_f64 v[17:18], s[34:35], v[25:26], v[17:18]
	global_store_b64 v[13:14], v[17:18], off
.LBB54_59:                              ;   in Loop: Header=BB54_4 Depth=1
	s_or_b32 exec_lo, exec_lo, s5
	s_and_b32 s3, s2, s3
	s_delay_alu instid0(SALU_CYCLE_1)
	s_and_saveexec_b32 s4, s3
	s_cbranch_execz .LBB54_61
; %bb.60:                               ;   in Loop: Header=BB54_4 Depth=1
	v_lshlrev_b64 v[13:14], 3, v[3:4]
	s_delay_alu instid0(VALU_DEP_1) | instskip(NEXT) | instid1(VALU_DEP_1)
	v_add_co_u32 v8, s3, v8, v13
	v_add_co_ci_u32_e64 v9, s3, v9, v14, s3
	global_load_b64 v[13:14], v[8:9], off
	s_waitcnt vmcnt(0)
	v_fma_f64 v[13:14], s[34:35], v[23:24], v[13:14]
	global_store_b64 v[8:9], v[13:14], off
.LBB54_61:                              ;   in Loop: Header=BB54_4 Depth=1
	s_or_b32 exec_lo, exec_lo, s4
	v_add_nc_u32_e32 v9, 16, v7
	s_delay_alu instid0(VALU_DEP_1) | instskip(SKIP_3) | instid1(VALU_DEP_4)
	v_ashrrev_i32_e32 v10, 31, v9
	v_mul_lo_u32 v13, v9, s17
	v_mad_u64_u32 v[7:8], null, v9, s16, 0
	v_cmp_gt_i32_e64 s3, s10, v9
	v_mul_lo_u32 v10, v10, s16
	s_delay_alu instid0(VALU_DEP_1) | instskip(NEXT) | instid1(VALU_DEP_1)
	v_add3_u32 v8, v8, v13, v10
	v_lshlrev_b64 v[7:8], 3, v[7:8]
	s_delay_alu instid0(VALU_DEP_1) | instskip(NEXT) | instid1(VALU_DEP_1)
	v_add_co_u32 v7, s4, s15, v7
	v_add_co_ci_u32_e64 v8, s4, s30, v8, s4
	s_and_b32 s4, s1, s3
	s_delay_alu instid0(SALU_CYCLE_1)
	s_and_saveexec_b32 s5, s4
	s_cbranch_execnz .LBB54_63
; %bb.62:                               ;   in Loop: Header=BB54_4 Depth=1
	s_or_b32 exec_lo, exec_lo, s5
	s_and_b32 s3, s2, s3
	s_delay_alu instid0(SALU_CYCLE_1)
	s_and_saveexec_b32 s4, s3
	s_cbranch_execz .LBB54_3
	s_branch .LBB54_64
.LBB54_63:                              ;   in Loop: Header=BB54_4 Depth=1
	v_add_co_u32 v9, s4, v7, v1
	s_delay_alu instid0(VALU_DEP_1)
	v_add_co_ci_u32_e64 v10, s4, v8, v2, s4
	global_load_b64 v[13:14], v[9:10], off
	s_waitcnt vmcnt(0)
	v_fma_f64 v[13:14], s[34:35], v[15:16], v[13:14]
	global_store_b64 v[9:10], v[13:14], off
	s_or_b32 exec_lo, exec_lo, s5
	s_and_b32 s3, s2, s3
	s_delay_alu instid0(SALU_CYCLE_1)
	s_and_saveexec_b32 s4, s3
	s_cbranch_execz .LBB54_3
.LBB54_64:                              ;   in Loop: Header=BB54_4 Depth=1
	v_lshlrev_b64 v[9:10], 3, v[3:4]
	s_delay_alu instid0(VALU_DEP_1) | instskip(NEXT) | instid1(VALU_DEP_1)
	v_add_co_u32 v7, s3, v7, v9
	v_add_co_ci_u32_e64 v8, s3, v8, v10, s3
	global_load_b64 v[9:10], v[7:8], off
	s_waitcnt vmcnt(0)
	v_fma_f64 v[9:10], s[34:35], v[11:12], v[9:10]
	global_store_b64 v[7:8], v[9:10], off
	s_branch .LBB54_3
.LBB54_65:
	s_nop 0
	s_sendmsg sendmsg(MSG_DEALLOC_VGPRS)
	s_endpgm
	.section	.rodata,"a",@progbits
	.p2align	6, 0x0
	.amdhsa_kernel _ZL30rocblas_trmm_outofplace_kernelIdLi32ELi2ELb0ELb1ELb1ELb0EPKdS0_dEv17rocblas_diagonal_iiT6_lPT7_lllS5_lllPT8_llli
		.amdhsa_group_segment_fixed_size 16384
		.amdhsa_private_segment_fixed_size 0
		.amdhsa_kernarg_size 392
		.amdhsa_user_sgpr_count 13
		.amdhsa_user_sgpr_dispatch_ptr 0
		.amdhsa_user_sgpr_queue_ptr 0
		.amdhsa_user_sgpr_kernarg_segment_ptr 1
		.amdhsa_user_sgpr_dispatch_id 0
		.amdhsa_user_sgpr_private_segment_size 0
		.amdhsa_wavefront_size32 1
		.amdhsa_uses_dynamic_stack 0
		.amdhsa_enable_private_segment 0
		.amdhsa_system_sgpr_workgroup_id_x 1
		.amdhsa_system_sgpr_workgroup_id_y 1
		.amdhsa_system_sgpr_workgroup_id_z 1
		.amdhsa_system_sgpr_workgroup_info 0
		.amdhsa_system_vgpr_workitem_id 1
		.amdhsa_next_free_vgpr 58
		.amdhsa_next_free_sgpr 47
		.amdhsa_reserve_vcc 1
		.amdhsa_float_round_mode_32 0
		.amdhsa_float_round_mode_16_64 0
		.amdhsa_float_denorm_mode_32 3
		.amdhsa_float_denorm_mode_16_64 3
		.amdhsa_dx10_clamp 1
		.amdhsa_ieee_mode 1
		.amdhsa_fp16_overflow 0
		.amdhsa_workgroup_processor_mode 1
		.amdhsa_memory_ordered 1
		.amdhsa_forward_progress 0
		.amdhsa_shared_vgpr_count 0
		.amdhsa_exception_fp_ieee_invalid_op 0
		.amdhsa_exception_fp_denorm_src 0
		.amdhsa_exception_fp_ieee_div_zero 0
		.amdhsa_exception_fp_ieee_overflow 0
		.amdhsa_exception_fp_ieee_underflow 0
		.amdhsa_exception_fp_ieee_inexact 0
		.amdhsa_exception_int_div_zero 0
	.end_amdhsa_kernel
	.section	.text._ZL30rocblas_trmm_outofplace_kernelIdLi32ELi2ELb0ELb1ELb1ELb0EPKdS0_dEv17rocblas_diagonal_iiT6_lPT7_lllS5_lllPT8_llli,"axG",@progbits,_ZL30rocblas_trmm_outofplace_kernelIdLi32ELi2ELb0ELb1ELb1ELb0EPKdS0_dEv17rocblas_diagonal_iiT6_lPT7_lllS5_lllPT8_llli,comdat
.Lfunc_end54:
	.size	_ZL30rocblas_trmm_outofplace_kernelIdLi32ELi2ELb0ELb1ELb1ELb0EPKdS0_dEv17rocblas_diagonal_iiT6_lPT7_lllS5_lllPT8_llli, .Lfunc_end54-_ZL30rocblas_trmm_outofplace_kernelIdLi32ELi2ELb0ELb1ELb1ELb0EPKdS0_dEv17rocblas_diagonal_iiT6_lPT7_lllS5_lllPT8_llli
                                        ; -- End function
	.section	.AMDGPU.csdata,"",@progbits
; Kernel info:
; codeLenInByte = 2888
; NumSgprs: 49
; NumVgprs: 58
; ScratchSize: 0
; MemoryBound: 1
; FloatMode: 240
; IeeeMode: 1
; LDSByteSize: 16384 bytes/workgroup (compile time only)
; SGPRBlocks: 6
; VGPRBlocks: 7
; NumSGPRsForWavesPerEU: 49
; NumVGPRsForWavesPerEU: 58
; Occupancy: 16
; WaveLimiterHint : 0
; COMPUTE_PGM_RSRC2:SCRATCH_EN: 0
; COMPUTE_PGM_RSRC2:USER_SGPR: 13
; COMPUTE_PGM_RSRC2:TRAP_HANDLER: 0
; COMPUTE_PGM_RSRC2:TGID_X_EN: 1
; COMPUTE_PGM_RSRC2:TGID_Y_EN: 1
; COMPUTE_PGM_RSRC2:TGID_Z_EN: 1
; COMPUTE_PGM_RSRC2:TIDIG_COMP_CNT: 1
	.section	.text._ZL30rocblas_trmm_outofplace_kernelIdLi32ELi2ELb0ELb1ELb1ELb0EdKddEv17rocblas_diagonal_iiT6_lPT7_lllS4_lllPT8_llli,"axG",@progbits,_ZL30rocblas_trmm_outofplace_kernelIdLi32ELi2ELb0ELb1ELb1ELb0EdKddEv17rocblas_diagonal_iiT6_lPT7_lllS4_lllPT8_llli,comdat
	.globl	_ZL30rocblas_trmm_outofplace_kernelIdLi32ELi2ELb0ELb1ELb1ELb0EdKddEv17rocblas_diagonal_iiT6_lPT7_lllS4_lllPT8_llli ; -- Begin function _ZL30rocblas_trmm_outofplace_kernelIdLi32ELi2ELb0ELb1ELb1ELb0EdKddEv17rocblas_diagonal_iiT6_lPT7_lllS4_lllPT8_llli
	.p2align	8
	.type	_ZL30rocblas_trmm_outofplace_kernelIdLi32ELi2ELb0ELb1ELb1ELb0EdKddEv17rocblas_diagonal_iiT6_lPT7_lllS4_lllPT8_llli,@function
_ZL30rocblas_trmm_outofplace_kernelIdLi32ELi2ELb0ELb1ELb1ELb0EdKddEv17rocblas_diagonal_iiT6_lPT7_lllS4_lllPT8_llli: ; @_ZL30rocblas_trmm_outofplace_kernelIdLi32ELi2ELb0ELb1ELb1ELb0EdKddEv17rocblas_diagonal_iiT6_lPT7_lllS4_lllPT8_llli
; %bb.0:
	s_load_b64 s[34:35], s[0:1], 0x10
	s_waitcnt lgkmcnt(0)
	v_cmp_eq_f64_e64 s2, s[34:35], 0
	s_delay_alu instid0(VALU_DEP_1)
	s_and_b32 vcc_lo, exec_lo, s2
	s_cbranch_vccnz .LBB55_65
; %bb.1:
	s_load_b128 s[8:11], s[0:1], 0x0
	s_waitcnt lgkmcnt(0)
	s_add_i32 s2, s10, -1
	s_delay_alu instid0(SALU_CYCLE_1) | instskip(NEXT) | instid1(SALU_CYCLE_1)
	s_ashr_i32 s3, s2, 31
	s_lshr_b32 s3, s3, 27
	s_delay_alu instid0(SALU_CYCLE_1) | instskip(NEXT) | instid1(SALU_CYCLE_1)
	s_add_i32 s2, s2, s3
	s_ashr_i32 s33, s2, 5
	s_delay_alu instid0(SALU_CYCLE_1)
	s_cmp_gt_i32 s14, s33
	s_cbranch_scc1 .LBB55_65
; %bb.2:
	s_clause 0x1
	s_load_b512 s[16:31], s[0:1], 0x20
	s_load_b256 s[36:43], s[0:1], 0x60
	v_and_b32_e32 v26, 0x3ff, v0
	v_bfe_u32 v27, v0, 10, 10
	s_delay_alu instid0(VALU_DEP_2) | instskip(SKIP_1) | instid1(VALU_DEP_3)
	v_lshl_add_u32 v3, s13, 5, v26
	v_lshlrev_b32_e32 v2, 3, v26
	v_lshlrev_b32_e32 v28, 8, v27
	s_delay_alu instid0(VALU_DEP_3) | instskip(NEXT) | instid1(VALU_DEP_1)
	v_ashrrev_i32_e32 v4, 31, v3
	v_lshlrev_b64 v[0:1], 3, v[3:4]
	s_waitcnt lgkmcnt(0)
	s_mul_i32 s3, s15, s23
	s_mul_hi_u32 s4, s15, s22
	s_mul_i32 s2, s15, s22
	s_add_i32 s3, s4, s3
	s_mul_i32 s5, s15, s31
	s_lshl_b64 s[2:3], s[2:3], 3
	s_mul_hi_u32 s6, s15, s30
	s_add_u32 s7, s16, s2
	s_addc_u32 s11, s17, s3
	s_lshl_b64 s[2:3], s[18:19], 3
	s_mul_i32 s4, s15, s30
	s_add_u32 s30, s7, s2
	s_addc_u32 s31, s11, s3
	s_add_i32 s5, s6, s5
	s_mul_i32 s6, s15, s43
	s_lshl_b64 s[2:3], s[4:5], 3
	s_mul_hi_u32 s5, s15, s42
	s_add_u32 s7, s24, s2
	s_addc_u32 s11, s25, s3
	s_lshl_b64 s[2:3], s[26:27], 3
	s_mul_i32 s4, s15, s42
	s_add_u32 s7, s7, s2
	s_addc_u32 s11, s11, s3
	s_add_i32 s5, s5, s6
	v_add_co_u32 v29, vcc_lo, s7, v0
	s_lshl_b64 s[2:3], s[4:5], 3
	v_add_co_ci_u32_e32 v30, vcc_lo, s11, v1, vcc_lo
	s_add_u32 s4, s36, s2
	s_addc_u32 s5, s37, s3
	s_lshl_b64 s[2:3], s[38:39], 3
	s_load_b32 s38, s[0:1], 0x8c
	s_add_u32 s15, s4, s2
	s_addc_u32 s36, s5, s3
	s_cmpk_eq_i32 s8, 0x84
	v_sub_co_u32 v5, vcc_lo, s9, v3
	s_cselect_b32 s37, -1, 0
	s_ashr_i32 s2, s9, 31
	v_cmp_gt_i32_e64 s1, s9, v3
	v_sub_co_ci_u32_e32 v6, vcc_lo, s2, v4, vcc_lo
	v_mov_b32_e32 v4, 0
	s_ashr_i32 s11, s10, 31
	s_lshl_b64 s[12:13], s[20:21], 8
	s_delay_alu instid0(VALU_DEP_2)
	v_cmp_gt_i64_e32 vcc_lo, 1, v[5:6]
	v_cmp_gt_i64_e64 s0, 17, v[5:6]
	v_mov_b32_e32 v5, 0x3ff00000
	v_add_nc_u32_e32 v31, v28, v2
	v_or_b32_e32 v32, 0x2000, v2
	v_add_nc_u32_e32 v2, 16, v3
	s_lshl_b64 s[16:17], s[28:29], 8
	s_lshl_b64 s[18:19], s[20:21], 7
	;; [unrolled: 1-line block ×3, first 2 shown]
	v_add_nc_u32_e32 v33, v32, v28
	v_cmp_gt_i32_e64 s2, s9, v2
	v_ashrrev_i32_e32 v3, 31, v2
	s_add_u32 s22, s10, -16
	s_addc_u32 s23, s11, -1
	s_lshl_b64 s[24:25], s[28:29], 4
	s_lshl_b64 s[26:27], s[4:5], 3
	s_branch .LBB55_4
.LBB55_3:                               ;   in Loop: Header=BB55_4 Depth=1
	s_or_b32 exec_lo, exec_lo, s4
	s_waitcnt lgkmcnt(0)
	s_add_i32 s14, s38, s14
	s_delay_alu instid0(SALU_CYCLE_1)
	s_cmp_le_i32 s14, s33
	s_cbranch_scc0 .LBB55_65
.LBB55_4:                               ; =>This Loop Header: Depth=1
                                        ;     Child Loop BB55_6 Depth 2
                                        ;       Child Loop BB55_55 Depth 3
	s_lshl_b32 s3, s14, 5
	v_mov_b32_e32 v24, 0
	v_dual_mov_b32 v25, 0 :: v_dual_add_nc_u32 v6, s3, v27
	s_delay_alu instid0(VALU_DEP_2) | instskip(SKIP_1) | instid1(VALU_DEP_3)
	v_mov_b32_e32 v22, v24
	v_mov_b32_e32 v14, v24
	v_dual_mov_b32 v10, v24 :: v_dual_mov_b32 v11, v25
	v_mov_b32_e32 v23, v25
	v_mov_b32_e32 v15, v25
	v_ashrrev_i32_e32 v7, 31, v6
	s_sub_i32 s39, s10, s3
	s_delay_alu instid0(SALU_CYCLE_1)
	s_cmp_lt_i32 s39, 1
	s_cbranch_scc1 .LBB55_57
; %bb.5:                                ;   in Loop: Header=BB55_4 Depth=1
	v_add_nc_u32_e32 v8, s3, v26
	v_mul_lo_u32 v20, v7, s28
	v_mul_lo_u32 v21, v6, s29
	v_mad_u64_u32 v[16:17], null, v6, s28, 0
	s_delay_alu instid0(VALU_DEP_4) | instskip(SKIP_3) | instid1(VALU_DEP_4)
	v_ashrrev_i32_e32 v9, 31, v8
	v_mul_lo_u32 v10, v8, s21
	v_mad_u64_u32 v[14:15], null, v8, s20, 0
	v_lshlrev_b64 v[18:19], 3, v[6:7]
	v_mul_lo_u32 v11, v9, s20
	v_add3_u32 v17, v17, v21, v20
	v_add_co_u32 v12, s3, v6, 16
	s_delay_alu instid0(VALU_DEP_1) | instskip(NEXT) | instid1(VALU_DEP_3)
	v_add_co_ci_u32_e64 v13, s3, 0, v7, s3
	v_lshlrev_b64 v[16:17], 3, v[16:17]
	v_cmp_le_i32_e64 s3, s10, v6
	v_add3_u32 v15, v15, v10, v11
	v_mov_b32_e32 v10, 0
	v_mov_b32_e32 v11, 0
	v_cmp_le_i64_e64 s4, s[10:11], v[12:13]
	s_mov_b32 s42, 0
	v_lshlrev_b64 v[20:21], 3, v[14:15]
	s_delay_alu instid0(VALU_DEP_3) | instskip(SKIP_1) | instid1(VALU_DEP_3)
	v_dual_mov_b32 v15, v11 :: v_dual_mov_b32 v14, v10
	v_dual_mov_b32 v23, v11 :: v_dual_mov_b32 v22, v10
	v_add_co_u32 v20, s5, s30, v20
	s_delay_alu instid0(VALU_DEP_1) | instskip(SKIP_1) | instid1(VALU_DEP_1)
	v_add_co_ci_u32_e64 v21, s5, s31, v21, s5
	v_add_co_u32 v16, s5, v29, v16
	v_add_co_ci_u32_e64 v17, s5, v30, v17, s5
	s_delay_alu instid0(VALU_DEP_4) | instskip(NEXT) | instid1(VALU_DEP_1)
	v_add_co_u32 v18, s5, v20, v18
	v_add_co_ci_u32_e64 v19, s5, v21, v19, s5
	v_mov_b32_e32 v21, v7
	v_dual_mov_b32 v25, v11 :: v_dual_mov_b32 v24, v10
	v_mov_b32_e32 v20, v6
.LBB55_6:                               ;   Parent Loop BB55_4 Depth=1
                                        ; =>  This Loop Header: Depth=2
                                        ;       Child Loop BB55_55 Depth 3
	v_cmp_lt_i64_e64 s5, v[8:9], v[6:7]
	v_cmp_eq_u64_e64 s7, v[8:9], v[6:7]
	v_cmp_le_i64_e64 s6, s[10:11], v[8:9]
	s_delay_alu instid0(VALU_DEP_3) | instskip(NEXT) | instid1(VALU_DEP_2)
	s_or_b32 s8, s3, s5
	s_and_b32 s44, s37, s7
	s_delay_alu instid0(VALU_DEP_1) | instskip(NEXT) | instid1(SALU_CYCLE_1)
	s_or_b32 s7, s6, s8
	s_or_b32 s7, s7, s44
	s_delay_alu instid0(SALU_CYCLE_1) | instskip(NEXT) | instid1(SALU_CYCLE_1)
	s_xor_b32 s7, s7, -1
	s_and_saveexec_b32 s8, s7
	s_delay_alu instid0(SALU_CYCLE_1)
	s_xor_b32 s7, exec_lo, s8
	s_cbranch_execz .LBB55_8
; %bb.7:                                ;   in Loop: Header=BB55_6 Depth=2
	global_load_b64 v[34:35], v[18:19], off
	s_waitcnt vmcnt(0)
	ds_store_b64 v31, v[34:35]
.LBB55_8:                               ;   in Loop: Header=BB55_6 Depth=2
	s_or_saveexec_b32 s7, s7
	s_xor_b32 s43, s44, -1
	s_xor_b32 exec_lo, exec_lo, s7
	s_cbranch_execz .LBB55_14
; %bb.9:                                ;   in Loop: Header=BB55_6 Depth=2
	s_and_saveexec_b32 s8, s43
	s_delay_alu instid0(SALU_CYCLE_1)
	s_xor_b32 s8, exec_lo, s8
	s_cbranch_execz .LBB55_11
; %bb.10:                               ;   in Loop: Header=BB55_6 Depth=2
	v_mov_b32_e32 v34, v4
	v_mov_b32_e32 v35, v4
	ds_store_b64 v31, v[34:35]
.LBB55_11:                              ;   in Loop: Header=BB55_6 Depth=2
	s_and_not1_saveexec_b32 s8, s8
	s_cbranch_execz .LBB55_13
; %bb.12:                               ;   in Loop: Header=BB55_6 Depth=2
	ds_store_b64 v31, v[4:5]
.LBB55_13:                              ;   in Loop: Header=BB55_6 Depth=2
	s_or_b32 exec_lo, exec_lo, s8
.LBB55_14:                              ;   in Loop: Header=BB55_6 Depth=2
	s_delay_alu instid0(SALU_CYCLE_1) | instskip(SKIP_1) | instid1(VALU_DEP_1)
	s_or_b32 exec_lo, exec_lo, s7
	v_add_co_u32 v34, s7, v8, 16
	v_add_co_ci_u32_e64 v35, s7, 0, v9, s7
	s_delay_alu instid0(VALU_DEP_1) | instskip(SKIP_2) | instid1(VALU_DEP_3)
	v_cmp_lt_i64_e64 s8, v[34:35], v[6:7]
	v_cmp_eq_u64_e64 s9, v[34:35], v[6:7]
	v_cmp_le_i64_e64 s7, s[10:11], v[34:35]
	s_or_b32 s8, s3, s8
	s_delay_alu instid0(VALU_DEP_2) | instskip(NEXT) | instid1(VALU_DEP_1)
	s_and_b32 s9, s37, s9
	s_or_b32 s8, s7, s8
	s_delay_alu instid0(SALU_CYCLE_1) | instskip(NEXT) | instid1(SALU_CYCLE_1)
	s_or_b32 s8, s8, s9
	s_xor_b32 s8, s8, -1
	s_delay_alu instid0(SALU_CYCLE_1) | instskip(NEXT) | instid1(SALU_CYCLE_1)
	s_and_saveexec_b32 s45, s8
	s_xor_b32 s45, exec_lo, s45
	s_cbranch_execz .LBB55_16
; %bb.15:                               ;   in Loop: Header=BB55_6 Depth=2
	v_add_co_u32 v34, s8, v18, s18
	s_delay_alu instid0(VALU_DEP_1)
	v_add_co_ci_u32_e64 v35, s8, s19, v19, s8
	global_load_b64 v[34:35], v[34:35], off
	s_waitcnt vmcnt(0)
	ds_store_b64 v31, v[34:35] offset:128
.LBB55_16:                              ;   in Loop: Header=BB55_6 Depth=2
	s_and_not1_saveexec_b32 s8, s45
	s_cbranch_execz .LBB55_22
; %bb.17:                               ;   in Loop: Header=BB55_6 Depth=2
	s_xor_b32 s9, s9, -1
	s_delay_alu instid0(SALU_CYCLE_1) | instskip(NEXT) | instid1(SALU_CYCLE_1)
	s_and_saveexec_b32 s45, s9
	s_xor_b32 s9, exec_lo, s45
	s_cbranch_execz .LBB55_19
; %bb.18:                               ;   in Loop: Header=BB55_6 Depth=2
	v_mov_b32_e32 v34, v4
	v_mov_b32_e32 v35, v4
	ds_store_b64 v31, v[34:35] offset:128
.LBB55_19:                              ;   in Loop: Header=BB55_6 Depth=2
	s_and_not1_saveexec_b32 s9, s9
	s_cbranch_execz .LBB55_21
; %bb.20:                               ;   in Loop: Header=BB55_6 Depth=2
	ds_store_b64 v31, v[4:5] offset:128
.LBB55_21:                              ;   in Loop: Header=BB55_6 Depth=2
	s_or_b32 exec_lo, exec_lo, s9
.LBB55_22:                              ;   in Loop: Header=BB55_6 Depth=2
	s_delay_alu instid0(SALU_CYCLE_1) | instskip(SKIP_2) | instid1(VALU_DEP_2)
	s_or_b32 exec_lo, exec_lo, s8
	v_cmp_eq_u64_e64 s8, v[8:9], v[12:13]
	v_cmp_lt_i64_e64 s9, v[8:9], v[12:13]
	s_and_b32 s8, s37, s8
	s_delay_alu instid0(VALU_DEP_1) | instskip(NEXT) | instid1(SALU_CYCLE_1)
	s_or_b32 s9, s4, s9
	s_or_b32 s9, s9, s8
	s_delay_alu instid0(SALU_CYCLE_1) | instskip(NEXT) | instid1(SALU_CYCLE_1)
	s_or_b32 s6, s6, s9
	s_xor_b32 s6, s6, -1
	s_delay_alu instid0(SALU_CYCLE_1) | instskip(NEXT) | instid1(SALU_CYCLE_1)
	s_and_saveexec_b32 s9, s6
	s_xor_b32 s6, exec_lo, s9
	s_cbranch_execz .LBB55_24
; %bb.23:                               ;   in Loop: Header=BB55_6 Depth=2
	global_load_b64 v[34:35], v[18:19], off offset:128
	s_waitcnt vmcnt(0)
	ds_store_b64 v31, v[34:35] offset:4096
.LBB55_24:                              ;   in Loop: Header=BB55_6 Depth=2
	s_and_not1_saveexec_b32 s6, s6
	s_cbranch_execz .LBB55_30
; %bb.25:                               ;   in Loop: Header=BB55_6 Depth=2
	s_xor_b32 s8, s8, -1
	s_delay_alu instid0(SALU_CYCLE_1) | instskip(NEXT) | instid1(SALU_CYCLE_1)
	s_and_saveexec_b32 s9, s8
	s_xor_b32 s8, exec_lo, s9
	s_cbranch_execz .LBB55_27
; %bb.26:                               ;   in Loop: Header=BB55_6 Depth=2
	v_mov_b32_e32 v34, v4
	v_mov_b32_e32 v35, v4
	ds_store_b64 v31, v[34:35] offset:4096
.LBB55_27:                              ;   in Loop: Header=BB55_6 Depth=2
	s_and_not1_saveexec_b32 s8, s8
	s_cbranch_execz .LBB55_29
; %bb.28:                               ;   in Loop: Header=BB55_6 Depth=2
	ds_store_b64 v31, v[4:5] offset:4096
.LBB55_29:                              ;   in Loop: Header=BB55_6 Depth=2
	s_or_b32 exec_lo, exec_lo, s8
.LBB55_30:                              ;   in Loop: Header=BB55_6 Depth=2
	s_delay_alu instid0(SALU_CYCLE_1) | instskip(SKIP_1) | instid1(SALU_CYCLE_1)
	s_or_b32 exec_lo, exec_lo, s6
	s_or_b32 s5, s4, s5
	s_or_b32 s5, s7, s5
	s_delay_alu instid0(SALU_CYCLE_1) | instskip(NEXT) | instid1(SALU_CYCLE_1)
	s_or_b32 s5, s5, s44
	s_xor_b32 s5, s5, -1
	s_delay_alu instid0(SALU_CYCLE_1) | instskip(NEXT) | instid1(SALU_CYCLE_1)
	s_and_saveexec_b32 s6, s5
	s_xor_b32 s6, exec_lo, s6
	s_cbranch_execz .LBB55_32
; %bb.31:                               ;   in Loop: Header=BB55_6 Depth=2
	v_add_co_u32 v34, s5, v18, s26
	s_delay_alu instid0(VALU_DEP_1)
	v_add_co_ci_u32_e64 v35, s5, s27, v19, s5
	global_load_b64 v[34:35], v[34:35], off offset:128
	s_waitcnt vmcnt(0)
	ds_store_b64 v31, v[34:35] offset:4224
.LBB55_32:                              ;   in Loop: Header=BB55_6 Depth=2
	s_and_not1_saveexec_b32 s5, s6
	s_cbranch_execz .LBB55_38
; %bb.33:                               ;   in Loop: Header=BB55_6 Depth=2
	s_and_saveexec_b32 s6, s43
	s_delay_alu instid0(SALU_CYCLE_1)
	s_xor_b32 s6, exec_lo, s6
	s_cbranch_execz .LBB55_35
; %bb.34:                               ;   in Loop: Header=BB55_6 Depth=2
	v_mov_b32_e32 v34, v4
	v_mov_b32_e32 v35, v4
	ds_store_b64 v31, v[34:35] offset:4224
.LBB55_35:                              ;   in Loop: Header=BB55_6 Depth=2
	s_and_not1_saveexec_b32 s6, s6
	s_cbranch_execz .LBB55_37
; %bb.36:                               ;   in Loop: Header=BB55_6 Depth=2
	ds_store_b64 v31, v[4:5] offset:4224
.LBB55_37:                              ;   in Loop: Header=BB55_6 Depth=2
	s_or_b32 exec_lo, exec_lo, s6
.LBB55_38:                              ;   in Loop: Header=BB55_6 Depth=2
	s_delay_alu instid0(SALU_CYCLE_1) | instskip(SKIP_1) | instid1(VALU_DEP_1)
	s_or_b32 exec_lo, exec_lo, s5
	v_cmp_le_i64_e64 s5, s[10:11], v[20:21]
	s_or_b32 s6, s5, vcc_lo
	s_delay_alu instid0(SALU_CYCLE_1) | instskip(NEXT) | instid1(SALU_CYCLE_1)
	s_xor_b32 s6, s6, -1
	s_and_saveexec_b32 s7, s6
	s_delay_alu instid0(SALU_CYCLE_1)
	s_xor_b32 s6, exec_lo, s7
	s_cbranch_execz .LBB55_40
; %bb.39:                               ;   in Loop: Header=BB55_6 Depth=2
	global_load_b64 v[34:35], v[16:17], off
	s_waitcnt vmcnt(0)
	ds_store_b64 v33, v[34:35]
.LBB55_40:                              ;   in Loop: Header=BB55_6 Depth=2
	s_and_not1_saveexec_b32 s6, s6
	s_cbranch_execz .LBB55_42
; %bb.41:                               ;   in Loop: Header=BB55_6 Depth=2
	v_mov_b32_e32 v34, v4
	v_mov_b32_e32 v35, v4
	ds_store_b64 v33, v[34:35]
.LBB55_42:                              ;   in Loop: Header=BB55_6 Depth=2
	s_or_b32 exec_lo, exec_lo, s6
	s_or_b32 s5, s5, s0
	s_delay_alu instid0(SALU_CYCLE_1) | instskip(NEXT) | instid1(SALU_CYCLE_1)
	s_xor_b32 s5, s5, -1
	s_and_saveexec_b32 s6, s5
	s_delay_alu instid0(SALU_CYCLE_1)
	s_xor_b32 s5, exec_lo, s6
	s_cbranch_execz .LBB55_44
; %bb.43:                               ;   in Loop: Header=BB55_6 Depth=2
	global_load_b64 v[34:35], v[16:17], off offset:128
	s_waitcnt vmcnt(0)
	ds_store_b64 v33, v[34:35] offset:128
.LBB55_44:                              ;   in Loop: Header=BB55_6 Depth=2
	s_and_not1_saveexec_b32 s5, s5
	s_cbranch_execz .LBB55_46
; %bb.45:                               ;   in Loop: Header=BB55_6 Depth=2
	v_mov_b32_e32 v34, v4
	v_mov_b32_e32 v35, v4
	ds_store_b64 v33, v[34:35] offset:128
.LBB55_46:                              ;   in Loop: Header=BB55_6 Depth=2
	s_or_b32 exec_lo, exec_lo, s5
	v_cmp_le_i64_e64 s5, s[22:23], v[20:21]
	s_delay_alu instid0(VALU_DEP_1) | instskip(NEXT) | instid1(SALU_CYCLE_1)
	s_or_b32 s6, s5, vcc_lo
	s_xor_b32 s6, s6, -1
	s_delay_alu instid0(SALU_CYCLE_1) | instskip(NEXT) | instid1(SALU_CYCLE_1)
	s_and_saveexec_b32 s7, s6
	s_xor_b32 s7, exec_lo, s7
	s_cbranch_execz .LBB55_48
; %bb.47:                               ;   in Loop: Header=BB55_6 Depth=2
	s_lshl_b64 s[8:9], s[24:25], 3
	s_delay_alu instid0(SALU_CYCLE_1) | instskip(NEXT) | instid1(VALU_DEP_1)
	v_add_co_u32 v34, s6, v16, s8
	v_add_co_ci_u32_e64 v35, s6, s9, v17, s6
	global_load_b64 v[34:35], v[34:35], off
	s_waitcnt vmcnt(0)
	ds_store_b64 v33, v[34:35] offset:4096
.LBB55_48:                              ;   in Loop: Header=BB55_6 Depth=2
	s_and_not1_saveexec_b32 s6, s7
	s_cbranch_execz .LBB55_50
; %bb.49:                               ;   in Loop: Header=BB55_6 Depth=2
	v_mov_b32_e32 v34, v4
	v_mov_b32_e32 v35, v4
	ds_store_b64 v33, v[34:35] offset:4096
.LBB55_50:                              ;   in Loop: Header=BB55_6 Depth=2
	s_or_b32 exec_lo, exec_lo, s6
	s_or_b32 s5, s5, s0
	s_delay_alu instid0(SALU_CYCLE_1) | instskip(NEXT) | instid1(SALU_CYCLE_1)
	s_xor_b32 s5, s5, -1
	s_and_saveexec_b32 s6, s5
	s_delay_alu instid0(SALU_CYCLE_1)
	s_xor_b32 s6, exec_lo, s6
	s_cbranch_execz .LBB55_52
; %bb.51:                               ;   in Loop: Header=BB55_6 Depth=2
	s_lshl_b64 s[8:9], s[24:25], 3
	s_delay_alu instid0(SALU_CYCLE_1) | instskip(NEXT) | instid1(VALU_DEP_1)
	v_add_co_u32 v34, s5, v16, s8
	v_add_co_ci_u32_e64 v35, s5, s9, v17, s5
	global_load_b64 v[34:35], v[34:35], off offset:128
	s_waitcnt vmcnt(0)
	ds_store_b64 v33, v[34:35] offset:4224
.LBB55_52:                              ;   in Loop: Header=BB55_6 Depth=2
	s_and_not1_saveexec_b32 s5, s6
	s_cbranch_execz .LBB55_54
; %bb.53:                               ;   in Loop: Header=BB55_6 Depth=2
	v_mov_b32_e32 v34, v4
	v_mov_b32_e32 v35, v4
	ds_store_b64 v33, v[34:35] offset:4224
.LBB55_54:                              ;   in Loop: Header=BB55_6 Depth=2
	s_or_b32 exec_lo, exec_lo, s5
	v_mov_b32_e32 v34, v32
	s_mov_b32 s5, 0
	s_waitcnt lgkmcnt(0)
	s_waitcnt_vscnt null, 0x0
	s_barrier
	buffer_gl0_inv
.LBB55_55:                              ;   Parent Loop BB55_4 Depth=1
                                        ;     Parent Loop BB55_6 Depth=2
                                        ; =>    This Inner Loop Header: Depth=3
	v_add_nc_u32_e32 v57, s5, v28
	s_add_i32 s5, s5, 64
	ds_load_2addr_b64 v[35:38], v34 offset1:16
	ds_load_b128 v[39:42], v57
	ds_load_b128 v[43:46], v57 offset:4096
	ds_load_b128 v[47:50], v57 offset:16
	;; [unrolled: 1-line block ×3, first 2 shown]
	s_cmpk_lg_i32 s5, 0x100
	s_waitcnt lgkmcnt(3)
	v_fma_f64 v[55:56], v[35:36], v[39:40], v[24:25]
	v_fma_f64 v[39:40], v[37:38], v[39:40], v[22:23]
	s_waitcnt lgkmcnt(2)
	v_fma_f64 v[14:15], v[35:36], v[43:44], v[14:15]
	v_fma_f64 v[10:11], v[37:38], v[43:44], v[10:11]
	ds_load_2addr_b64 v[22:25], v34 offset0:32 offset1:48
	s_waitcnt lgkmcnt(0)
	v_fma_f64 v[35:36], v[22:23], v[41:42], v[55:56]
	v_fma_f64 v[37:38], v[24:25], v[41:42], v[39:40]
	v_fma_f64 v[14:15], v[22:23], v[45:46], v[14:15]
	v_fma_f64 v[10:11], v[24:25], v[45:46], v[10:11]
	ds_load_2addr_b64 v[22:25], v34 offset0:64 offset1:80
	s_waitcnt lgkmcnt(0)
	v_fma_f64 v[35:36], v[22:23], v[47:48], v[35:36]
	v_fma_f64 v[37:38], v[24:25], v[47:48], v[37:38]
	;; [unrolled: 6-line block ×3, first 2 shown]
	v_fma_f64 v[14:15], v[22:23], v[53:54], v[14:15]
	v_fma_f64 v[10:11], v[24:25], v[53:54], v[10:11]
	ds_load_2addr_b64 v[22:25], v34 offset0:128 offset1:144
	ds_load_b128 v[35:38], v57 offset:32
	ds_load_b128 v[39:42], v57 offset:4128
	;; [unrolled: 1-line block ×4, first 2 shown]
	s_waitcnt lgkmcnt(3)
	v_fma_f64 v[51:52], v[22:23], v[35:36], v[51:52]
	v_fma_f64 v[35:36], v[24:25], v[35:36], v[55:56]
	s_waitcnt lgkmcnt(2)
	v_fma_f64 v[14:15], v[22:23], v[39:40], v[14:15]
	v_fma_f64 v[10:11], v[24:25], v[39:40], v[10:11]
	ds_load_2addr_b64 v[22:25], v34 offset0:160 offset1:176
	s_waitcnt lgkmcnt(0)
	v_fma_f64 v[39:40], v[22:23], v[37:38], v[51:52]
	v_fma_f64 v[35:36], v[24:25], v[37:38], v[35:36]
	;; [unrolled: 1-line block ×4, first 2 shown]
	ds_load_2addr_b64 v[22:25], v34 offset0:192 offset1:208
	s_waitcnt lgkmcnt(0)
	v_fma_f64 v[39:40], v[22:23], v[43:44], v[39:40]
	v_fma_f64 v[41:42], v[24:25], v[43:44], v[35:36]
	;; [unrolled: 1-line block ×4, first 2 shown]
	ds_load_2addr_b64 v[35:38], v34 offset0:224 offset1:240
	v_add_nc_u32_e32 v34, 0x800, v34
	s_waitcnt lgkmcnt(0)
	v_fma_f64 v[24:25], v[35:36], v[45:46], v[39:40]
	v_fma_f64 v[22:23], v[37:38], v[45:46], v[41:42]
	;; [unrolled: 1-line block ×4, first 2 shown]
	s_cbranch_scc1 .LBB55_55
; %bb.56:                               ;   in Loop: Header=BB55_6 Depth=2
	v_add_co_u32 v18, s5, v18, s12
	s_delay_alu instid0(VALU_DEP_1) | instskip(SKIP_1) | instid1(VALU_DEP_1)
	v_add_co_ci_u32_e64 v19, s5, s13, v19, s5
	v_add_co_u32 v8, s5, v8, 32
	v_add_co_ci_u32_e64 v9, s5, 0, v9, s5
	v_add_co_u32 v16, s5, v16, s16
	s_delay_alu instid0(VALU_DEP_1) | instskip(SKIP_1) | instid1(VALU_DEP_1)
	v_add_co_ci_u32_e64 v17, s5, s17, v17, s5
	v_add_co_u32 v20, s5, v20, 32
	v_add_co_ci_u32_e64 v21, s5, 0, v21, s5
	s_add_i32 s42, s42, 32
	s_delay_alu instid0(SALU_CYCLE_1)
	s_cmp_ge_i32 s42, s39
	s_barrier
	buffer_gl0_inv
	s_cbranch_scc0 .LBB55_6
.LBB55_57:                              ;   in Loop: Header=BB55_4 Depth=1
	s_delay_alu instid0(VALU_DEP_1) | instskip(SKIP_3) | instid1(VALU_DEP_2)
	v_mul_lo_u32 v9, v7, s40
	v_mul_lo_u32 v12, v6, s41
	v_mad_u64_u32 v[7:8], null, v6, s40, 0
	v_cmp_gt_i32_e64 s3, s10, v6
	v_add3_u32 v8, v8, v12, v9
	s_delay_alu instid0(VALU_DEP_1) | instskip(NEXT) | instid1(VALU_DEP_1)
	v_lshlrev_b64 v[7:8], 3, v[7:8]
	v_add_co_u32 v7, s4, s15, v7
	s_delay_alu instid0(VALU_DEP_1) | instskip(SKIP_1) | instid1(SALU_CYCLE_1)
	v_add_co_ci_u32_e64 v8, s4, s36, v8, s4
	s_and_b32 s4, s1, s3
	s_and_saveexec_b32 s5, s4
	s_cbranch_execz .LBB55_59
; %bb.58:                               ;   in Loop: Header=BB55_4 Depth=1
	v_add_co_u32 v12, s4, v7, v0
	s_delay_alu instid0(VALU_DEP_1)
	v_add_co_ci_u32_e64 v13, s4, v8, v1, s4
	global_load_b64 v[16:17], v[12:13], off
	s_waitcnt vmcnt(0)
	v_fma_f64 v[16:17], v[24:25], s[34:35], v[16:17]
	global_store_b64 v[12:13], v[16:17], off
.LBB55_59:                              ;   in Loop: Header=BB55_4 Depth=1
	s_or_b32 exec_lo, exec_lo, s5
	s_and_b32 s3, s2, s3
	s_delay_alu instid0(SALU_CYCLE_1)
	s_and_saveexec_b32 s4, s3
	s_cbranch_execz .LBB55_61
; %bb.60:                               ;   in Loop: Header=BB55_4 Depth=1
	v_lshlrev_b64 v[12:13], 3, v[2:3]
	s_delay_alu instid0(VALU_DEP_1) | instskip(NEXT) | instid1(VALU_DEP_1)
	v_add_co_u32 v7, s3, v7, v12
	v_add_co_ci_u32_e64 v8, s3, v8, v13, s3
	global_load_b64 v[12:13], v[7:8], off
	s_waitcnt vmcnt(0)
	v_fma_f64 v[12:13], v[22:23], s[34:35], v[12:13]
	global_store_b64 v[7:8], v[12:13], off
.LBB55_61:                              ;   in Loop: Header=BB55_4 Depth=1
	s_or_b32 exec_lo, exec_lo, s4
	v_add_nc_u32_e32 v8, 16, v6
	s_delay_alu instid0(VALU_DEP_1) | instskip(SKIP_3) | instid1(VALU_DEP_4)
	v_ashrrev_i32_e32 v9, 31, v8
	v_mul_lo_u32 v12, v8, s41
	v_mad_u64_u32 v[6:7], null, v8, s40, 0
	v_cmp_gt_i32_e64 s3, s10, v8
	v_mul_lo_u32 v9, v9, s40
	s_delay_alu instid0(VALU_DEP_1) | instskip(NEXT) | instid1(VALU_DEP_1)
	v_add3_u32 v7, v7, v12, v9
	v_lshlrev_b64 v[6:7], 3, v[6:7]
	s_delay_alu instid0(VALU_DEP_1) | instskip(NEXT) | instid1(VALU_DEP_1)
	v_add_co_u32 v6, s4, s15, v6
	v_add_co_ci_u32_e64 v7, s4, s36, v7, s4
	s_and_b32 s4, s1, s3
	s_delay_alu instid0(SALU_CYCLE_1)
	s_and_saveexec_b32 s5, s4
	s_cbranch_execnz .LBB55_63
; %bb.62:                               ;   in Loop: Header=BB55_4 Depth=1
	s_or_b32 exec_lo, exec_lo, s5
	s_and_b32 s3, s2, s3
	s_delay_alu instid0(SALU_CYCLE_1)
	s_and_saveexec_b32 s4, s3
	s_cbranch_execz .LBB55_3
	s_branch .LBB55_64
.LBB55_63:                              ;   in Loop: Header=BB55_4 Depth=1
	v_add_co_u32 v8, s4, v6, v0
	s_delay_alu instid0(VALU_DEP_1)
	v_add_co_ci_u32_e64 v9, s4, v7, v1, s4
	global_load_b64 v[12:13], v[8:9], off
	s_waitcnt vmcnt(0)
	v_fma_f64 v[12:13], v[14:15], s[34:35], v[12:13]
	global_store_b64 v[8:9], v[12:13], off
	s_or_b32 exec_lo, exec_lo, s5
	s_and_b32 s3, s2, s3
	s_delay_alu instid0(SALU_CYCLE_1)
	s_and_saveexec_b32 s4, s3
	s_cbranch_execz .LBB55_3
.LBB55_64:                              ;   in Loop: Header=BB55_4 Depth=1
	v_lshlrev_b64 v[8:9], 3, v[2:3]
	s_delay_alu instid0(VALU_DEP_1) | instskip(NEXT) | instid1(VALU_DEP_1)
	v_add_co_u32 v6, s3, v6, v8
	v_add_co_ci_u32_e64 v7, s3, v7, v9, s3
	global_load_b64 v[8:9], v[6:7], off
	s_waitcnt vmcnt(0)
	v_fma_f64 v[8:9], v[10:11], s[34:35], v[8:9]
	global_store_b64 v[6:7], v[8:9], off
	s_branch .LBB55_3
.LBB55_65:
	s_nop 0
	s_sendmsg sendmsg(MSG_DEALLOC_VGPRS)
	s_endpgm
	.section	.rodata,"a",@progbits
	.p2align	6, 0x0
	.amdhsa_kernel _ZL30rocblas_trmm_outofplace_kernelIdLi32ELi2ELb0ELb1ELb1ELb0EdKddEv17rocblas_diagonal_iiT6_lPT7_lllS4_lllPT8_llli
		.amdhsa_group_segment_fixed_size 16384
		.amdhsa_private_segment_fixed_size 0
		.amdhsa_kernarg_size 392
		.amdhsa_user_sgpr_count 13
		.amdhsa_user_sgpr_dispatch_ptr 0
		.amdhsa_user_sgpr_queue_ptr 0
		.amdhsa_user_sgpr_kernarg_segment_ptr 1
		.amdhsa_user_sgpr_dispatch_id 0
		.amdhsa_user_sgpr_private_segment_size 0
		.amdhsa_wavefront_size32 1
		.amdhsa_uses_dynamic_stack 0
		.amdhsa_enable_private_segment 0
		.amdhsa_system_sgpr_workgroup_id_x 1
		.amdhsa_system_sgpr_workgroup_id_y 1
		.amdhsa_system_sgpr_workgroup_id_z 1
		.amdhsa_system_sgpr_workgroup_info 0
		.amdhsa_system_vgpr_workitem_id 1
		.amdhsa_next_free_vgpr 58
		.amdhsa_next_free_sgpr 46
		.amdhsa_reserve_vcc 1
		.amdhsa_float_round_mode_32 0
		.amdhsa_float_round_mode_16_64 0
		.amdhsa_float_denorm_mode_32 3
		.amdhsa_float_denorm_mode_16_64 3
		.amdhsa_dx10_clamp 1
		.amdhsa_ieee_mode 1
		.amdhsa_fp16_overflow 0
		.amdhsa_workgroup_processor_mode 1
		.amdhsa_memory_ordered 1
		.amdhsa_forward_progress 0
		.amdhsa_shared_vgpr_count 0
		.amdhsa_exception_fp_ieee_invalid_op 0
		.amdhsa_exception_fp_denorm_src 0
		.amdhsa_exception_fp_ieee_div_zero 0
		.amdhsa_exception_fp_ieee_overflow 0
		.amdhsa_exception_fp_ieee_underflow 0
		.amdhsa_exception_fp_ieee_inexact 0
		.amdhsa_exception_int_div_zero 0
	.end_amdhsa_kernel
	.section	.text._ZL30rocblas_trmm_outofplace_kernelIdLi32ELi2ELb0ELb1ELb1ELb0EdKddEv17rocblas_diagonal_iiT6_lPT7_lllS4_lllPT8_llli,"axG",@progbits,_ZL30rocblas_trmm_outofplace_kernelIdLi32ELi2ELb0ELb1ELb1ELb0EdKddEv17rocblas_diagonal_iiT6_lPT7_lllS4_lllPT8_llli,comdat
.Lfunc_end55:
	.size	_ZL30rocblas_trmm_outofplace_kernelIdLi32ELi2ELb0ELb1ELb1ELb0EdKddEv17rocblas_diagonal_iiT6_lPT7_lllS4_lllPT8_llli, .Lfunc_end55-_ZL30rocblas_trmm_outofplace_kernelIdLi32ELi2ELb0ELb1ELb1ELb0EdKddEv17rocblas_diagonal_iiT6_lPT7_lllS4_lllPT8_llli
                                        ; -- End function
	.section	.AMDGPU.csdata,"",@progbits
; Kernel info:
; codeLenInByte = 2848
; NumSgprs: 48
; NumVgprs: 58
; ScratchSize: 0
; MemoryBound: 1
; FloatMode: 240
; IeeeMode: 1
; LDSByteSize: 16384 bytes/workgroup (compile time only)
; SGPRBlocks: 5
; VGPRBlocks: 7
; NumSGPRsForWavesPerEU: 48
; NumVGPRsForWavesPerEU: 58
; Occupancy: 16
; WaveLimiterHint : 0
; COMPUTE_PGM_RSRC2:SCRATCH_EN: 0
; COMPUTE_PGM_RSRC2:USER_SGPR: 13
; COMPUTE_PGM_RSRC2:TRAP_HANDLER: 0
; COMPUTE_PGM_RSRC2:TGID_X_EN: 1
; COMPUTE_PGM_RSRC2:TGID_Y_EN: 1
; COMPUTE_PGM_RSRC2:TGID_Z_EN: 1
; COMPUTE_PGM_RSRC2:TIDIG_COMP_CNT: 1
	.section	.text._ZL30rocblas_trmm_outofplace_kernelIdLi32ELi2ELb0ELb0ELb1ELb1EPKdS0_dEv17rocblas_diagonal_iiT6_lPT7_lllS5_lllPT8_llli,"axG",@progbits,_ZL30rocblas_trmm_outofplace_kernelIdLi32ELi2ELb0ELb0ELb1ELb1EPKdS0_dEv17rocblas_diagonal_iiT6_lPT7_lllS5_lllPT8_llli,comdat
	.globl	_ZL30rocblas_trmm_outofplace_kernelIdLi32ELi2ELb0ELb0ELb1ELb1EPKdS0_dEv17rocblas_diagonal_iiT6_lPT7_lllS5_lllPT8_llli ; -- Begin function _ZL30rocblas_trmm_outofplace_kernelIdLi32ELi2ELb0ELb0ELb1ELb1EPKdS0_dEv17rocblas_diagonal_iiT6_lPT7_lllS5_lllPT8_llli
	.p2align	8
	.type	_ZL30rocblas_trmm_outofplace_kernelIdLi32ELi2ELb0ELb0ELb1ELb1EPKdS0_dEv17rocblas_diagonal_iiT6_lPT7_lllS5_lllPT8_llli,@function
_ZL30rocblas_trmm_outofplace_kernelIdLi32ELi2ELb0ELb0ELb1ELb1EPKdS0_dEv17rocblas_diagonal_iiT6_lPT7_lllS5_lllPT8_llli: ; @_ZL30rocblas_trmm_outofplace_kernelIdLi32ELi2ELb0ELb0ELb1ELb1EPKdS0_dEv17rocblas_diagonal_iiT6_lPT7_lllS5_lllPT8_llli
; %bb.0:
	s_load_b512 s[16:31], s[0:1], 0x10
	s_waitcnt lgkmcnt(0)
	s_mul_i32 s2, s15, s19
	s_mul_hi_u32 s3, s15, s18
	s_delay_alu instid0(SALU_CYCLE_1) | instskip(SKIP_1) | instid1(SALU_CYCLE_1)
	s_add_i32 s3, s3, s2
	s_mul_i32 s2, s15, s18
	s_lshl_b64 s[2:3], s[2:3], 3
	s_delay_alu instid0(SALU_CYCLE_1) | instskip(SKIP_4) | instid1(VALU_DEP_1)
	s_add_u32 s2, s16, s2
	s_addc_u32 s3, s17, s3
	s_load_b64 s[34:35], s[2:3], 0x0
	s_waitcnt lgkmcnt(0)
	v_cmp_eq_f64_e64 s2, s[34:35], 0
	s_and_b32 vcc_lo, exec_lo, s2
	s_cbranch_vccnz .LBB56_66
; %bb.1:
	s_load_b128 s[16:19], s[0:1], 0x0
	s_waitcnt lgkmcnt(0)
	s_add_i32 s2, s18, -1
	s_delay_alu instid0(SALU_CYCLE_1) | instskip(NEXT) | instid1(SALU_CYCLE_1)
	s_ashr_i32 s3, s2, 31
	s_lshr_b32 s3, s3, 27
	s_delay_alu instid0(SALU_CYCLE_1) | instskip(NEXT) | instid1(SALU_CYCLE_1)
	s_add_i32 s2, s2, s3
	s_ashr_i32 s33, s2, 5
	s_delay_alu instid0(SALU_CYCLE_1)
	s_cmp_gt_i32 s14, s33
	s_cbranch_scc1 .LBB56_66
; %bb.2:
	s_clause 0x1
	s_load_b256 s[4:11], s[0:1], 0x50
	s_load_b128 s[36:39], s[0:1], 0x70
	v_and_b32_e32 v3, 0x3ff, v0
	v_bfe_u32 v1, v0, 10, 10
	s_mul_i32 s3, s15, s27
	s_mul_hi_u32 s12, s15, s26
	s_mul_i32 s2, s15, s26
	v_mad_u64_u32 v[6:7], null, v3, s24, 0
	s_add_i32 s3, s12, s3
	s_load_b32 s26, s[0:1], 0x8c
	s_lshl_b64 s[2:3], s[2:3], 3
	v_lshlrev_b32_e32 v34, 8, v1
	s_add_u32 s2, s20, s2
	s_addc_u32 s3, s21, s3
	s_delay_alu instid0(VALU_DEP_2)
	v_mov_b32_e32 v0, v7
	s_lshl_b64 s[0:1], s[22:23], 3
	v_lshl_add_u32 v12, s13, 5, v3
	s_add_u32 s12, s2, s0
	s_addc_u32 s19, s3, s1
	s_waitcnt lgkmcnt(0)
	v_mad_u64_u32 v[9:10], null, v1, s4, 0
	v_mad_u64_u32 v[4:5], null, v3, s25, v[0:1]
	s_mul_i32 s1, s15, s7
	s_mul_hi_u32 s2, s15, s6
	s_mul_i32 s0, s15, s6
	s_add_i32 s1, s2, s1
	s_delay_alu instid0(VALU_DEP_2) | instskip(NEXT) | instid1(VALU_DEP_2)
	v_dual_mov_b32 v0, v10 :: v_dual_mov_b32 v5, 0
	v_mov_b32_e32 v7, v4
	v_ashrrev_i32_e32 v13, 31, v12
	s_lshl_b64 s[0:1], s[0:1], 3
	s_delay_alu instid0(VALU_DEP_3)
	v_mad_u64_u32 v[10:11], null, v1, s5, v[0:1]
	v_mov_b32_e32 v4, v5
	v_lshlrev_b64 v[14:15], 3, v[6:7]
	s_add_u32 s7, s28, s0
	s_addc_u32 s20, s29, s1
	s_lshl_b64 s[0:1], s[30:31], 3
	v_lshlrev_b64 v[7:8], 3, v[12:13]
	s_mul_i32 s3, s15, s39
	s_mul_hi_u32 s6, s15, s38
	s_add_u32 s7, s7, s0
	s_mul_i32 s2, s15, s38
	s_addc_u32 s20, s20, s1
	s_add_i32 s3, s6, s3
	v_add_co_u32 v0, vcc_lo, s12, v14
	s_lshl_b64 s[0:1], s[2:3], 3
	v_add_co_ci_u32_e32 v33, vcc_lo, s19, v15, vcc_lo
	v_lshlrev_b64 v[9:10], 3, v[9:10]
	v_add_co_u32 v6, vcc_lo, s7, v7
	s_add_u32 s2, s8, s0
	s_addc_u32 s3, s9, s1
	s_lshl_b64 s[0:1], s[10:11], 3
	v_add_co_ci_u32_e32 v11, vcc_lo, s20, v8, vcc_lo
	s_add_u32 s15, s2, s0
	s_addc_u32 s27, s3, s1
	v_add_co_u32 v9, vcc_lo, v6, v9
	s_cmpk_eq_i32 s16, 0x84
	v_lshlrev_b32_e32 v6, 3, v3
	v_add_co_ci_u32_e32 v10, vcc_lo, v11, v10, vcc_lo
	s_cselect_b32 s28, -1, 0
	s_ashr_i32 s0, s17, 31
	v_sub_co_u32 v14, vcc_lo, s17, v12
	v_sub_co_ci_u32_e32 v15, vcc_lo, s0, v13, vcc_lo
	v_or_b32_e32 v36, 0x2000, v6
	v_dual_mov_b32 v2, v5 :: v_dual_add_nc_u32 v11, 16, v12
	v_add_nc_u32_e32 v35, v34, v6
	s_delay_alu instid0(VALU_DEP_4)
	v_cmp_gt_i64_e32 vcc_lo, 1, v[14:15]
	v_cmp_gt_i64_e64 s0, 17, v[14:15]
	v_add_nc_u32_e32 v37, v36, v34
	v_cmp_gt_i32_e64 s1, s17, v12
	v_mov_b32_e32 v6, 0x3ff00000
	v_cmp_gt_i32_e64 s2, s17, v11
	v_ashrrev_i32_e32 v12, 31, v11
	s_ashr_i32 s19, s18, 31
	s_lshl_b64 s[10:11], s[24:25], 8
	s_lshl_b64 s[12:13], s[4:5], 8
	;; [unrolled: 1-line block ×4, first 2 shown]
	s_add_u32 s16, s18, -16
	s_addc_u32 s17, s19, -1
	s_lshl_b64 s[22:23], s[4:5], 4
	s_lshl_b64 s[24:25], s[6:7], 3
	s_branch .LBB56_4
.LBB56_3:                               ;   in Loop: Header=BB56_4 Depth=1
	s_or_b32 exec_lo, exec_lo, s4
	s_add_i32 s14, s26, s14
	s_delay_alu instid0(SALU_CYCLE_1)
	s_cmp_le_i32 s14, s33
	s_cbranch_scc0 .LBB56_66
.LBB56_4:                               ; =>This Loop Header: Depth=1
                                        ;     Child Loop BB56_6 Depth 2
                                        ;       Child Loop BB56_55 Depth 3
	s_lshl_b32 s29, s14, 5
	v_mov_b32_e32 v31, 0
	v_dual_mov_b32 v32, 0 :: v_dual_add_nc_u32 v13, s29, v1
	s_delay_alu instid0(VALU_DEP_2) | instskip(SKIP_1) | instid1(VALU_DEP_3)
	v_mov_b32_e32 v29, v31
	v_mov_b32_e32 v21, v31
	v_dual_mov_b32 v15, v31 :: v_dual_mov_b32 v16, v32
	v_mov_b32_e32 v30, v32
	v_mov_b32_e32 v22, v32
	v_ashrrev_i32_e32 v14, 31, v13
	s_cmp_lt_i32 s14, 0
	s_cbranch_scc1 .LBB56_58
; %bb.5:                                ;   in Loop: Header=BB56_4 Depth=1
	s_delay_alu instid0(VALU_DEP_1) | instskip(SKIP_1) | instid1(VALU_DEP_1)
	v_lshlrev_b64 v[19:20], 3, v[13:14]
	v_add_co_u32 v17, s3, v13, 16
	v_add_co_ci_u32_e64 v18, s3, 0, v14, s3
	v_dual_mov_b32 v15, 0 :: v_dual_mov_b32 v24, v4
	v_dual_mov_b32 v16, 0 :: v_dual_mov_b32 v23, v3
	v_add_co_u32 v19, s3, v0, v19
	s_delay_alu instid0(VALU_DEP_1)
	v_add_co_ci_u32_e64 v20, s3, v33, v20, s3
	v_cmp_le_i64_e64 s4, s[18:19], v[17:18]
	v_cmp_le_i32_e64 s3, s18, v13
	v_dual_mov_b32 v22, v16 :: v_dual_mov_b32 v21, v15
	v_dual_mov_b32 v30, v16 :: v_dual_mov_b32 v29, v15
	;; [unrolled: 1-line block ×5, first 2 shown]
	s_mov_b32 s30, 0
.LBB56_6:                               ;   Parent Loop BB56_4 Depth=1
                                        ; =>  This Loop Header: Depth=2
                                        ;       Child Loop BB56_55 Depth 3
	v_cmp_eq_u64_e64 s7, v[23:24], v[13:14]
	v_cmp_gt_i64_e64 s5, v[23:24], v[13:14]
	v_cmp_le_i64_e64 s6, s[18:19], v[23:24]
	s_delay_alu instid0(VALU_DEP_3) | instskip(NEXT) | instid1(VALU_DEP_2)
	s_and_b32 s38, s28, s7
	s_or_b32 s7, s3, s5
	s_delay_alu instid0(SALU_CYCLE_1)
	s_or_b32 s7, s7, s38
	s_delay_alu instid0(VALU_DEP_1) | instid1(SALU_CYCLE_1)
	s_or_b32 s7, s6, s7
	s_delay_alu instid0(SALU_CYCLE_1) | instskip(NEXT) | instid1(SALU_CYCLE_1)
	s_xor_b32 s7, s7, -1
	s_and_saveexec_b32 s8, s7
	s_delay_alu instid0(SALU_CYCLE_1)
	s_xor_b32 s7, exec_lo, s8
	s_cbranch_execz .LBB56_8
; %bb.7:                                ;   in Loop: Header=BB56_6 Depth=2
	global_load_b64 v[38:39], v[19:20], off
	s_waitcnt vmcnt(0)
	ds_store_b64 v35, v[38:39]
.LBB56_8:                               ;   in Loop: Header=BB56_6 Depth=2
	s_or_saveexec_b32 s7, s7
	s_xor_b32 s31, s38, -1
	s_xor_b32 exec_lo, exec_lo, s7
	s_cbranch_execz .LBB56_14
; %bb.9:                                ;   in Loop: Header=BB56_6 Depth=2
	s_and_saveexec_b32 s8, s31
	s_delay_alu instid0(SALU_CYCLE_1)
	s_xor_b32 s8, exec_lo, s8
	s_cbranch_execz .LBB56_11
; %bb.10:                               ;   in Loop: Header=BB56_6 Depth=2
	v_mov_b32_e32 v38, v5
	v_mov_b32_e32 v39, v5
	ds_store_b64 v35, v[38:39]
.LBB56_11:                              ;   in Loop: Header=BB56_6 Depth=2
	s_and_not1_saveexec_b32 s8, s8
	s_cbranch_execz .LBB56_13
; %bb.12:                               ;   in Loop: Header=BB56_6 Depth=2
	ds_store_b64 v35, v[5:6]
.LBB56_13:                              ;   in Loop: Header=BB56_6 Depth=2
	s_or_b32 exec_lo, exec_lo, s8
.LBB56_14:                              ;   in Loop: Header=BB56_6 Depth=2
	s_delay_alu instid0(SALU_CYCLE_1) | instskip(SKIP_1) | instid1(VALU_DEP_1)
	s_or_b32 exec_lo, exec_lo, s7
	v_add_co_u32 v38, s7, v23, 16
	v_add_co_ci_u32_e64 v39, s7, 0, v24, s7
	s_delay_alu instid0(VALU_DEP_1) | instskip(SKIP_2) | instid1(VALU_DEP_3)
	v_cmp_eq_u64_e64 s8, v[38:39], v[13:14]
	v_cmp_gt_i64_e64 s9, v[38:39], v[13:14]
	v_cmp_le_i64_e64 s7, s[18:19], v[38:39]
	s_and_b32 s39, s28, s8
	s_delay_alu instid0(VALU_DEP_2) | instskip(NEXT) | instid1(SALU_CYCLE_1)
	s_or_b32 s8, s3, s9
	s_or_b32 s8, s8, s39
	s_delay_alu instid0(VALU_DEP_1) | instid1(SALU_CYCLE_1)
	s_or_b32 s8, s7, s8
	s_delay_alu instid0(SALU_CYCLE_1) | instskip(NEXT) | instid1(SALU_CYCLE_1)
	s_xor_b32 s8, s8, -1
	s_and_saveexec_b32 s9, s8
	s_delay_alu instid0(SALU_CYCLE_1)
	s_xor_b32 s9, exec_lo, s9
	s_cbranch_execz .LBB56_16
; %bb.15:                               ;   in Loop: Header=BB56_6 Depth=2
	v_add_co_u32 v38, s8, v19, s20
	s_delay_alu instid0(VALU_DEP_1)
	v_add_co_ci_u32_e64 v39, s8, s21, v20, s8
	global_load_b64 v[38:39], v[38:39], off
	s_waitcnt vmcnt(0)
	ds_store_b64 v35, v[38:39] offset:128
.LBB56_16:                              ;   in Loop: Header=BB56_6 Depth=2
	s_and_not1_saveexec_b32 s8, s9
	s_cbranch_execz .LBB56_22
; %bb.17:                               ;   in Loop: Header=BB56_6 Depth=2
	s_xor_b32 s9, s39, -1
	s_delay_alu instid0(SALU_CYCLE_1) | instskip(NEXT) | instid1(SALU_CYCLE_1)
	s_and_saveexec_b32 s39, s9
	s_xor_b32 s9, exec_lo, s39
	s_cbranch_execz .LBB56_19
; %bb.18:                               ;   in Loop: Header=BB56_6 Depth=2
	v_mov_b32_e32 v38, v5
	v_mov_b32_e32 v39, v5
	ds_store_b64 v35, v[38:39] offset:128
.LBB56_19:                              ;   in Loop: Header=BB56_6 Depth=2
	s_and_not1_saveexec_b32 s9, s9
	s_cbranch_execz .LBB56_21
; %bb.20:                               ;   in Loop: Header=BB56_6 Depth=2
	ds_store_b64 v35, v[5:6] offset:128
.LBB56_21:                              ;   in Loop: Header=BB56_6 Depth=2
	s_or_b32 exec_lo, exec_lo, s9
.LBB56_22:                              ;   in Loop: Header=BB56_6 Depth=2
	s_delay_alu instid0(SALU_CYCLE_1) | instskip(SKIP_2) | instid1(VALU_DEP_2)
	s_or_b32 exec_lo, exec_lo, s8
	v_cmp_eq_u64_e64 s8, v[23:24], v[17:18]
	v_cmp_gt_i64_e64 s9, v[23:24], v[17:18]
	s_and_b32 s8, s28, s8
	s_delay_alu instid0(VALU_DEP_1) | instskip(NEXT) | instid1(SALU_CYCLE_1)
	s_or_b32 s9, s4, s9
	s_or_b32 s9, s9, s8
	s_delay_alu instid0(SALU_CYCLE_1) | instskip(NEXT) | instid1(SALU_CYCLE_1)
	s_or_b32 s6, s6, s9
	s_xor_b32 s6, s6, -1
	s_delay_alu instid0(SALU_CYCLE_1) | instskip(NEXT) | instid1(SALU_CYCLE_1)
	s_and_saveexec_b32 s9, s6
	s_xor_b32 s6, exec_lo, s9
	s_cbranch_execz .LBB56_24
; %bb.23:                               ;   in Loop: Header=BB56_6 Depth=2
	global_load_b64 v[38:39], v[19:20], off offset:128
	s_waitcnt vmcnt(0)
	ds_store_b64 v35, v[38:39] offset:4096
.LBB56_24:                              ;   in Loop: Header=BB56_6 Depth=2
	s_and_not1_saveexec_b32 s6, s6
	s_cbranch_execz .LBB56_30
; %bb.25:                               ;   in Loop: Header=BB56_6 Depth=2
	s_xor_b32 s8, s8, -1
	s_delay_alu instid0(SALU_CYCLE_1) | instskip(NEXT) | instid1(SALU_CYCLE_1)
	s_and_saveexec_b32 s9, s8
	s_xor_b32 s8, exec_lo, s9
	s_cbranch_execz .LBB56_27
; %bb.26:                               ;   in Loop: Header=BB56_6 Depth=2
	v_mov_b32_e32 v38, v5
	v_mov_b32_e32 v39, v5
	ds_store_b64 v35, v[38:39] offset:4096
.LBB56_27:                              ;   in Loop: Header=BB56_6 Depth=2
	s_and_not1_saveexec_b32 s8, s8
	s_cbranch_execz .LBB56_29
; %bb.28:                               ;   in Loop: Header=BB56_6 Depth=2
	ds_store_b64 v35, v[5:6] offset:4096
.LBB56_29:                              ;   in Loop: Header=BB56_6 Depth=2
	s_or_b32 exec_lo, exec_lo, s8
.LBB56_30:                              ;   in Loop: Header=BB56_6 Depth=2
	s_delay_alu instid0(SALU_CYCLE_1) | instskip(SKIP_1) | instid1(SALU_CYCLE_1)
	s_or_b32 exec_lo, exec_lo, s6
	s_or_b32 s5, s4, s5
	s_or_b32 s5, s5, s38
	s_delay_alu instid0(SALU_CYCLE_1) | instskip(NEXT) | instid1(SALU_CYCLE_1)
	s_or_b32 s5, s7, s5
	s_xor_b32 s5, s5, -1
	s_delay_alu instid0(SALU_CYCLE_1) | instskip(NEXT) | instid1(SALU_CYCLE_1)
	s_and_saveexec_b32 s6, s5
	s_xor_b32 s6, exec_lo, s6
	s_cbranch_execz .LBB56_32
; %bb.31:                               ;   in Loop: Header=BB56_6 Depth=2
	v_add_co_u32 v38, s5, v19, s24
	s_delay_alu instid0(VALU_DEP_1)
	v_add_co_ci_u32_e64 v39, s5, s25, v20, s5
	global_load_b64 v[38:39], v[38:39], off offset:128
	s_waitcnt vmcnt(0)
	ds_store_b64 v35, v[38:39] offset:4224
.LBB56_32:                              ;   in Loop: Header=BB56_6 Depth=2
	s_and_not1_saveexec_b32 s5, s6
	s_cbranch_execz .LBB56_38
; %bb.33:                               ;   in Loop: Header=BB56_6 Depth=2
	s_and_saveexec_b32 s6, s31
	s_delay_alu instid0(SALU_CYCLE_1)
	s_xor_b32 s6, exec_lo, s6
	s_cbranch_execz .LBB56_35
; %bb.34:                               ;   in Loop: Header=BB56_6 Depth=2
	v_mov_b32_e32 v38, v5
	v_mov_b32_e32 v39, v5
	ds_store_b64 v35, v[38:39] offset:4224
.LBB56_35:                              ;   in Loop: Header=BB56_6 Depth=2
	s_and_not1_saveexec_b32 s6, s6
	s_cbranch_execz .LBB56_37
; %bb.36:                               ;   in Loop: Header=BB56_6 Depth=2
	ds_store_b64 v35, v[5:6] offset:4224
.LBB56_37:                              ;   in Loop: Header=BB56_6 Depth=2
	s_or_b32 exec_lo, exec_lo, s6
.LBB56_38:                              ;   in Loop: Header=BB56_6 Depth=2
	s_delay_alu instid0(SALU_CYCLE_1) | instskip(SKIP_1) | instid1(VALU_DEP_1)
	s_or_b32 exec_lo, exec_lo, s5
	v_cmp_le_i64_e64 s5, s[18:19], v[25:26]
	s_or_b32 s6, s5, vcc_lo
	s_delay_alu instid0(SALU_CYCLE_1) | instskip(NEXT) | instid1(SALU_CYCLE_1)
	s_xor_b32 s6, s6, -1
	s_and_saveexec_b32 s7, s6
	s_delay_alu instid0(SALU_CYCLE_1)
	s_xor_b32 s6, exec_lo, s7
	s_cbranch_execz .LBB56_40
; %bb.39:                               ;   in Loop: Header=BB56_6 Depth=2
	global_load_b64 v[38:39], v[27:28], off
	s_waitcnt vmcnt(0)
	ds_store_b64 v37, v[38:39]
.LBB56_40:                              ;   in Loop: Header=BB56_6 Depth=2
	s_and_not1_saveexec_b32 s6, s6
	s_cbranch_execz .LBB56_42
; %bb.41:                               ;   in Loop: Header=BB56_6 Depth=2
	v_mov_b32_e32 v38, v5
	v_mov_b32_e32 v39, v5
	ds_store_b64 v37, v[38:39]
.LBB56_42:                              ;   in Loop: Header=BB56_6 Depth=2
	s_or_b32 exec_lo, exec_lo, s6
	s_or_b32 s5, s5, s0
	s_delay_alu instid0(SALU_CYCLE_1) | instskip(NEXT) | instid1(SALU_CYCLE_1)
	s_xor_b32 s5, s5, -1
	s_and_saveexec_b32 s6, s5
	s_delay_alu instid0(SALU_CYCLE_1)
	s_xor_b32 s5, exec_lo, s6
	s_cbranch_execz .LBB56_44
; %bb.43:                               ;   in Loop: Header=BB56_6 Depth=2
	global_load_b64 v[38:39], v[27:28], off offset:128
	s_waitcnt vmcnt(0)
	ds_store_b64 v37, v[38:39] offset:128
.LBB56_44:                              ;   in Loop: Header=BB56_6 Depth=2
	s_and_not1_saveexec_b32 s5, s5
	s_cbranch_execz .LBB56_46
; %bb.45:                               ;   in Loop: Header=BB56_6 Depth=2
	v_mov_b32_e32 v38, v5
	v_mov_b32_e32 v39, v5
	ds_store_b64 v37, v[38:39] offset:128
.LBB56_46:                              ;   in Loop: Header=BB56_6 Depth=2
	s_or_b32 exec_lo, exec_lo, s5
	v_cmp_le_i64_e64 s5, s[16:17], v[25:26]
	s_delay_alu instid0(VALU_DEP_1) | instskip(NEXT) | instid1(SALU_CYCLE_1)
	s_or_b32 s6, s5, vcc_lo
	s_xor_b32 s6, s6, -1
	s_delay_alu instid0(SALU_CYCLE_1) | instskip(NEXT) | instid1(SALU_CYCLE_1)
	s_and_saveexec_b32 s7, s6
	s_xor_b32 s7, exec_lo, s7
	s_cbranch_execz .LBB56_48
; %bb.47:                               ;   in Loop: Header=BB56_6 Depth=2
	s_lshl_b64 s[8:9], s[22:23], 3
	s_delay_alu instid0(SALU_CYCLE_1) | instskip(NEXT) | instid1(VALU_DEP_1)
	v_add_co_u32 v38, s6, v27, s8
	v_add_co_ci_u32_e64 v39, s6, s9, v28, s6
	global_load_b64 v[38:39], v[38:39], off
	s_waitcnt vmcnt(0)
	ds_store_b64 v37, v[38:39] offset:4096
.LBB56_48:                              ;   in Loop: Header=BB56_6 Depth=2
	s_and_not1_saveexec_b32 s6, s7
	s_cbranch_execz .LBB56_50
; %bb.49:                               ;   in Loop: Header=BB56_6 Depth=2
	v_mov_b32_e32 v38, v5
	v_mov_b32_e32 v39, v5
	ds_store_b64 v37, v[38:39] offset:4096
.LBB56_50:                              ;   in Loop: Header=BB56_6 Depth=2
	s_or_b32 exec_lo, exec_lo, s6
	s_or_b32 s5, s5, s0
	s_delay_alu instid0(SALU_CYCLE_1) | instskip(NEXT) | instid1(SALU_CYCLE_1)
	s_xor_b32 s5, s5, -1
	s_and_saveexec_b32 s6, s5
	s_delay_alu instid0(SALU_CYCLE_1)
	s_xor_b32 s6, exec_lo, s6
	s_cbranch_execz .LBB56_52
; %bb.51:                               ;   in Loop: Header=BB56_6 Depth=2
	s_lshl_b64 s[8:9], s[22:23], 3
	s_delay_alu instid0(SALU_CYCLE_1) | instskip(NEXT) | instid1(VALU_DEP_1)
	v_add_co_u32 v38, s5, v27, s8
	v_add_co_ci_u32_e64 v39, s5, s9, v28, s5
	global_load_b64 v[38:39], v[38:39], off offset:128
	s_waitcnt vmcnt(0)
	ds_store_b64 v37, v[38:39] offset:4224
.LBB56_52:                              ;   in Loop: Header=BB56_6 Depth=2
	s_and_not1_saveexec_b32 s5, s6
	s_cbranch_execz .LBB56_54
; %bb.53:                               ;   in Loop: Header=BB56_6 Depth=2
	v_mov_b32_e32 v38, v5
	v_mov_b32_e32 v39, v5
	ds_store_b64 v37, v[38:39] offset:4224
.LBB56_54:                              ;   in Loop: Header=BB56_6 Depth=2
	s_or_b32 exec_lo, exec_lo, s5
	v_mov_b32_e32 v38, v36
	s_mov_b32 s5, 0
	s_waitcnt lgkmcnt(0)
	s_waitcnt_vscnt null, 0x0
	s_barrier
	buffer_gl0_inv
.LBB56_55:                              ;   Parent Loop BB56_4 Depth=1
                                        ;     Parent Loop BB56_6 Depth=2
                                        ; =>    This Inner Loop Header: Depth=3
	v_add_nc_u32_e32 v61, s5, v34
	s_add_i32 s5, s5, 64
	ds_load_2addr_b64 v[39:42], v38 offset1:16
	ds_load_b128 v[43:46], v61
	ds_load_b128 v[47:50], v61 offset:4096
	ds_load_b128 v[51:54], v61 offset:16
	;; [unrolled: 1-line block ×3, first 2 shown]
	s_cmpk_lg_i32 s5, 0x100
	s_waitcnt lgkmcnt(3)
	v_fma_f64 v[59:60], v[39:40], v[43:44], v[31:32]
	v_fma_f64 v[43:44], v[41:42], v[43:44], v[29:30]
	s_waitcnt lgkmcnt(2)
	v_fma_f64 v[21:22], v[39:40], v[47:48], v[21:22]
	v_fma_f64 v[15:16], v[41:42], v[47:48], v[15:16]
	ds_load_2addr_b64 v[29:32], v38 offset0:32 offset1:48
	s_waitcnt lgkmcnt(0)
	v_fma_f64 v[39:40], v[29:30], v[45:46], v[59:60]
	v_fma_f64 v[41:42], v[31:32], v[45:46], v[43:44]
	v_fma_f64 v[21:22], v[29:30], v[49:50], v[21:22]
	v_fma_f64 v[15:16], v[31:32], v[49:50], v[15:16]
	ds_load_2addr_b64 v[29:32], v38 offset0:64 offset1:80
	s_waitcnt lgkmcnt(0)
	v_fma_f64 v[39:40], v[29:30], v[51:52], v[39:40]
	v_fma_f64 v[41:42], v[31:32], v[51:52], v[41:42]
	;; [unrolled: 6-line block ×3, first 2 shown]
	v_fma_f64 v[21:22], v[29:30], v[57:58], v[21:22]
	v_fma_f64 v[15:16], v[31:32], v[57:58], v[15:16]
	ds_load_2addr_b64 v[29:32], v38 offset0:128 offset1:144
	ds_load_b128 v[39:42], v61 offset:32
	ds_load_b128 v[43:46], v61 offset:4128
	;; [unrolled: 1-line block ×4, first 2 shown]
	s_waitcnt lgkmcnt(3)
	v_fma_f64 v[55:56], v[29:30], v[39:40], v[55:56]
	v_fma_f64 v[39:40], v[31:32], v[39:40], v[59:60]
	s_waitcnt lgkmcnt(2)
	v_fma_f64 v[21:22], v[29:30], v[43:44], v[21:22]
	v_fma_f64 v[15:16], v[31:32], v[43:44], v[15:16]
	ds_load_2addr_b64 v[29:32], v38 offset0:160 offset1:176
	s_waitcnt lgkmcnt(0)
	v_fma_f64 v[43:44], v[29:30], v[41:42], v[55:56]
	v_fma_f64 v[39:40], v[31:32], v[41:42], v[39:40]
	;; [unrolled: 1-line block ×4, first 2 shown]
	ds_load_2addr_b64 v[29:32], v38 offset0:192 offset1:208
	s_waitcnt lgkmcnt(0)
	v_fma_f64 v[43:44], v[29:30], v[47:48], v[43:44]
	v_fma_f64 v[45:46], v[31:32], v[47:48], v[39:40]
	;; [unrolled: 1-line block ×4, first 2 shown]
	ds_load_2addr_b64 v[39:42], v38 offset0:224 offset1:240
	v_add_nc_u32_e32 v38, 0x800, v38
	s_waitcnt lgkmcnt(0)
	v_fma_f64 v[31:32], v[39:40], v[49:50], v[43:44]
	v_fma_f64 v[29:30], v[41:42], v[49:50], v[45:46]
	;; [unrolled: 1-line block ×4, first 2 shown]
	s_cbranch_scc1 .LBB56_55
; %bb.56:                               ;   in Loop: Header=BB56_6 Depth=2
	v_add_co_u32 v19, s5, v19, s10
	s_delay_alu instid0(VALU_DEP_1) | instskip(SKIP_1) | instid1(VALU_DEP_1)
	v_add_co_ci_u32_e64 v20, s5, s11, v20, s5
	v_add_co_u32 v23, s5, v23, 32
	v_add_co_ci_u32_e64 v24, s5, 0, v24, s5
	v_add_co_u32 v27, s5, v27, s12
	s_delay_alu instid0(VALU_DEP_1) | instskip(SKIP_1) | instid1(VALU_DEP_1)
	v_add_co_ci_u32_e64 v28, s5, s13, v28, s5
	v_add_co_u32 v25, s5, v25, 32
	v_add_co_ci_u32_e64 v26, s5, 0, v26, s5
	s_add_i32 s5, s30, 32
	s_cmp_ge_i32 s30, s29
	s_barrier
	buffer_gl0_inv
	s_cbranch_scc1 .LBB56_58
; %bb.57:                               ;   in Loop: Header=BB56_6 Depth=2
	s_mov_b32 s30, s5
	s_branch .LBB56_6
.LBB56_58:                              ;   in Loop: Header=BB56_4 Depth=1
	s_delay_alu instid0(VALU_DEP_1) | instskip(SKIP_3) | instid1(VALU_DEP_2)
	v_mul_lo_u32 v14, v14, s36
	v_mul_lo_u32 v19, v13, s37
	v_mad_u64_u32 v[17:18], null, v13, s36, 0
	v_cmp_gt_i32_e64 s3, s18, v13
	v_add3_u32 v18, v18, v19, v14
	s_delay_alu instid0(VALU_DEP_1) | instskip(NEXT) | instid1(VALU_DEP_1)
	v_lshlrev_b64 v[17:18], 3, v[17:18]
	v_add_co_u32 v14, s4, s15, v17
	s_delay_alu instid0(VALU_DEP_1) | instskip(SKIP_1) | instid1(SALU_CYCLE_1)
	v_add_co_ci_u32_e64 v17, s4, s27, v18, s4
	s_and_b32 s4, s1, s3
	s_and_saveexec_b32 s5, s4
	s_cbranch_execz .LBB56_60
; %bb.59:                               ;   in Loop: Header=BB56_4 Depth=1
	v_add_co_u32 v18, s4, v14, v7
	s_delay_alu instid0(VALU_DEP_1)
	v_add_co_ci_u32_e64 v19, s4, v17, v8, s4
	global_load_b64 v[23:24], v[18:19], off
	s_waitcnt vmcnt(0)
	v_fma_f64 v[23:24], s[34:35], v[31:32], v[23:24]
	global_store_b64 v[18:19], v[23:24], off
.LBB56_60:                              ;   in Loop: Header=BB56_4 Depth=1
	s_or_b32 exec_lo, exec_lo, s5
	s_and_b32 s3, s2, s3
	s_delay_alu instid0(SALU_CYCLE_1)
	s_and_saveexec_b32 s4, s3
	s_cbranch_execz .LBB56_62
; %bb.61:                               ;   in Loop: Header=BB56_4 Depth=1
	v_lshlrev_b64 v[18:19], 3, v[11:12]
	s_delay_alu instid0(VALU_DEP_1) | instskip(NEXT) | instid1(VALU_DEP_1)
	v_add_co_u32 v18, s3, v14, v18
	v_add_co_ci_u32_e64 v19, s3, v17, v19, s3
	global_load_b64 v[23:24], v[18:19], off
	s_waitcnt vmcnt(0)
	v_fma_f64 v[23:24], s[34:35], v[29:30], v[23:24]
	global_store_b64 v[18:19], v[23:24], off
.LBB56_62:                              ;   in Loop: Header=BB56_4 Depth=1
	s_or_b32 exec_lo, exec_lo, s4
	v_add_nc_u32_e32 v17, 16, v13
	s_delay_alu instid0(VALU_DEP_1) | instskip(SKIP_3) | instid1(VALU_DEP_4)
	v_ashrrev_i32_e32 v18, 31, v17
	v_mul_lo_u32 v19, v17, s37
	v_mad_u64_u32 v[13:14], null, v17, s36, 0
	v_cmp_gt_i32_e64 s3, s18, v17
	v_mul_lo_u32 v18, v18, s36
	s_delay_alu instid0(VALU_DEP_1) | instskip(NEXT) | instid1(VALU_DEP_1)
	v_add3_u32 v14, v14, v19, v18
	v_lshlrev_b64 v[13:14], 3, v[13:14]
	s_delay_alu instid0(VALU_DEP_1) | instskip(NEXT) | instid1(VALU_DEP_1)
	v_add_co_u32 v13, s4, s15, v13
	v_add_co_ci_u32_e64 v14, s4, s27, v14, s4
	s_and_b32 s4, s1, s3
	s_delay_alu instid0(SALU_CYCLE_1)
	s_and_saveexec_b32 s5, s4
	s_cbranch_execnz .LBB56_64
; %bb.63:                               ;   in Loop: Header=BB56_4 Depth=1
	s_or_b32 exec_lo, exec_lo, s5
	s_and_b32 s3, s2, s3
	s_delay_alu instid0(SALU_CYCLE_1)
	s_and_saveexec_b32 s4, s3
	s_cbranch_execz .LBB56_3
	s_branch .LBB56_65
.LBB56_64:                              ;   in Loop: Header=BB56_4 Depth=1
	v_add_co_u32 v17, s4, v13, v7
	s_delay_alu instid0(VALU_DEP_1)
	v_add_co_ci_u32_e64 v18, s4, v14, v8, s4
	global_load_b64 v[19:20], v[17:18], off
	s_waitcnt vmcnt(0)
	v_fma_f64 v[19:20], s[34:35], v[21:22], v[19:20]
	global_store_b64 v[17:18], v[19:20], off
	s_or_b32 exec_lo, exec_lo, s5
	s_and_b32 s3, s2, s3
	s_delay_alu instid0(SALU_CYCLE_1)
	s_and_saveexec_b32 s4, s3
	s_cbranch_execz .LBB56_3
.LBB56_65:                              ;   in Loop: Header=BB56_4 Depth=1
	v_lshlrev_b64 v[17:18], 3, v[11:12]
	s_delay_alu instid0(VALU_DEP_1) | instskip(NEXT) | instid1(VALU_DEP_1)
	v_add_co_u32 v13, s3, v13, v17
	v_add_co_ci_u32_e64 v14, s3, v14, v18, s3
	global_load_b64 v[17:18], v[13:14], off
	s_waitcnt vmcnt(0)
	v_fma_f64 v[15:16], s[34:35], v[15:16], v[17:18]
	global_store_b64 v[13:14], v[15:16], off
	s_branch .LBB56_3
.LBB56_66:
	s_nop 0
	s_sendmsg sendmsg(MSG_DEALLOC_VGPRS)
	s_endpgm
	.section	.rodata,"a",@progbits
	.p2align	6, 0x0
	.amdhsa_kernel _ZL30rocblas_trmm_outofplace_kernelIdLi32ELi2ELb0ELb0ELb1ELb1EPKdS0_dEv17rocblas_diagonal_iiT6_lPT7_lllS5_lllPT8_llli
		.amdhsa_group_segment_fixed_size 16384
		.amdhsa_private_segment_fixed_size 0
		.amdhsa_kernarg_size 392
		.amdhsa_user_sgpr_count 13
		.amdhsa_user_sgpr_dispatch_ptr 0
		.amdhsa_user_sgpr_queue_ptr 0
		.amdhsa_user_sgpr_kernarg_segment_ptr 1
		.amdhsa_user_sgpr_dispatch_id 0
		.amdhsa_user_sgpr_private_segment_size 0
		.amdhsa_wavefront_size32 1
		.amdhsa_uses_dynamic_stack 0
		.amdhsa_enable_private_segment 0
		.amdhsa_system_sgpr_workgroup_id_x 1
		.amdhsa_system_sgpr_workgroup_id_y 1
		.amdhsa_system_sgpr_workgroup_id_z 1
		.amdhsa_system_sgpr_workgroup_info 0
		.amdhsa_system_vgpr_workitem_id 1
		.amdhsa_next_free_vgpr 62
		.amdhsa_next_free_sgpr 40
		.amdhsa_reserve_vcc 1
		.amdhsa_float_round_mode_32 0
		.amdhsa_float_round_mode_16_64 0
		.amdhsa_float_denorm_mode_32 3
		.amdhsa_float_denorm_mode_16_64 3
		.amdhsa_dx10_clamp 1
		.amdhsa_ieee_mode 1
		.amdhsa_fp16_overflow 0
		.amdhsa_workgroup_processor_mode 1
		.amdhsa_memory_ordered 1
		.amdhsa_forward_progress 0
		.amdhsa_shared_vgpr_count 0
		.amdhsa_exception_fp_ieee_invalid_op 0
		.amdhsa_exception_fp_denorm_src 0
		.amdhsa_exception_fp_ieee_div_zero 0
		.amdhsa_exception_fp_ieee_overflow 0
		.amdhsa_exception_fp_ieee_underflow 0
		.amdhsa_exception_fp_ieee_inexact 0
		.amdhsa_exception_int_div_zero 0
	.end_amdhsa_kernel
	.section	.text._ZL30rocblas_trmm_outofplace_kernelIdLi32ELi2ELb0ELb0ELb1ELb1EPKdS0_dEv17rocblas_diagonal_iiT6_lPT7_lllS5_lllPT8_llli,"axG",@progbits,_ZL30rocblas_trmm_outofplace_kernelIdLi32ELi2ELb0ELb0ELb1ELb1EPKdS0_dEv17rocblas_diagonal_iiT6_lPT7_lllS5_lllPT8_llli,comdat
.Lfunc_end56:
	.size	_ZL30rocblas_trmm_outofplace_kernelIdLi32ELi2ELb0ELb0ELb1ELb1EPKdS0_dEv17rocblas_diagonal_iiT6_lPT7_lllS5_lllPT8_llli, .Lfunc_end56-_ZL30rocblas_trmm_outofplace_kernelIdLi32ELi2ELb0ELb0ELb1ELb1EPKdS0_dEv17rocblas_diagonal_iiT6_lPT7_lllS5_lllPT8_llli
                                        ; -- End function
	.section	.AMDGPU.csdata,"",@progbits
; Kernel info:
; codeLenInByte = 2872
; NumSgprs: 42
; NumVgprs: 62
; ScratchSize: 0
; MemoryBound: 1
; FloatMode: 240
; IeeeMode: 1
; LDSByteSize: 16384 bytes/workgroup (compile time only)
; SGPRBlocks: 5
; VGPRBlocks: 7
; NumSGPRsForWavesPerEU: 42
; NumVGPRsForWavesPerEU: 62
; Occupancy: 16
; WaveLimiterHint : 0
; COMPUTE_PGM_RSRC2:SCRATCH_EN: 0
; COMPUTE_PGM_RSRC2:USER_SGPR: 13
; COMPUTE_PGM_RSRC2:TRAP_HANDLER: 0
; COMPUTE_PGM_RSRC2:TGID_X_EN: 1
; COMPUTE_PGM_RSRC2:TGID_Y_EN: 1
; COMPUTE_PGM_RSRC2:TGID_Z_EN: 1
; COMPUTE_PGM_RSRC2:TIDIG_COMP_CNT: 1
	.section	.text._ZL30rocblas_trmm_outofplace_kernelIdLi32ELi2ELb0ELb0ELb1ELb1EdKddEv17rocblas_diagonal_iiT6_lPT7_lllS4_lllPT8_llli,"axG",@progbits,_ZL30rocblas_trmm_outofplace_kernelIdLi32ELi2ELb0ELb0ELb1ELb1EdKddEv17rocblas_diagonal_iiT6_lPT7_lllS4_lllPT8_llli,comdat
	.globl	_ZL30rocblas_trmm_outofplace_kernelIdLi32ELi2ELb0ELb0ELb1ELb1EdKddEv17rocblas_diagonal_iiT6_lPT7_lllS4_lllPT8_llli ; -- Begin function _ZL30rocblas_trmm_outofplace_kernelIdLi32ELi2ELb0ELb0ELb1ELb1EdKddEv17rocblas_diagonal_iiT6_lPT7_lllS4_lllPT8_llli
	.p2align	8
	.type	_ZL30rocblas_trmm_outofplace_kernelIdLi32ELi2ELb0ELb0ELb1ELb1EdKddEv17rocblas_diagonal_iiT6_lPT7_lllS4_lllPT8_llli,@function
_ZL30rocblas_trmm_outofplace_kernelIdLi32ELi2ELb0ELb0ELb1ELb1EdKddEv17rocblas_diagonal_iiT6_lPT7_lllS4_lllPT8_llli: ; @_ZL30rocblas_trmm_outofplace_kernelIdLi32ELi2ELb0ELb0ELb1ELb1EdKddEv17rocblas_diagonal_iiT6_lPT7_lllS4_lllPT8_llli
; %bb.0:
	s_load_b64 s[34:35], s[0:1], 0x10
	s_waitcnt lgkmcnt(0)
	v_cmp_eq_f64_e64 s2, s[34:35], 0
	s_delay_alu instid0(VALU_DEP_1)
	s_and_b32 vcc_lo, exec_lo, s2
	s_cbranch_vccnz .LBB57_66
; %bb.1:
	s_load_b128 s[8:11], s[0:1], 0x0
	s_waitcnt lgkmcnt(0)
	s_add_i32 s2, s10, -1
	s_delay_alu instid0(SALU_CYCLE_1) | instskip(NEXT) | instid1(SALU_CYCLE_1)
	s_ashr_i32 s3, s2, 31
	s_lshr_b32 s3, s3, 27
	s_delay_alu instid0(SALU_CYCLE_1) | instskip(NEXT) | instid1(SALU_CYCLE_1)
	s_add_i32 s2, s2, s3
	s_ashr_i32 s33, s2, 5
	s_delay_alu instid0(SALU_CYCLE_1)
	s_cmp_gt_i32 s14, s33
	s_cbranch_scc1 .LBB57_66
; %bb.2:
	s_clause 0x1
	s_load_b512 s[16:31], s[0:1], 0x20
	s_load_b256 s[36:43], s[0:1], 0x60
	v_and_b32_e32 v1, 0x3ff, v0
	v_bfe_u32 v3, v0, 10, 10
	s_delay_alu instid0(VALU_DEP_1) | instskip(SKIP_1) | instid1(VALU_DEP_3)
	v_lshlrev_b32_e32 v34, 8, v3
	s_waitcnt lgkmcnt(0)
	v_mad_u64_u32 v[6:7], null, v1, s20, 0
	v_mad_u64_u32 v[9:10], null, v3, s28, 0
	s_mul_i32 s3, s15, s23
	s_mul_hi_u32 s5, s15, s22
	s_mul_i32 s2, s15, s22
	s_add_i32 s3, s5, s3
	s_delay_alu instid0(VALU_DEP_2)
	v_mov_b32_e32 v0, v7
	s_lshl_b64 s[2:3], s[2:3], 3
	v_lshl_add_u32 v12, s13, 5, v1
	s_add_u32 s5, s16, s2
	v_mov_b32_e32 v5, 0
	v_mad_u64_u32 v[7:8], null, v1, s21, v[0:1]
	v_mov_b32_e32 v0, v10
	s_addc_u32 s13, s17, s3
	s_lshl_b64 s[2:3], s[18:19], 3
	s_mul_i32 s6, s15, s31
	s_mul_hi_u32 s7, s15, s30
	s_add_u32 s16, s5, s2
	s_mul_i32 s4, s15, s30
	s_addc_u32 s13, s13, s3
	s_add_i32 s5, s7, s6
	v_ashrrev_i32_e32 v13, 31, v12
	s_lshl_b64 s[2:3], s[4:5], 3
	v_mad_u64_u32 v[10:11], null, v3, s29, v[0:1]
	v_lshlrev_b64 v[14:15], 3, v[6:7]
	s_add_u32 s5, s24, s2
	s_addc_u32 s6, s25, s3
	s_lshl_b64 s[2:3], s[26:27], 3
	v_lshlrev_b64 v[7:8], 3, v[12:13]
	s_mul_i32 s11, s15, s43
	s_mul_hi_u32 s12, s15, s42
	s_add_u32 s7, s5, s2
	s_mul_i32 s4, s15, s42
	s_addc_u32 s6, s6, s3
	s_add_i32 s5, s12, s11
	v_add_co_u32 v0, vcc_lo, s16, v14
	s_lshl_b64 s[2:3], s[4:5], 3
	v_add_co_ci_u32_e32 v33, vcc_lo, s13, v15, vcc_lo
	v_lshlrev_b64 v[9:10], 3, v[9:10]
	v_add_co_u32 v6, vcc_lo, s7, v7
	s_add_u32 s4, s36, s2
	s_load_b32 s30, s[0:1], 0x8c
	s_addc_u32 s5, s37, s3
	s_lshl_b64 s[2:3], s[38:39], 3
	v_add_co_ci_u32_e32 v11, vcc_lo, s6, v8, vcc_lo
	s_add_u32 s15, s4, s2
	s_addc_u32 s26, s5, s3
	v_add_co_u32 v9, vcc_lo, v6, v9
	s_cmpk_eq_i32 s8, 0x84
	v_lshlrev_b32_e32 v6, 3, v1
	v_add_co_ci_u32_e32 v10, vcc_lo, v11, v10, vcc_lo
	s_cselect_b32 s27, -1, 0
	s_ashr_i32 s2, s9, 31
	v_sub_co_u32 v14, vcc_lo, s9, v12
	v_sub_co_ci_u32_e32 v15, vcc_lo, s2, v13, vcc_lo
	v_dual_mov_b32 v4, v5 :: v_dual_add_nc_u32 v11, 16, v12
	v_or_b32_e32 v36, 0x2000, v6
	s_delay_alu instid0(VALU_DEP_3) | instskip(SKIP_2) | instid1(VALU_DEP_4)
	v_cmp_gt_i64_e32 vcc_lo, 1, v[14:15]
	v_cmp_gt_i64_e64 s0, 17, v[14:15]
	v_dual_mov_b32 v2, v5 :: v_dual_add_nc_u32 v35, v34, v6
	v_dual_mov_b32 v6, 0x3ff00000 :: v_dual_add_nc_u32 v37, v36, v34
	v_cmp_gt_i32_e64 s1, s9, v12
	v_cmp_gt_i32_e64 s2, s9, v11
	v_ashrrev_i32_e32 v12, 31, v11
	s_ashr_i32 s11, s10, 31
	s_lshl_b64 s[12:13], s[20:21], 8
	s_lshl_b64 s[16:17], s[28:29], 8
	;; [unrolled: 1-line block ×4, first 2 shown]
	s_add_u32 s20, s10, -16
	s_addc_u32 s21, s11, -1
	s_lshl_b64 s[22:23], s[28:29], 4
	s_lshl_b64 s[24:25], s[4:5], 3
	s_branch .LBB57_4
.LBB57_3:                               ;   in Loop: Header=BB57_4 Depth=1
	s_or_b32 exec_lo, exec_lo, s4
	s_waitcnt lgkmcnt(0)
	s_add_i32 s14, s30, s14
	s_delay_alu instid0(SALU_CYCLE_1)
	s_cmp_le_i32 s14, s33
	s_cbranch_scc0 .LBB57_66
.LBB57_4:                               ; =>This Loop Header: Depth=1
                                        ;     Child Loop BB57_6 Depth 2
                                        ;       Child Loop BB57_55 Depth 3
	s_lshl_b32 s28, s14, 5
	v_mov_b32_e32 v31, 0
	v_dual_mov_b32 v32, 0 :: v_dual_add_nc_u32 v13, s28, v3
	s_delay_alu instid0(VALU_DEP_2) | instskip(SKIP_1) | instid1(VALU_DEP_3)
	v_mov_b32_e32 v29, v31
	v_mov_b32_e32 v21, v31
	v_dual_mov_b32 v15, v31 :: v_dual_mov_b32 v16, v32
	v_mov_b32_e32 v30, v32
	v_mov_b32_e32 v22, v32
	v_ashrrev_i32_e32 v14, 31, v13
	s_cmp_lt_i32 s14, 0
	s_cbranch_scc1 .LBB57_58
; %bb.5:                                ;   in Loop: Header=BB57_4 Depth=1
	s_delay_alu instid0(VALU_DEP_1) | instskip(SKIP_1) | instid1(VALU_DEP_1)
	v_lshlrev_b64 v[19:20], 3, v[13:14]
	v_add_co_u32 v17, s3, v13, 16
	v_add_co_ci_u32_e64 v18, s3, 0, v14, s3
	v_dual_mov_b32 v15, 0 :: v_dual_mov_b32 v24, v2
	v_dual_mov_b32 v16, 0 :: v_dual_mov_b32 v23, v1
	v_add_co_u32 v19, s3, v0, v19
	s_delay_alu instid0(VALU_DEP_1)
	v_add_co_ci_u32_e64 v20, s3, v33, v20, s3
	v_cmp_le_i64_e64 s4, s[10:11], v[17:18]
	v_cmp_le_i32_e64 s3, s10, v13
	v_dual_mov_b32 v22, v16 :: v_dual_mov_b32 v21, v15
	v_dual_mov_b32 v30, v16 :: v_dual_mov_b32 v29, v15
	;; [unrolled: 1-line block ×5, first 2 shown]
	s_mov_b32 s29, 0
.LBB57_6:                               ;   Parent Loop BB57_4 Depth=1
                                        ; =>  This Loop Header: Depth=2
                                        ;       Child Loop BB57_55 Depth 3
	v_cmp_eq_u64_e64 s7, v[23:24], v[13:14]
	v_cmp_gt_i64_e64 s5, v[23:24], v[13:14]
	v_cmp_le_i64_e64 s6, s[10:11], v[23:24]
	s_delay_alu instid0(VALU_DEP_3) | instskip(NEXT) | instid1(VALU_DEP_2)
	s_and_b32 s36, s27, s7
	s_or_b32 s7, s3, s5
	s_delay_alu instid0(SALU_CYCLE_1)
	s_or_b32 s7, s7, s36
	s_delay_alu instid0(VALU_DEP_1) | instid1(SALU_CYCLE_1)
	s_or_b32 s7, s6, s7
	s_delay_alu instid0(SALU_CYCLE_1) | instskip(NEXT) | instid1(SALU_CYCLE_1)
	s_xor_b32 s7, s7, -1
	s_and_saveexec_b32 s8, s7
	s_delay_alu instid0(SALU_CYCLE_1)
	s_xor_b32 s7, exec_lo, s8
	s_cbranch_execz .LBB57_8
; %bb.7:                                ;   in Loop: Header=BB57_6 Depth=2
	global_load_b64 v[38:39], v[19:20], off
	s_waitcnt vmcnt(0)
	ds_store_b64 v35, v[38:39]
.LBB57_8:                               ;   in Loop: Header=BB57_6 Depth=2
	s_or_saveexec_b32 s7, s7
	s_xor_b32 s31, s36, -1
	s_xor_b32 exec_lo, exec_lo, s7
	s_cbranch_execz .LBB57_14
; %bb.9:                                ;   in Loop: Header=BB57_6 Depth=2
	s_and_saveexec_b32 s8, s31
	s_delay_alu instid0(SALU_CYCLE_1)
	s_xor_b32 s8, exec_lo, s8
	s_cbranch_execz .LBB57_11
; %bb.10:                               ;   in Loop: Header=BB57_6 Depth=2
	v_mov_b32_e32 v38, v5
	v_mov_b32_e32 v39, v5
	ds_store_b64 v35, v[38:39]
.LBB57_11:                              ;   in Loop: Header=BB57_6 Depth=2
	s_and_not1_saveexec_b32 s8, s8
	s_cbranch_execz .LBB57_13
; %bb.12:                               ;   in Loop: Header=BB57_6 Depth=2
	ds_store_b64 v35, v[5:6]
.LBB57_13:                              ;   in Loop: Header=BB57_6 Depth=2
	s_or_b32 exec_lo, exec_lo, s8
.LBB57_14:                              ;   in Loop: Header=BB57_6 Depth=2
	s_delay_alu instid0(SALU_CYCLE_1) | instskip(SKIP_1) | instid1(VALU_DEP_1)
	s_or_b32 exec_lo, exec_lo, s7
	v_add_co_u32 v38, s7, v23, 16
	v_add_co_ci_u32_e64 v39, s7, 0, v24, s7
	s_delay_alu instid0(VALU_DEP_1) | instskip(SKIP_2) | instid1(VALU_DEP_3)
	v_cmp_eq_u64_e64 s8, v[38:39], v[13:14]
	v_cmp_gt_i64_e64 s9, v[38:39], v[13:14]
	v_cmp_le_i64_e64 s7, s[10:11], v[38:39]
	s_and_b32 s37, s27, s8
	s_delay_alu instid0(VALU_DEP_2) | instskip(NEXT) | instid1(SALU_CYCLE_1)
	s_or_b32 s8, s3, s9
	s_or_b32 s8, s8, s37
	s_delay_alu instid0(VALU_DEP_1) | instid1(SALU_CYCLE_1)
	s_or_b32 s8, s7, s8
	s_delay_alu instid0(SALU_CYCLE_1) | instskip(NEXT) | instid1(SALU_CYCLE_1)
	s_xor_b32 s8, s8, -1
	s_and_saveexec_b32 s9, s8
	s_delay_alu instid0(SALU_CYCLE_1)
	s_xor_b32 s9, exec_lo, s9
	s_cbranch_execz .LBB57_16
; %bb.15:                               ;   in Loop: Header=BB57_6 Depth=2
	v_add_co_u32 v38, s8, v19, s18
	s_delay_alu instid0(VALU_DEP_1)
	v_add_co_ci_u32_e64 v39, s8, s19, v20, s8
	global_load_b64 v[38:39], v[38:39], off
	s_waitcnt vmcnt(0)
	ds_store_b64 v35, v[38:39] offset:128
.LBB57_16:                              ;   in Loop: Header=BB57_6 Depth=2
	s_and_not1_saveexec_b32 s8, s9
	s_cbranch_execz .LBB57_22
; %bb.17:                               ;   in Loop: Header=BB57_6 Depth=2
	s_xor_b32 s9, s37, -1
	s_delay_alu instid0(SALU_CYCLE_1) | instskip(NEXT) | instid1(SALU_CYCLE_1)
	s_and_saveexec_b32 s37, s9
	s_xor_b32 s9, exec_lo, s37
	s_cbranch_execz .LBB57_19
; %bb.18:                               ;   in Loop: Header=BB57_6 Depth=2
	v_mov_b32_e32 v38, v5
	v_mov_b32_e32 v39, v5
	ds_store_b64 v35, v[38:39] offset:128
.LBB57_19:                              ;   in Loop: Header=BB57_6 Depth=2
	s_and_not1_saveexec_b32 s9, s9
	s_cbranch_execz .LBB57_21
; %bb.20:                               ;   in Loop: Header=BB57_6 Depth=2
	ds_store_b64 v35, v[5:6] offset:128
.LBB57_21:                              ;   in Loop: Header=BB57_6 Depth=2
	s_or_b32 exec_lo, exec_lo, s9
.LBB57_22:                              ;   in Loop: Header=BB57_6 Depth=2
	s_delay_alu instid0(SALU_CYCLE_1) | instskip(SKIP_2) | instid1(VALU_DEP_2)
	s_or_b32 exec_lo, exec_lo, s8
	v_cmp_eq_u64_e64 s8, v[23:24], v[17:18]
	v_cmp_gt_i64_e64 s9, v[23:24], v[17:18]
	s_and_b32 s8, s27, s8
	s_delay_alu instid0(VALU_DEP_1) | instskip(NEXT) | instid1(SALU_CYCLE_1)
	s_or_b32 s9, s4, s9
	s_or_b32 s9, s9, s8
	s_delay_alu instid0(SALU_CYCLE_1) | instskip(NEXT) | instid1(SALU_CYCLE_1)
	s_or_b32 s6, s6, s9
	s_xor_b32 s6, s6, -1
	s_delay_alu instid0(SALU_CYCLE_1) | instskip(NEXT) | instid1(SALU_CYCLE_1)
	s_and_saveexec_b32 s9, s6
	s_xor_b32 s6, exec_lo, s9
	s_cbranch_execz .LBB57_24
; %bb.23:                               ;   in Loop: Header=BB57_6 Depth=2
	global_load_b64 v[38:39], v[19:20], off offset:128
	s_waitcnt vmcnt(0)
	ds_store_b64 v35, v[38:39] offset:4096
.LBB57_24:                              ;   in Loop: Header=BB57_6 Depth=2
	s_and_not1_saveexec_b32 s6, s6
	s_cbranch_execz .LBB57_30
; %bb.25:                               ;   in Loop: Header=BB57_6 Depth=2
	s_xor_b32 s8, s8, -1
	s_delay_alu instid0(SALU_CYCLE_1) | instskip(NEXT) | instid1(SALU_CYCLE_1)
	s_and_saveexec_b32 s9, s8
	s_xor_b32 s8, exec_lo, s9
	s_cbranch_execz .LBB57_27
; %bb.26:                               ;   in Loop: Header=BB57_6 Depth=2
	v_mov_b32_e32 v38, v5
	v_mov_b32_e32 v39, v5
	ds_store_b64 v35, v[38:39] offset:4096
.LBB57_27:                              ;   in Loop: Header=BB57_6 Depth=2
	s_and_not1_saveexec_b32 s8, s8
	s_cbranch_execz .LBB57_29
; %bb.28:                               ;   in Loop: Header=BB57_6 Depth=2
	ds_store_b64 v35, v[5:6] offset:4096
.LBB57_29:                              ;   in Loop: Header=BB57_6 Depth=2
	s_or_b32 exec_lo, exec_lo, s8
.LBB57_30:                              ;   in Loop: Header=BB57_6 Depth=2
	s_delay_alu instid0(SALU_CYCLE_1) | instskip(SKIP_1) | instid1(SALU_CYCLE_1)
	s_or_b32 exec_lo, exec_lo, s6
	s_or_b32 s5, s4, s5
	s_or_b32 s5, s5, s36
	s_delay_alu instid0(SALU_CYCLE_1) | instskip(NEXT) | instid1(SALU_CYCLE_1)
	s_or_b32 s5, s7, s5
	s_xor_b32 s5, s5, -1
	s_delay_alu instid0(SALU_CYCLE_1) | instskip(NEXT) | instid1(SALU_CYCLE_1)
	s_and_saveexec_b32 s6, s5
	s_xor_b32 s6, exec_lo, s6
	s_cbranch_execz .LBB57_32
; %bb.31:                               ;   in Loop: Header=BB57_6 Depth=2
	v_add_co_u32 v38, s5, v19, s24
	s_delay_alu instid0(VALU_DEP_1)
	v_add_co_ci_u32_e64 v39, s5, s25, v20, s5
	global_load_b64 v[38:39], v[38:39], off offset:128
	s_waitcnt vmcnt(0)
	ds_store_b64 v35, v[38:39] offset:4224
.LBB57_32:                              ;   in Loop: Header=BB57_6 Depth=2
	s_and_not1_saveexec_b32 s5, s6
	s_cbranch_execz .LBB57_38
; %bb.33:                               ;   in Loop: Header=BB57_6 Depth=2
	s_and_saveexec_b32 s6, s31
	s_delay_alu instid0(SALU_CYCLE_1)
	s_xor_b32 s6, exec_lo, s6
	s_cbranch_execz .LBB57_35
; %bb.34:                               ;   in Loop: Header=BB57_6 Depth=2
	v_mov_b32_e32 v38, v5
	v_mov_b32_e32 v39, v5
	ds_store_b64 v35, v[38:39] offset:4224
.LBB57_35:                              ;   in Loop: Header=BB57_6 Depth=2
	s_and_not1_saveexec_b32 s6, s6
	s_cbranch_execz .LBB57_37
; %bb.36:                               ;   in Loop: Header=BB57_6 Depth=2
	ds_store_b64 v35, v[5:6] offset:4224
.LBB57_37:                              ;   in Loop: Header=BB57_6 Depth=2
	s_or_b32 exec_lo, exec_lo, s6
.LBB57_38:                              ;   in Loop: Header=BB57_6 Depth=2
	s_delay_alu instid0(SALU_CYCLE_1) | instskip(SKIP_1) | instid1(VALU_DEP_1)
	s_or_b32 exec_lo, exec_lo, s5
	v_cmp_le_i64_e64 s5, s[10:11], v[25:26]
	s_or_b32 s6, s5, vcc_lo
	s_delay_alu instid0(SALU_CYCLE_1) | instskip(NEXT) | instid1(SALU_CYCLE_1)
	s_xor_b32 s6, s6, -1
	s_and_saveexec_b32 s7, s6
	s_delay_alu instid0(SALU_CYCLE_1)
	s_xor_b32 s6, exec_lo, s7
	s_cbranch_execz .LBB57_40
; %bb.39:                               ;   in Loop: Header=BB57_6 Depth=2
	global_load_b64 v[38:39], v[27:28], off
	s_waitcnt vmcnt(0)
	ds_store_b64 v37, v[38:39]
.LBB57_40:                              ;   in Loop: Header=BB57_6 Depth=2
	s_and_not1_saveexec_b32 s6, s6
	s_cbranch_execz .LBB57_42
; %bb.41:                               ;   in Loop: Header=BB57_6 Depth=2
	v_mov_b32_e32 v38, v5
	v_mov_b32_e32 v39, v5
	ds_store_b64 v37, v[38:39]
.LBB57_42:                              ;   in Loop: Header=BB57_6 Depth=2
	s_or_b32 exec_lo, exec_lo, s6
	s_or_b32 s5, s5, s0
	s_delay_alu instid0(SALU_CYCLE_1) | instskip(NEXT) | instid1(SALU_CYCLE_1)
	s_xor_b32 s5, s5, -1
	s_and_saveexec_b32 s6, s5
	s_delay_alu instid0(SALU_CYCLE_1)
	s_xor_b32 s5, exec_lo, s6
	s_cbranch_execz .LBB57_44
; %bb.43:                               ;   in Loop: Header=BB57_6 Depth=2
	global_load_b64 v[38:39], v[27:28], off offset:128
	s_waitcnt vmcnt(0)
	ds_store_b64 v37, v[38:39] offset:128
.LBB57_44:                              ;   in Loop: Header=BB57_6 Depth=2
	s_and_not1_saveexec_b32 s5, s5
	s_cbranch_execz .LBB57_46
; %bb.45:                               ;   in Loop: Header=BB57_6 Depth=2
	v_mov_b32_e32 v38, v5
	v_mov_b32_e32 v39, v5
	ds_store_b64 v37, v[38:39] offset:128
.LBB57_46:                              ;   in Loop: Header=BB57_6 Depth=2
	s_or_b32 exec_lo, exec_lo, s5
	v_cmp_le_i64_e64 s5, s[20:21], v[25:26]
	s_delay_alu instid0(VALU_DEP_1) | instskip(NEXT) | instid1(SALU_CYCLE_1)
	s_or_b32 s6, s5, vcc_lo
	s_xor_b32 s6, s6, -1
	s_delay_alu instid0(SALU_CYCLE_1) | instskip(NEXT) | instid1(SALU_CYCLE_1)
	s_and_saveexec_b32 s7, s6
	s_xor_b32 s7, exec_lo, s7
	s_cbranch_execz .LBB57_48
; %bb.47:                               ;   in Loop: Header=BB57_6 Depth=2
	s_lshl_b64 s[8:9], s[22:23], 3
	s_delay_alu instid0(SALU_CYCLE_1) | instskip(NEXT) | instid1(VALU_DEP_1)
	v_add_co_u32 v38, s6, v27, s8
	v_add_co_ci_u32_e64 v39, s6, s9, v28, s6
	global_load_b64 v[38:39], v[38:39], off
	s_waitcnt vmcnt(0)
	ds_store_b64 v37, v[38:39] offset:4096
.LBB57_48:                              ;   in Loop: Header=BB57_6 Depth=2
	s_and_not1_saveexec_b32 s6, s7
	s_cbranch_execz .LBB57_50
; %bb.49:                               ;   in Loop: Header=BB57_6 Depth=2
	v_mov_b32_e32 v38, v5
	v_mov_b32_e32 v39, v5
	ds_store_b64 v37, v[38:39] offset:4096
.LBB57_50:                              ;   in Loop: Header=BB57_6 Depth=2
	s_or_b32 exec_lo, exec_lo, s6
	s_or_b32 s5, s5, s0
	s_delay_alu instid0(SALU_CYCLE_1) | instskip(NEXT) | instid1(SALU_CYCLE_1)
	s_xor_b32 s5, s5, -1
	s_and_saveexec_b32 s6, s5
	s_delay_alu instid0(SALU_CYCLE_1)
	s_xor_b32 s6, exec_lo, s6
	s_cbranch_execz .LBB57_52
; %bb.51:                               ;   in Loop: Header=BB57_6 Depth=2
	s_lshl_b64 s[8:9], s[22:23], 3
	s_delay_alu instid0(SALU_CYCLE_1) | instskip(NEXT) | instid1(VALU_DEP_1)
	v_add_co_u32 v38, s5, v27, s8
	v_add_co_ci_u32_e64 v39, s5, s9, v28, s5
	global_load_b64 v[38:39], v[38:39], off offset:128
	s_waitcnt vmcnt(0)
	ds_store_b64 v37, v[38:39] offset:4224
.LBB57_52:                              ;   in Loop: Header=BB57_6 Depth=2
	s_and_not1_saveexec_b32 s5, s6
	s_cbranch_execz .LBB57_54
; %bb.53:                               ;   in Loop: Header=BB57_6 Depth=2
	v_mov_b32_e32 v38, v5
	v_mov_b32_e32 v39, v5
	ds_store_b64 v37, v[38:39] offset:4224
.LBB57_54:                              ;   in Loop: Header=BB57_6 Depth=2
	s_or_b32 exec_lo, exec_lo, s5
	v_mov_b32_e32 v38, v36
	s_mov_b32 s5, 0
	s_waitcnt lgkmcnt(0)
	s_waitcnt_vscnt null, 0x0
	s_barrier
	buffer_gl0_inv
.LBB57_55:                              ;   Parent Loop BB57_4 Depth=1
                                        ;     Parent Loop BB57_6 Depth=2
                                        ; =>    This Inner Loop Header: Depth=3
	v_add_nc_u32_e32 v61, s5, v34
	s_add_i32 s5, s5, 64
	ds_load_2addr_b64 v[39:42], v38 offset1:16
	ds_load_b128 v[43:46], v61
	ds_load_b128 v[47:50], v61 offset:4096
	ds_load_b128 v[51:54], v61 offset:16
	;; [unrolled: 1-line block ×3, first 2 shown]
	s_cmpk_lg_i32 s5, 0x100
	s_waitcnt lgkmcnt(3)
	v_fma_f64 v[59:60], v[39:40], v[43:44], v[31:32]
	v_fma_f64 v[43:44], v[41:42], v[43:44], v[29:30]
	s_waitcnt lgkmcnt(2)
	v_fma_f64 v[21:22], v[39:40], v[47:48], v[21:22]
	v_fma_f64 v[15:16], v[41:42], v[47:48], v[15:16]
	ds_load_2addr_b64 v[29:32], v38 offset0:32 offset1:48
	s_waitcnt lgkmcnt(0)
	v_fma_f64 v[39:40], v[29:30], v[45:46], v[59:60]
	v_fma_f64 v[41:42], v[31:32], v[45:46], v[43:44]
	v_fma_f64 v[21:22], v[29:30], v[49:50], v[21:22]
	v_fma_f64 v[15:16], v[31:32], v[49:50], v[15:16]
	ds_load_2addr_b64 v[29:32], v38 offset0:64 offset1:80
	s_waitcnt lgkmcnt(0)
	v_fma_f64 v[39:40], v[29:30], v[51:52], v[39:40]
	v_fma_f64 v[41:42], v[31:32], v[51:52], v[41:42]
	;; [unrolled: 6-line block ×3, first 2 shown]
	v_fma_f64 v[21:22], v[29:30], v[57:58], v[21:22]
	v_fma_f64 v[15:16], v[31:32], v[57:58], v[15:16]
	ds_load_2addr_b64 v[29:32], v38 offset0:128 offset1:144
	ds_load_b128 v[39:42], v61 offset:32
	ds_load_b128 v[43:46], v61 offset:4128
	ds_load_b128 v[47:50], v61 offset:48
	ds_load_b128 v[51:54], v61 offset:4144
	s_waitcnt lgkmcnt(3)
	v_fma_f64 v[55:56], v[29:30], v[39:40], v[55:56]
	v_fma_f64 v[39:40], v[31:32], v[39:40], v[59:60]
	s_waitcnt lgkmcnt(2)
	v_fma_f64 v[21:22], v[29:30], v[43:44], v[21:22]
	v_fma_f64 v[15:16], v[31:32], v[43:44], v[15:16]
	ds_load_2addr_b64 v[29:32], v38 offset0:160 offset1:176
	s_waitcnt lgkmcnt(0)
	v_fma_f64 v[43:44], v[29:30], v[41:42], v[55:56]
	v_fma_f64 v[39:40], v[31:32], v[41:42], v[39:40]
	;; [unrolled: 1-line block ×4, first 2 shown]
	ds_load_2addr_b64 v[29:32], v38 offset0:192 offset1:208
	s_waitcnt lgkmcnt(0)
	v_fma_f64 v[43:44], v[29:30], v[47:48], v[43:44]
	v_fma_f64 v[45:46], v[31:32], v[47:48], v[39:40]
	;; [unrolled: 1-line block ×4, first 2 shown]
	ds_load_2addr_b64 v[39:42], v38 offset0:224 offset1:240
	v_add_nc_u32_e32 v38, 0x800, v38
	s_waitcnt lgkmcnt(0)
	v_fma_f64 v[31:32], v[39:40], v[49:50], v[43:44]
	v_fma_f64 v[29:30], v[41:42], v[49:50], v[45:46]
	;; [unrolled: 1-line block ×4, first 2 shown]
	s_cbranch_scc1 .LBB57_55
; %bb.56:                               ;   in Loop: Header=BB57_6 Depth=2
	v_add_co_u32 v19, s5, v19, s12
	s_delay_alu instid0(VALU_DEP_1) | instskip(SKIP_1) | instid1(VALU_DEP_1)
	v_add_co_ci_u32_e64 v20, s5, s13, v20, s5
	v_add_co_u32 v23, s5, v23, 32
	v_add_co_ci_u32_e64 v24, s5, 0, v24, s5
	v_add_co_u32 v27, s5, v27, s16
	s_delay_alu instid0(VALU_DEP_1) | instskip(SKIP_1) | instid1(VALU_DEP_1)
	v_add_co_ci_u32_e64 v28, s5, s17, v28, s5
	v_add_co_u32 v25, s5, v25, 32
	v_add_co_ci_u32_e64 v26, s5, 0, v26, s5
	s_add_i32 s5, s29, 32
	s_cmp_ge_i32 s29, s28
	s_barrier
	buffer_gl0_inv
	s_cbranch_scc1 .LBB57_58
; %bb.57:                               ;   in Loop: Header=BB57_6 Depth=2
	s_mov_b32 s29, s5
	s_branch .LBB57_6
.LBB57_58:                              ;   in Loop: Header=BB57_4 Depth=1
	s_delay_alu instid0(VALU_DEP_1) | instskip(SKIP_3) | instid1(VALU_DEP_2)
	v_mul_lo_u32 v14, v14, s40
	v_mul_lo_u32 v19, v13, s41
	v_mad_u64_u32 v[17:18], null, v13, s40, 0
	v_cmp_gt_i32_e64 s3, s10, v13
	v_add3_u32 v18, v18, v19, v14
	s_delay_alu instid0(VALU_DEP_1) | instskip(NEXT) | instid1(VALU_DEP_1)
	v_lshlrev_b64 v[17:18], 3, v[17:18]
	v_add_co_u32 v14, s4, s15, v17
	s_delay_alu instid0(VALU_DEP_1) | instskip(SKIP_1) | instid1(SALU_CYCLE_1)
	v_add_co_ci_u32_e64 v17, s4, s26, v18, s4
	s_and_b32 s4, s1, s3
	s_and_saveexec_b32 s5, s4
	s_cbranch_execz .LBB57_60
; %bb.59:                               ;   in Loop: Header=BB57_4 Depth=1
	v_add_co_u32 v18, s4, v14, v7
	s_delay_alu instid0(VALU_DEP_1)
	v_add_co_ci_u32_e64 v19, s4, v17, v8, s4
	global_load_b64 v[23:24], v[18:19], off
	s_waitcnt vmcnt(0)
	v_fma_f64 v[23:24], v[31:32], s[34:35], v[23:24]
	global_store_b64 v[18:19], v[23:24], off
.LBB57_60:                              ;   in Loop: Header=BB57_4 Depth=1
	s_or_b32 exec_lo, exec_lo, s5
	s_and_b32 s3, s2, s3
	s_delay_alu instid0(SALU_CYCLE_1)
	s_and_saveexec_b32 s4, s3
	s_cbranch_execz .LBB57_62
; %bb.61:                               ;   in Loop: Header=BB57_4 Depth=1
	v_lshlrev_b64 v[18:19], 3, v[11:12]
	s_delay_alu instid0(VALU_DEP_1) | instskip(NEXT) | instid1(VALU_DEP_1)
	v_add_co_u32 v18, s3, v14, v18
	v_add_co_ci_u32_e64 v19, s3, v17, v19, s3
	global_load_b64 v[23:24], v[18:19], off
	s_waitcnt vmcnt(0)
	v_fma_f64 v[23:24], v[29:30], s[34:35], v[23:24]
	global_store_b64 v[18:19], v[23:24], off
.LBB57_62:                              ;   in Loop: Header=BB57_4 Depth=1
	s_or_b32 exec_lo, exec_lo, s4
	v_add_nc_u32_e32 v17, 16, v13
	s_delay_alu instid0(VALU_DEP_1) | instskip(SKIP_3) | instid1(VALU_DEP_4)
	v_ashrrev_i32_e32 v18, 31, v17
	v_mul_lo_u32 v19, v17, s41
	v_mad_u64_u32 v[13:14], null, v17, s40, 0
	v_cmp_gt_i32_e64 s3, s10, v17
	v_mul_lo_u32 v18, v18, s40
	s_delay_alu instid0(VALU_DEP_1) | instskip(NEXT) | instid1(VALU_DEP_1)
	v_add3_u32 v14, v14, v19, v18
	v_lshlrev_b64 v[13:14], 3, v[13:14]
	s_delay_alu instid0(VALU_DEP_1) | instskip(NEXT) | instid1(VALU_DEP_1)
	v_add_co_u32 v13, s4, s15, v13
	v_add_co_ci_u32_e64 v14, s4, s26, v14, s4
	s_and_b32 s4, s1, s3
	s_delay_alu instid0(SALU_CYCLE_1)
	s_and_saveexec_b32 s5, s4
	s_cbranch_execnz .LBB57_64
; %bb.63:                               ;   in Loop: Header=BB57_4 Depth=1
	s_or_b32 exec_lo, exec_lo, s5
	s_and_b32 s3, s2, s3
	s_delay_alu instid0(SALU_CYCLE_1)
	s_and_saveexec_b32 s4, s3
	s_cbranch_execz .LBB57_3
	s_branch .LBB57_65
.LBB57_64:                              ;   in Loop: Header=BB57_4 Depth=1
	v_add_co_u32 v17, s4, v13, v7
	s_delay_alu instid0(VALU_DEP_1)
	v_add_co_ci_u32_e64 v18, s4, v14, v8, s4
	global_load_b64 v[19:20], v[17:18], off
	s_waitcnt vmcnt(0)
	v_fma_f64 v[19:20], v[21:22], s[34:35], v[19:20]
	global_store_b64 v[17:18], v[19:20], off
	s_or_b32 exec_lo, exec_lo, s5
	s_and_b32 s3, s2, s3
	s_delay_alu instid0(SALU_CYCLE_1)
	s_and_saveexec_b32 s4, s3
	s_cbranch_execz .LBB57_3
.LBB57_65:                              ;   in Loop: Header=BB57_4 Depth=1
	v_lshlrev_b64 v[17:18], 3, v[11:12]
	s_delay_alu instid0(VALU_DEP_1) | instskip(NEXT) | instid1(VALU_DEP_1)
	v_add_co_u32 v13, s3, v13, v17
	v_add_co_ci_u32_e64 v14, s3, v14, v18, s3
	global_load_b64 v[17:18], v[13:14], off
	s_waitcnt vmcnt(0)
	v_fma_f64 v[15:16], v[15:16], s[34:35], v[17:18]
	global_store_b64 v[13:14], v[15:16], off
	s_branch .LBB57_3
.LBB57_66:
	s_nop 0
	s_sendmsg sendmsg(MSG_DEALLOC_VGPRS)
	s_endpgm
	.section	.rodata,"a",@progbits
	.p2align	6, 0x0
	.amdhsa_kernel _ZL30rocblas_trmm_outofplace_kernelIdLi32ELi2ELb0ELb0ELb1ELb1EdKddEv17rocblas_diagonal_iiT6_lPT7_lllS4_lllPT8_llli
		.amdhsa_group_segment_fixed_size 16384
		.amdhsa_private_segment_fixed_size 0
		.amdhsa_kernarg_size 392
		.amdhsa_user_sgpr_count 13
		.amdhsa_user_sgpr_dispatch_ptr 0
		.amdhsa_user_sgpr_queue_ptr 0
		.amdhsa_user_sgpr_kernarg_segment_ptr 1
		.amdhsa_user_sgpr_dispatch_id 0
		.amdhsa_user_sgpr_private_segment_size 0
		.amdhsa_wavefront_size32 1
		.amdhsa_uses_dynamic_stack 0
		.amdhsa_enable_private_segment 0
		.amdhsa_system_sgpr_workgroup_id_x 1
		.amdhsa_system_sgpr_workgroup_id_y 1
		.amdhsa_system_sgpr_workgroup_id_z 1
		.amdhsa_system_sgpr_workgroup_info 0
		.amdhsa_system_vgpr_workitem_id 1
		.amdhsa_next_free_vgpr 62
		.amdhsa_next_free_sgpr 44
		.amdhsa_reserve_vcc 1
		.amdhsa_float_round_mode_32 0
		.amdhsa_float_round_mode_16_64 0
		.amdhsa_float_denorm_mode_32 3
		.amdhsa_float_denorm_mode_16_64 3
		.amdhsa_dx10_clamp 1
		.amdhsa_ieee_mode 1
		.amdhsa_fp16_overflow 0
		.amdhsa_workgroup_processor_mode 1
		.amdhsa_memory_ordered 1
		.amdhsa_forward_progress 0
		.amdhsa_shared_vgpr_count 0
		.amdhsa_exception_fp_ieee_invalid_op 0
		.amdhsa_exception_fp_denorm_src 0
		.amdhsa_exception_fp_ieee_div_zero 0
		.amdhsa_exception_fp_ieee_overflow 0
		.amdhsa_exception_fp_ieee_underflow 0
		.amdhsa_exception_fp_ieee_inexact 0
		.amdhsa_exception_int_div_zero 0
	.end_amdhsa_kernel
	.section	.text._ZL30rocblas_trmm_outofplace_kernelIdLi32ELi2ELb0ELb0ELb1ELb1EdKddEv17rocblas_diagonal_iiT6_lPT7_lllS4_lllPT8_llli,"axG",@progbits,_ZL30rocblas_trmm_outofplace_kernelIdLi32ELi2ELb0ELb0ELb1ELb1EdKddEv17rocblas_diagonal_iiT6_lPT7_lllS4_lllPT8_llli,comdat
.Lfunc_end57:
	.size	_ZL30rocblas_trmm_outofplace_kernelIdLi32ELi2ELb0ELb0ELb1ELb1EdKddEv17rocblas_diagonal_iiT6_lPT7_lllS4_lllPT8_llli, .Lfunc_end57-_ZL30rocblas_trmm_outofplace_kernelIdLi32ELi2ELb0ELb0ELb1ELb1EdKddEv17rocblas_diagonal_iiT6_lPT7_lllS4_lllPT8_llli
                                        ; -- End function
	.section	.AMDGPU.csdata,"",@progbits
; Kernel info:
; codeLenInByte = 2824
; NumSgprs: 46
; NumVgprs: 62
; ScratchSize: 0
; MemoryBound: 1
; FloatMode: 240
; IeeeMode: 1
; LDSByteSize: 16384 bytes/workgroup (compile time only)
; SGPRBlocks: 5
; VGPRBlocks: 7
; NumSGPRsForWavesPerEU: 46
; NumVGPRsForWavesPerEU: 62
; Occupancy: 16
; WaveLimiterHint : 0
; COMPUTE_PGM_RSRC2:SCRATCH_EN: 0
; COMPUTE_PGM_RSRC2:USER_SGPR: 13
; COMPUTE_PGM_RSRC2:TRAP_HANDLER: 0
; COMPUTE_PGM_RSRC2:TGID_X_EN: 1
; COMPUTE_PGM_RSRC2:TGID_Y_EN: 1
; COMPUTE_PGM_RSRC2:TGID_Z_EN: 1
; COMPUTE_PGM_RSRC2:TIDIG_COMP_CNT: 1
	.section	.text._ZL30rocblas_trmm_outofplace_kernelIdLi32ELi2ELb0ELb1ELb1ELb1EPKdS0_dEv17rocblas_diagonal_iiT6_lPT7_lllS5_lllPT8_llli,"axG",@progbits,_ZL30rocblas_trmm_outofplace_kernelIdLi32ELi2ELb0ELb1ELb1ELb1EPKdS0_dEv17rocblas_diagonal_iiT6_lPT7_lllS5_lllPT8_llli,comdat
	.globl	_ZL30rocblas_trmm_outofplace_kernelIdLi32ELi2ELb0ELb1ELb1ELb1EPKdS0_dEv17rocblas_diagonal_iiT6_lPT7_lllS5_lllPT8_llli ; -- Begin function _ZL30rocblas_trmm_outofplace_kernelIdLi32ELi2ELb0ELb1ELb1ELb1EPKdS0_dEv17rocblas_diagonal_iiT6_lPT7_lllS5_lllPT8_llli
	.p2align	8
	.type	_ZL30rocblas_trmm_outofplace_kernelIdLi32ELi2ELb0ELb1ELb1ELb1EPKdS0_dEv17rocblas_diagonal_iiT6_lPT7_lllS5_lllPT8_llli,@function
_ZL30rocblas_trmm_outofplace_kernelIdLi32ELi2ELb0ELb1ELb1ELb1EPKdS0_dEv17rocblas_diagonal_iiT6_lPT7_lllS5_lllPT8_llli: ; @_ZL30rocblas_trmm_outofplace_kernelIdLi32ELi2ELb0ELb1ELb1ELb1EPKdS0_dEv17rocblas_diagonal_iiT6_lPT7_lllS5_lllPT8_llli
; %bb.0:
	s_load_b512 s[16:31], s[0:1], 0x10
	s_waitcnt lgkmcnt(0)
	s_mul_i32 s2, s15, s19
	s_mul_hi_u32 s3, s15, s18
	s_delay_alu instid0(SALU_CYCLE_1) | instskip(SKIP_1) | instid1(SALU_CYCLE_1)
	s_add_i32 s3, s3, s2
	s_mul_i32 s2, s15, s18
	s_lshl_b64 s[2:3], s[2:3], 3
	s_delay_alu instid0(SALU_CYCLE_1) | instskip(SKIP_4) | instid1(VALU_DEP_1)
	s_add_u32 s2, s16, s2
	s_addc_u32 s3, s17, s3
	s_load_b64 s[34:35], s[2:3], 0x0
	s_waitcnt lgkmcnt(0)
	v_cmp_eq_f64_e64 s2, s[34:35], 0
	s_and_b32 vcc_lo, exec_lo, s2
	s_cbranch_vccnz .LBB58_65
; %bb.1:
	s_load_b128 s[8:11], s[0:1], 0x0
	s_waitcnt lgkmcnt(0)
	s_add_i32 s2, s10, -1
	s_delay_alu instid0(SALU_CYCLE_1) | instskip(NEXT) | instid1(SALU_CYCLE_1)
	s_ashr_i32 s3, s2, 31
	s_lshr_b32 s3, s3, 27
	s_delay_alu instid0(SALU_CYCLE_1) | instskip(NEXT) | instid1(SALU_CYCLE_1)
	s_add_i32 s2, s2, s3
	s_ashr_i32 s33, s2, 5
	s_delay_alu instid0(SALU_CYCLE_1)
	s_cmp_gt_i32 s14, s33
	s_cbranch_scc1 .LBB58_65
; %bb.2:
	s_clause 0x1
	s_load_b256 s[36:43], s[0:1], 0x50
	s_load_b128 s[16:19], s[0:1], 0x70
	s_mul_i32 s3, s15, s27
	s_mul_hi_u32 s4, s15, s26
	s_mul_i32 s2, s15, s26
	s_add_i32 s3, s4, s3
	v_and_b32_e32 v27, 0x3ff, v0
	s_lshl_b64 s[2:3], s[2:3], 3
	s_load_b32 s44, s[0:1], 0x8c
	s_add_u32 s4, s20, s2
	s_addc_u32 s5, s21, s3
	s_lshl_b64 s[2:3], s[22:23], 3
	v_lshl_add_u32 v4, s13, 5, v27
	s_add_u32 s45, s4, s2
	s_addc_u32 s46, s5, s3
	v_bfe_u32 v0, v0, 10, 10
	v_lshlrev_b32_e32 v3, 3, v27
	v_ashrrev_i32_e32 v5, 31, v4
	s_delay_alu instid0(VALU_DEP_3)
	v_lshlrev_b32_e32 v30, 8, v0
	s_waitcnt lgkmcnt(0)
	s_mul_i32 s1, s15, s39
	s_mul_hi_u32 s2, s15, s38
	s_mul_i32 s0, s15, s38
	s_add_i32 s1, s2, s1
	s_mul_i32 s3, s15, s19
	s_lshl_b64 s[0:1], s[0:1], 3
	s_mul_hi_u32 s4, s15, s18
	s_add_u32 s5, s28, s0
	s_addc_u32 s6, s29, s1
	s_lshl_b64 s[0:1], s[30:31], 3
	s_mul_i32 s2, s15, s18
	s_add_u32 s5, s5, s0
	s_addc_u32 s6, s6, s1
	s_add_i32 s3, s4, s3
	v_lshlrev_b64 v[1:2], 3, v[4:5]
	s_lshl_b64 s[0:1], s[2:3], 3
	s_delay_alu instid0(SALU_CYCLE_1) | instskip(SKIP_2) | instid1(VALU_DEP_1)
	s_add_u32 s2, s40, s0
	s_addc_u32 s3, s41, s1
	s_lshl_b64 s[0:1], s[42:43], 3
	v_add_co_u32 v28, vcc_lo, s5, v1
	s_add_u32 s15, s2, s0
	s_addc_u32 s30, s3, s1
	s_cmpk_eq_i32 s8, 0x84
	v_add_co_ci_u32_e32 v29, vcc_lo, s6, v2, vcc_lo
	s_cselect_b32 s31, -1, 0
	s_ashr_i32 s0, s9, 31
	v_sub_co_u32 v6, vcc_lo, s9, v4
	v_sub_co_ci_u32_e32 v7, vcc_lo, s0, v5, vcc_lo
	v_mov_b32_e32 v5, 0
	v_cmp_gt_i32_e64 s1, s9, v4
	s_ashr_i32 s11, s10, 31
	s_delay_alu instid0(VALU_DEP_3)
	v_cmp_gt_i64_e32 vcc_lo, 1, v[6:7]
	v_cmp_gt_i64_e64 s0, 17, v[6:7]
	v_dual_mov_b32 v6, 0x3ff00000 :: v_dual_add_nc_u32 v31, v30, v3
	v_or_b32_e32 v32, 0x2000, v3
	v_add_nc_u32_e32 v3, 16, v4
	s_lshl_b64 s[12:13], s[24:25], 8
	s_lshl_b64 s[18:19], s[36:37], 8
	;; [unrolled: 1-line block ×3, first 2 shown]
	v_add_nc_u32_e32 v33, v32, v30
	v_cmp_gt_i32_e64 s2, s9, v3
	v_ashrrev_i32_e32 v4, 31, v3
	s_lshl_b64 s[4:5], s[24:25], 4
	s_add_u32 s22, s10, -16
	s_addc_u32 s23, s11, -1
	s_lshl_b64 s[26:27], s[36:37], 4
	s_lshl_b64 s[28:29], s[4:5], 3
	s_branch .LBB58_4
.LBB58_3:                               ;   in Loop: Header=BB58_4 Depth=1
	s_or_b32 exec_lo, exec_lo, s4
	s_add_i32 s14, s44, s14
	s_delay_alu instid0(SALU_CYCLE_1)
	s_cmp_le_i32 s14, s33
	s_cbranch_scc0 .LBB58_65
.LBB58_4:                               ; =>This Loop Header: Depth=1
                                        ;     Child Loop BB58_6 Depth 2
                                        ;       Child Loop BB58_55 Depth 3
	s_lshl_b32 s3, s14, 5
	v_mov_b32_e32 v25, 0
	v_dual_mov_b32 v26, 0 :: v_dual_add_nc_u32 v7, s3, v0
	s_delay_alu instid0(VALU_DEP_2) | instskip(SKIP_1) | instid1(VALU_DEP_3)
	v_mov_b32_e32 v23, v25
	v_mov_b32_e32 v15, v25
	v_dual_mov_b32 v11, v25 :: v_dual_mov_b32 v12, v26
	v_mov_b32_e32 v24, v26
	v_mov_b32_e32 v16, v26
	v_ashrrev_i32_e32 v8, 31, v7
	s_sub_i32 s38, s10, s3
	s_delay_alu instid0(SALU_CYCLE_1)
	s_cmp_lt_i32 s38, 1
	s_cbranch_scc1 .LBB58_57
; %bb.5:                                ;   in Loop: Header=BB58_4 Depth=1
	v_add_nc_u32_e32 v9, s3, v27
	v_mul_lo_u32 v21, v8, s36
	v_mul_lo_u32 v22, v7, s37
	v_mad_u64_u32 v[17:18], null, v7, s36, 0
	s_delay_alu instid0(VALU_DEP_4) | instskip(SKIP_3) | instid1(VALU_DEP_4)
	v_ashrrev_i32_e32 v10, 31, v9
	v_mul_lo_u32 v11, v9, s25
	v_mad_u64_u32 v[15:16], null, v9, s24, 0
	v_lshlrev_b64 v[19:20], 3, v[7:8]
	v_mul_lo_u32 v12, v10, s24
	v_add3_u32 v18, v18, v22, v21
	v_add_co_u32 v13, s3, v7, 16
	s_delay_alu instid0(VALU_DEP_1) | instskip(NEXT) | instid1(VALU_DEP_3)
	v_add_co_ci_u32_e64 v14, s3, 0, v8, s3
	v_lshlrev_b64 v[17:18], 3, v[17:18]
	v_cmp_le_i32_e64 s3, s10, v7
	v_add3_u32 v16, v16, v11, v12
	v_mov_b32_e32 v11, 0
	v_mov_b32_e32 v12, 0
	v_cmp_le_i64_e64 s4, s[10:11], v[13:14]
	s_mov_b32 s39, 0
	v_lshlrev_b64 v[21:22], 3, v[15:16]
	s_delay_alu instid0(VALU_DEP_3) | instskip(SKIP_1) | instid1(VALU_DEP_3)
	v_dual_mov_b32 v16, v12 :: v_dual_mov_b32 v15, v11
	v_dual_mov_b32 v24, v12 :: v_dual_mov_b32 v23, v11
	v_add_co_u32 v21, s5, s45, v21
	s_delay_alu instid0(VALU_DEP_1) | instskip(SKIP_1) | instid1(VALU_DEP_1)
	v_add_co_ci_u32_e64 v22, s5, s46, v22, s5
	v_add_co_u32 v17, s5, v28, v17
	v_add_co_ci_u32_e64 v18, s5, v29, v18, s5
	s_delay_alu instid0(VALU_DEP_4) | instskip(NEXT) | instid1(VALU_DEP_1)
	v_add_co_u32 v19, s5, v21, v19
	v_add_co_ci_u32_e64 v20, s5, v22, v20, s5
	v_mov_b32_e32 v22, v8
	v_dual_mov_b32 v26, v12 :: v_dual_mov_b32 v25, v11
	v_mov_b32_e32 v21, v7
.LBB58_6:                               ;   Parent Loop BB58_4 Depth=1
                                        ; =>  This Loop Header: Depth=2
                                        ;       Child Loop BB58_55 Depth 3
	v_cmp_lt_i64_e64 s5, v[9:10], v[7:8]
	v_cmp_eq_u64_e64 s7, v[9:10], v[7:8]
	v_cmp_le_i64_e64 s6, s[10:11], v[9:10]
	s_delay_alu instid0(VALU_DEP_3) | instskip(NEXT) | instid1(VALU_DEP_2)
	s_or_b32 s8, s3, s5
	s_and_b32 s41, s31, s7
	s_delay_alu instid0(VALU_DEP_1) | instskip(NEXT) | instid1(SALU_CYCLE_1)
	s_or_b32 s7, s6, s8
	s_or_b32 s7, s7, s41
	s_delay_alu instid0(SALU_CYCLE_1) | instskip(NEXT) | instid1(SALU_CYCLE_1)
	s_xor_b32 s7, s7, -1
	s_and_saveexec_b32 s8, s7
	s_delay_alu instid0(SALU_CYCLE_1)
	s_xor_b32 s7, exec_lo, s8
	s_cbranch_execz .LBB58_8
; %bb.7:                                ;   in Loop: Header=BB58_6 Depth=2
	global_load_b64 v[34:35], v[19:20], off
	s_waitcnt vmcnt(0)
	ds_store_b64 v31, v[34:35]
.LBB58_8:                               ;   in Loop: Header=BB58_6 Depth=2
	s_or_saveexec_b32 s7, s7
	s_xor_b32 s40, s41, -1
	s_xor_b32 exec_lo, exec_lo, s7
	s_cbranch_execz .LBB58_14
; %bb.9:                                ;   in Loop: Header=BB58_6 Depth=2
	s_and_saveexec_b32 s8, s40
	s_delay_alu instid0(SALU_CYCLE_1)
	s_xor_b32 s8, exec_lo, s8
	s_cbranch_execz .LBB58_11
; %bb.10:                               ;   in Loop: Header=BB58_6 Depth=2
	v_mov_b32_e32 v34, v5
	v_mov_b32_e32 v35, v5
	ds_store_b64 v31, v[34:35]
.LBB58_11:                              ;   in Loop: Header=BB58_6 Depth=2
	s_and_not1_saveexec_b32 s8, s8
	s_cbranch_execz .LBB58_13
; %bb.12:                               ;   in Loop: Header=BB58_6 Depth=2
	ds_store_b64 v31, v[5:6]
.LBB58_13:                              ;   in Loop: Header=BB58_6 Depth=2
	s_or_b32 exec_lo, exec_lo, s8
.LBB58_14:                              ;   in Loop: Header=BB58_6 Depth=2
	s_delay_alu instid0(SALU_CYCLE_1) | instskip(SKIP_1) | instid1(VALU_DEP_1)
	s_or_b32 exec_lo, exec_lo, s7
	v_add_co_u32 v34, s7, v9, 16
	v_add_co_ci_u32_e64 v35, s7, 0, v10, s7
	s_delay_alu instid0(VALU_DEP_1) | instskip(SKIP_2) | instid1(VALU_DEP_3)
	v_cmp_lt_i64_e64 s8, v[34:35], v[7:8]
	v_cmp_eq_u64_e64 s9, v[34:35], v[7:8]
	v_cmp_le_i64_e64 s7, s[10:11], v[34:35]
	s_or_b32 s8, s3, s8
	s_delay_alu instid0(VALU_DEP_2) | instskip(NEXT) | instid1(VALU_DEP_1)
	s_and_b32 s9, s31, s9
	s_or_b32 s8, s7, s8
	s_delay_alu instid0(SALU_CYCLE_1) | instskip(NEXT) | instid1(SALU_CYCLE_1)
	s_or_b32 s8, s8, s9
	s_xor_b32 s8, s8, -1
	s_delay_alu instid0(SALU_CYCLE_1) | instskip(NEXT) | instid1(SALU_CYCLE_1)
	s_and_saveexec_b32 s42, s8
	s_xor_b32 s42, exec_lo, s42
	s_cbranch_execz .LBB58_16
; %bb.15:                               ;   in Loop: Header=BB58_6 Depth=2
	v_add_co_u32 v34, s8, v19, s20
	s_delay_alu instid0(VALU_DEP_1)
	v_add_co_ci_u32_e64 v35, s8, s21, v20, s8
	global_load_b64 v[34:35], v[34:35], off
	s_waitcnt vmcnt(0)
	ds_store_b64 v31, v[34:35] offset:128
.LBB58_16:                              ;   in Loop: Header=BB58_6 Depth=2
	s_and_not1_saveexec_b32 s8, s42
	s_cbranch_execz .LBB58_22
; %bb.17:                               ;   in Loop: Header=BB58_6 Depth=2
	s_xor_b32 s9, s9, -1
	s_delay_alu instid0(SALU_CYCLE_1) | instskip(NEXT) | instid1(SALU_CYCLE_1)
	s_and_saveexec_b32 s42, s9
	s_xor_b32 s9, exec_lo, s42
	s_cbranch_execz .LBB58_19
; %bb.18:                               ;   in Loop: Header=BB58_6 Depth=2
	v_mov_b32_e32 v34, v5
	v_mov_b32_e32 v35, v5
	ds_store_b64 v31, v[34:35] offset:128
.LBB58_19:                              ;   in Loop: Header=BB58_6 Depth=2
	s_and_not1_saveexec_b32 s9, s9
	s_cbranch_execz .LBB58_21
; %bb.20:                               ;   in Loop: Header=BB58_6 Depth=2
	ds_store_b64 v31, v[5:6] offset:128
.LBB58_21:                              ;   in Loop: Header=BB58_6 Depth=2
	s_or_b32 exec_lo, exec_lo, s9
.LBB58_22:                              ;   in Loop: Header=BB58_6 Depth=2
	s_delay_alu instid0(SALU_CYCLE_1) | instskip(SKIP_2) | instid1(VALU_DEP_2)
	s_or_b32 exec_lo, exec_lo, s8
	v_cmp_eq_u64_e64 s8, v[9:10], v[13:14]
	v_cmp_lt_i64_e64 s9, v[9:10], v[13:14]
	s_and_b32 s8, s31, s8
	s_delay_alu instid0(VALU_DEP_1) | instskip(NEXT) | instid1(SALU_CYCLE_1)
	s_or_b32 s9, s4, s9
	s_or_b32 s9, s9, s8
	s_delay_alu instid0(SALU_CYCLE_1) | instskip(NEXT) | instid1(SALU_CYCLE_1)
	s_or_b32 s6, s6, s9
	s_xor_b32 s6, s6, -1
	s_delay_alu instid0(SALU_CYCLE_1) | instskip(NEXT) | instid1(SALU_CYCLE_1)
	s_and_saveexec_b32 s9, s6
	s_xor_b32 s6, exec_lo, s9
	s_cbranch_execz .LBB58_24
; %bb.23:                               ;   in Loop: Header=BB58_6 Depth=2
	global_load_b64 v[34:35], v[19:20], off offset:128
	s_waitcnt vmcnt(0)
	ds_store_b64 v31, v[34:35] offset:4096
.LBB58_24:                              ;   in Loop: Header=BB58_6 Depth=2
	s_and_not1_saveexec_b32 s6, s6
	s_cbranch_execz .LBB58_30
; %bb.25:                               ;   in Loop: Header=BB58_6 Depth=2
	s_xor_b32 s8, s8, -1
	s_delay_alu instid0(SALU_CYCLE_1) | instskip(NEXT) | instid1(SALU_CYCLE_1)
	s_and_saveexec_b32 s9, s8
	s_xor_b32 s8, exec_lo, s9
	s_cbranch_execz .LBB58_27
; %bb.26:                               ;   in Loop: Header=BB58_6 Depth=2
	v_mov_b32_e32 v34, v5
	v_mov_b32_e32 v35, v5
	ds_store_b64 v31, v[34:35] offset:4096
.LBB58_27:                              ;   in Loop: Header=BB58_6 Depth=2
	s_and_not1_saveexec_b32 s8, s8
	s_cbranch_execz .LBB58_29
; %bb.28:                               ;   in Loop: Header=BB58_6 Depth=2
	ds_store_b64 v31, v[5:6] offset:4096
.LBB58_29:                              ;   in Loop: Header=BB58_6 Depth=2
	s_or_b32 exec_lo, exec_lo, s8
.LBB58_30:                              ;   in Loop: Header=BB58_6 Depth=2
	s_delay_alu instid0(SALU_CYCLE_1) | instskip(SKIP_1) | instid1(SALU_CYCLE_1)
	s_or_b32 exec_lo, exec_lo, s6
	s_or_b32 s5, s4, s5
	s_or_b32 s5, s7, s5
	s_delay_alu instid0(SALU_CYCLE_1) | instskip(NEXT) | instid1(SALU_CYCLE_1)
	s_or_b32 s5, s5, s41
	s_xor_b32 s5, s5, -1
	s_delay_alu instid0(SALU_CYCLE_1) | instskip(NEXT) | instid1(SALU_CYCLE_1)
	s_and_saveexec_b32 s6, s5
	s_xor_b32 s6, exec_lo, s6
	s_cbranch_execz .LBB58_32
; %bb.31:                               ;   in Loop: Header=BB58_6 Depth=2
	v_add_co_u32 v34, s5, v19, s28
	s_delay_alu instid0(VALU_DEP_1)
	v_add_co_ci_u32_e64 v35, s5, s29, v20, s5
	global_load_b64 v[34:35], v[34:35], off offset:128
	s_waitcnt vmcnt(0)
	ds_store_b64 v31, v[34:35] offset:4224
.LBB58_32:                              ;   in Loop: Header=BB58_6 Depth=2
	s_and_not1_saveexec_b32 s5, s6
	s_cbranch_execz .LBB58_38
; %bb.33:                               ;   in Loop: Header=BB58_6 Depth=2
	s_and_saveexec_b32 s6, s40
	s_delay_alu instid0(SALU_CYCLE_1)
	s_xor_b32 s6, exec_lo, s6
	s_cbranch_execz .LBB58_35
; %bb.34:                               ;   in Loop: Header=BB58_6 Depth=2
	v_mov_b32_e32 v34, v5
	v_mov_b32_e32 v35, v5
	ds_store_b64 v31, v[34:35] offset:4224
.LBB58_35:                              ;   in Loop: Header=BB58_6 Depth=2
	s_and_not1_saveexec_b32 s6, s6
	s_cbranch_execz .LBB58_37
; %bb.36:                               ;   in Loop: Header=BB58_6 Depth=2
	ds_store_b64 v31, v[5:6] offset:4224
.LBB58_37:                              ;   in Loop: Header=BB58_6 Depth=2
	s_or_b32 exec_lo, exec_lo, s6
.LBB58_38:                              ;   in Loop: Header=BB58_6 Depth=2
	s_delay_alu instid0(SALU_CYCLE_1) | instskip(SKIP_1) | instid1(VALU_DEP_1)
	s_or_b32 exec_lo, exec_lo, s5
	v_cmp_le_i64_e64 s5, s[10:11], v[21:22]
	s_or_b32 s6, s5, vcc_lo
	s_delay_alu instid0(SALU_CYCLE_1) | instskip(NEXT) | instid1(SALU_CYCLE_1)
	s_xor_b32 s6, s6, -1
	s_and_saveexec_b32 s7, s6
	s_delay_alu instid0(SALU_CYCLE_1)
	s_xor_b32 s6, exec_lo, s7
	s_cbranch_execz .LBB58_40
; %bb.39:                               ;   in Loop: Header=BB58_6 Depth=2
	global_load_b64 v[34:35], v[17:18], off
	s_waitcnt vmcnt(0)
	ds_store_b64 v33, v[34:35]
.LBB58_40:                              ;   in Loop: Header=BB58_6 Depth=2
	s_and_not1_saveexec_b32 s6, s6
	s_cbranch_execz .LBB58_42
; %bb.41:                               ;   in Loop: Header=BB58_6 Depth=2
	v_mov_b32_e32 v34, v5
	v_mov_b32_e32 v35, v5
	ds_store_b64 v33, v[34:35]
.LBB58_42:                              ;   in Loop: Header=BB58_6 Depth=2
	s_or_b32 exec_lo, exec_lo, s6
	s_or_b32 s5, s5, s0
	s_delay_alu instid0(SALU_CYCLE_1) | instskip(NEXT) | instid1(SALU_CYCLE_1)
	s_xor_b32 s5, s5, -1
	s_and_saveexec_b32 s6, s5
	s_delay_alu instid0(SALU_CYCLE_1)
	s_xor_b32 s5, exec_lo, s6
	s_cbranch_execz .LBB58_44
; %bb.43:                               ;   in Loop: Header=BB58_6 Depth=2
	global_load_b64 v[34:35], v[17:18], off offset:128
	s_waitcnt vmcnt(0)
	ds_store_b64 v33, v[34:35] offset:128
.LBB58_44:                              ;   in Loop: Header=BB58_6 Depth=2
	s_and_not1_saveexec_b32 s5, s5
	s_cbranch_execz .LBB58_46
; %bb.45:                               ;   in Loop: Header=BB58_6 Depth=2
	v_mov_b32_e32 v34, v5
	v_mov_b32_e32 v35, v5
	ds_store_b64 v33, v[34:35] offset:128
.LBB58_46:                              ;   in Loop: Header=BB58_6 Depth=2
	s_or_b32 exec_lo, exec_lo, s5
	v_cmp_le_i64_e64 s5, s[22:23], v[21:22]
	s_delay_alu instid0(VALU_DEP_1) | instskip(NEXT) | instid1(SALU_CYCLE_1)
	s_or_b32 s6, s5, vcc_lo
	s_xor_b32 s6, s6, -1
	s_delay_alu instid0(SALU_CYCLE_1) | instskip(NEXT) | instid1(SALU_CYCLE_1)
	s_and_saveexec_b32 s7, s6
	s_xor_b32 s7, exec_lo, s7
	s_cbranch_execz .LBB58_48
; %bb.47:                               ;   in Loop: Header=BB58_6 Depth=2
	s_lshl_b64 s[8:9], s[26:27], 3
	s_delay_alu instid0(SALU_CYCLE_1) | instskip(NEXT) | instid1(VALU_DEP_1)
	v_add_co_u32 v34, s6, v17, s8
	v_add_co_ci_u32_e64 v35, s6, s9, v18, s6
	global_load_b64 v[34:35], v[34:35], off
	s_waitcnt vmcnt(0)
	ds_store_b64 v33, v[34:35] offset:4096
.LBB58_48:                              ;   in Loop: Header=BB58_6 Depth=2
	s_and_not1_saveexec_b32 s6, s7
	s_cbranch_execz .LBB58_50
; %bb.49:                               ;   in Loop: Header=BB58_6 Depth=2
	v_mov_b32_e32 v34, v5
	v_mov_b32_e32 v35, v5
	ds_store_b64 v33, v[34:35] offset:4096
.LBB58_50:                              ;   in Loop: Header=BB58_6 Depth=2
	s_or_b32 exec_lo, exec_lo, s6
	s_or_b32 s5, s5, s0
	s_delay_alu instid0(SALU_CYCLE_1) | instskip(NEXT) | instid1(SALU_CYCLE_1)
	s_xor_b32 s5, s5, -1
	s_and_saveexec_b32 s6, s5
	s_delay_alu instid0(SALU_CYCLE_1)
	s_xor_b32 s6, exec_lo, s6
	s_cbranch_execz .LBB58_52
; %bb.51:                               ;   in Loop: Header=BB58_6 Depth=2
	s_lshl_b64 s[8:9], s[26:27], 3
	s_delay_alu instid0(SALU_CYCLE_1) | instskip(NEXT) | instid1(VALU_DEP_1)
	v_add_co_u32 v34, s5, v17, s8
	v_add_co_ci_u32_e64 v35, s5, s9, v18, s5
	global_load_b64 v[34:35], v[34:35], off offset:128
	s_waitcnt vmcnt(0)
	ds_store_b64 v33, v[34:35] offset:4224
.LBB58_52:                              ;   in Loop: Header=BB58_6 Depth=2
	s_and_not1_saveexec_b32 s5, s6
	s_cbranch_execz .LBB58_54
; %bb.53:                               ;   in Loop: Header=BB58_6 Depth=2
	v_mov_b32_e32 v34, v5
	v_mov_b32_e32 v35, v5
	ds_store_b64 v33, v[34:35] offset:4224
.LBB58_54:                              ;   in Loop: Header=BB58_6 Depth=2
	s_or_b32 exec_lo, exec_lo, s5
	v_mov_b32_e32 v34, v32
	s_mov_b32 s5, 0
	s_waitcnt lgkmcnt(0)
	s_waitcnt_vscnt null, 0x0
	s_barrier
	buffer_gl0_inv
.LBB58_55:                              ;   Parent Loop BB58_4 Depth=1
                                        ;     Parent Loop BB58_6 Depth=2
                                        ; =>    This Inner Loop Header: Depth=3
	v_add_nc_u32_e32 v57, s5, v30
	s_add_i32 s5, s5, 64
	ds_load_2addr_b64 v[35:38], v34 offset1:16
	ds_load_b128 v[39:42], v57
	ds_load_b128 v[43:46], v57 offset:4096
	ds_load_b128 v[47:50], v57 offset:16
	;; [unrolled: 1-line block ×3, first 2 shown]
	s_cmpk_lg_i32 s5, 0x100
	s_waitcnt lgkmcnt(3)
	v_fma_f64 v[55:56], v[35:36], v[39:40], v[25:26]
	v_fma_f64 v[39:40], v[37:38], v[39:40], v[23:24]
	s_waitcnt lgkmcnt(2)
	v_fma_f64 v[15:16], v[35:36], v[43:44], v[15:16]
	v_fma_f64 v[11:12], v[37:38], v[43:44], v[11:12]
	ds_load_2addr_b64 v[23:26], v34 offset0:32 offset1:48
	s_waitcnt lgkmcnt(0)
	v_fma_f64 v[35:36], v[23:24], v[41:42], v[55:56]
	v_fma_f64 v[37:38], v[25:26], v[41:42], v[39:40]
	v_fma_f64 v[15:16], v[23:24], v[45:46], v[15:16]
	v_fma_f64 v[11:12], v[25:26], v[45:46], v[11:12]
	ds_load_2addr_b64 v[23:26], v34 offset0:64 offset1:80
	s_waitcnt lgkmcnt(0)
	v_fma_f64 v[35:36], v[23:24], v[47:48], v[35:36]
	v_fma_f64 v[37:38], v[25:26], v[47:48], v[37:38]
	;; [unrolled: 6-line block ×3, first 2 shown]
	v_fma_f64 v[15:16], v[23:24], v[53:54], v[15:16]
	v_fma_f64 v[11:12], v[25:26], v[53:54], v[11:12]
	ds_load_2addr_b64 v[23:26], v34 offset0:128 offset1:144
	ds_load_b128 v[35:38], v57 offset:32
	ds_load_b128 v[39:42], v57 offset:4128
	;; [unrolled: 1-line block ×4, first 2 shown]
	s_waitcnt lgkmcnt(3)
	v_fma_f64 v[51:52], v[23:24], v[35:36], v[51:52]
	v_fma_f64 v[35:36], v[25:26], v[35:36], v[55:56]
	s_waitcnt lgkmcnt(2)
	v_fma_f64 v[15:16], v[23:24], v[39:40], v[15:16]
	v_fma_f64 v[11:12], v[25:26], v[39:40], v[11:12]
	ds_load_2addr_b64 v[23:26], v34 offset0:160 offset1:176
	s_waitcnt lgkmcnt(0)
	v_fma_f64 v[39:40], v[23:24], v[37:38], v[51:52]
	v_fma_f64 v[35:36], v[25:26], v[37:38], v[35:36]
	;; [unrolled: 1-line block ×4, first 2 shown]
	ds_load_2addr_b64 v[23:26], v34 offset0:192 offset1:208
	s_waitcnt lgkmcnt(0)
	v_fma_f64 v[39:40], v[23:24], v[43:44], v[39:40]
	v_fma_f64 v[41:42], v[25:26], v[43:44], v[35:36]
	;; [unrolled: 1-line block ×4, first 2 shown]
	ds_load_2addr_b64 v[35:38], v34 offset0:224 offset1:240
	v_add_nc_u32_e32 v34, 0x800, v34
	s_waitcnt lgkmcnt(0)
	v_fma_f64 v[25:26], v[35:36], v[45:46], v[39:40]
	v_fma_f64 v[23:24], v[37:38], v[45:46], v[41:42]
	;; [unrolled: 1-line block ×4, first 2 shown]
	s_cbranch_scc1 .LBB58_55
; %bb.56:                               ;   in Loop: Header=BB58_6 Depth=2
	v_add_co_u32 v19, s5, v19, s12
	s_delay_alu instid0(VALU_DEP_1) | instskip(SKIP_1) | instid1(VALU_DEP_1)
	v_add_co_ci_u32_e64 v20, s5, s13, v20, s5
	v_add_co_u32 v9, s5, v9, 32
	v_add_co_ci_u32_e64 v10, s5, 0, v10, s5
	v_add_co_u32 v17, s5, v17, s18
	s_delay_alu instid0(VALU_DEP_1) | instskip(SKIP_1) | instid1(VALU_DEP_1)
	v_add_co_ci_u32_e64 v18, s5, s19, v18, s5
	v_add_co_u32 v21, s5, v21, 32
	v_add_co_ci_u32_e64 v22, s5, 0, v22, s5
	s_add_i32 s39, s39, 32
	s_delay_alu instid0(SALU_CYCLE_1)
	s_cmp_ge_i32 s39, s38
	s_barrier
	buffer_gl0_inv
	s_cbranch_scc0 .LBB58_6
.LBB58_57:                              ;   in Loop: Header=BB58_4 Depth=1
	s_delay_alu instid0(VALU_DEP_1) | instskip(SKIP_3) | instid1(VALU_DEP_2)
	v_mul_lo_u32 v10, v8, s16
	v_mul_lo_u32 v13, v7, s17
	v_mad_u64_u32 v[8:9], null, v7, s16, 0
	v_cmp_gt_i32_e64 s3, s10, v7
	v_add3_u32 v9, v9, v13, v10
	s_delay_alu instid0(VALU_DEP_1) | instskip(NEXT) | instid1(VALU_DEP_1)
	v_lshlrev_b64 v[8:9], 3, v[8:9]
	v_add_co_u32 v8, s4, s15, v8
	s_delay_alu instid0(VALU_DEP_1) | instskip(SKIP_1) | instid1(SALU_CYCLE_1)
	v_add_co_ci_u32_e64 v9, s4, s30, v9, s4
	s_and_b32 s4, s1, s3
	s_and_saveexec_b32 s5, s4
	s_cbranch_execz .LBB58_59
; %bb.58:                               ;   in Loop: Header=BB58_4 Depth=1
	v_add_co_u32 v13, s4, v8, v1
	s_delay_alu instid0(VALU_DEP_1)
	v_add_co_ci_u32_e64 v14, s4, v9, v2, s4
	global_load_b64 v[17:18], v[13:14], off
	s_waitcnt vmcnt(0)
	v_fma_f64 v[17:18], s[34:35], v[25:26], v[17:18]
	global_store_b64 v[13:14], v[17:18], off
.LBB58_59:                              ;   in Loop: Header=BB58_4 Depth=1
	s_or_b32 exec_lo, exec_lo, s5
	s_and_b32 s3, s2, s3
	s_delay_alu instid0(SALU_CYCLE_1)
	s_and_saveexec_b32 s4, s3
	s_cbranch_execz .LBB58_61
; %bb.60:                               ;   in Loop: Header=BB58_4 Depth=1
	v_lshlrev_b64 v[13:14], 3, v[3:4]
	s_delay_alu instid0(VALU_DEP_1) | instskip(NEXT) | instid1(VALU_DEP_1)
	v_add_co_u32 v8, s3, v8, v13
	v_add_co_ci_u32_e64 v9, s3, v9, v14, s3
	global_load_b64 v[13:14], v[8:9], off
	s_waitcnt vmcnt(0)
	v_fma_f64 v[13:14], s[34:35], v[23:24], v[13:14]
	global_store_b64 v[8:9], v[13:14], off
.LBB58_61:                              ;   in Loop: Header=BB58_4 Depth=1
	s_or_b32 exec_lo, exec_lo, s4
	v_add_nc_u32_e32 v9, 16, v7
	s_delay_alu instid0(VALU_DEP_1) | instskip(SKIP_3) | instid1(VALU_DEP_4)
	v_ashrrev_i32_e32 v10, 31, v9
	v_mul_lo_u32 v13, v9, s17
	v_mad_u64_u32 v[7:8], null, v9, s16, 0
	v_cmp_gt_i32_e64 s3, s10, v9
	v_mul_lo_u32 v10, v10, s16
	s_delay_alu instid0(VALU_DEP_1) | instskip(NEXT) | instid1(VALU_DEP_1)
	v_add3_u32 v8, v8, v13, v10
	v_lshlrev_b64 v[7:8], 3, v[7:8]
	s_delay_alu instid0(VALU_DEP_1) | instskip(NEXT) | instid1(VALU_DEP_1)
	v_add_co_u32 v7, s4, s15, v7
	v_add_co_ci_u32_e64 v8, s4, s30, v8, s4
	s_and_b32 s4, s1, s3
	s_delay_alu instid0(SALU_CYCLE_1)
	s_and_saveexec_b32 s5, s4
	s_cbranch_execnz .LBB58_63
; %bb.62:                               ;   in Loop: Header=BB58_4 Depth=1
	s_or_b32 exec_lo, exec_lo, s5
	s_and_b32 s3, s2, s3
	s_delay_alu instid0(SALU_CYCLE_1)
	s_and_saveexec_b32 s4, s3
	s_cbranch_execz .LBB58_3
	s_branch .LBB58_64
.LBB58_63:                              ;   in Loop: Header=BB58_4 Depth=1
	v_add_co_u32 v9, s4, v7, v1
	s_delay_alu instid0(VALU_DEP_1)
	v_add_co_ci_u32_e64 v10, s4, v8, v2, s4
	global_load_b64 v[13:14], v[9:10], off
	s_waitcnt vmcnt(0)
	v_fma_f64 v[13:14], s[34:35], v[15:16], v[13:14]
	global_store_b64 v[9:10], v[13:14], off
	s_or_b32 exec_lo, exec_lo, s5
	s_and_b32 s3, s2, s3
	s_delay_alu instid0(SALU_CYCLE_1)
	s_and_saveexec_b32 s4, s3
	s_cbranch_execz .LBB58_3
.LBB58_64:                              ;   in Loop: Header=BB58_4 Depth=1
	v_lshlrev_b64 v[9:10], 3, v[3:4]
	s_delay_alu instid0(VALU_DEP_1) | instskip(NEXT) | instid1(VALU_DEP_1)
	v_add_co_u32 v7, s3, v7, v9
	v_add_co_ci_u32_e64 v8, s3, v8, v10, s3
	global_load_b64 v[9:10], v[7:8], off
	s_waitcnt vmcnt(0)
	v_fma_f64 v[9:10], s[34:35], v[11:12], v[9:10]
	global_store_b64 v[7:8], v[9:10], off
	s_branch .LBB58_3
.LBB58_65:
	s_nop 0
	s_sendmsg sendmsg(MSG_DEALLOC_VGPRS)
	s_endpgm
	.section	.rodata,"a",@progbits
	.p2align	6, 0x0
	.amdhsa_kernel _ZL30rocblas_trmm_outofplace_kernelIdLi32ELi2ELb0ELb1ELb1ELb1EPKdS0_dEv17rocblas_diagonal_iiT6_lPT7_lllS5_lllPT8_llli
		.amdhsa_group_segment_fixed_size 16384
		.amdhsa_private_segment_fixed_size 0
		.amdhsa_kernarg_size 392
		.amdhsa_user_sgpr_count 13
		.amdhsa_user_sgpr_dispatch_ptr 0
		.amdhsa_user_sgpr_queue_ptr 0
		.amdhsa_user_sgpr_kernarg_segment_ptr 1
		.amdhsa_user_sgpr_dispatch_id 0
		.amdhsa_user_sgpr_private_segment_size 0
		.amdhsa_wavefront_size32 1
		.amdhsa_uses_dynamic_stack 0
		.amdhsa_enable_private_segment 0
		.amdhsa_system_sgpr_workgroup_id_x 1
		.amdhsa_system_sgpr_workgroup_id_y 1
		.amdhsa_system_sgpr_workgroup_id_z 1
		.amdhsa_system_sgpr_workgroup_info 0
		.amdhsa_system_vgpr_workitem_id 1
		.amdhsa_next_free_vgpr 58
		.amdhsa_next_free_sgpr 47
		.amdhsa_reserve_vcc 1
		.amdhsa_float_round_mode_32 0
		.amdhsa_float_round_mode_16_64 0
		.amdhsa_float_denorm_mode_32 3
		.amdhsa_float_denorm_mode_16_64 3
		.amdhsa_dx10_clamp 1
		.amdhsa_ieee_mode 1
		.amdhsa_fp16_overflow 0
		.amdhsa_workgroup_processor_mode 1
		.amdhsa_memory_ordered 1
		.amdhsa_forward_progress 0
		.amdhsa_shared_vgpr_count 0
		.amdhsa_exception_fp_ieee_invalid_op 0
		.amdhsa_exception_fp_denorm_src 0
		.amdhsa_exception_fp_ieee_div_zero 0
		.amdhsa_exception_fp_ieee_overflow 0
		.amdhsa_exception_fp_ieee_underflow 0
		.amdhsa_exception_fp_ieee_inexact 0
		.amdhsa_exception_int_div_zero 0
	.end_amdhsa_kernel
	.section	.text._ZL30rocblas_trmm_outofplace_kernelIdLi32ELi2ELb0ELb1ELb1ELb1EPKdS0_dEv17rocblas_diagonal_iiT6_lPT7_lllS5_lllPT8_llli,"axG",@progbits,_ZL30rocblas_trmm_outofplace_kernelIdLi32ELi2ELb0ELb1ELb1ELb1EPKdS0_dEv17rocblas_diagonal_iiT6_lPT7_lllS5_lllPT8_llli,comdat
.Lfunc_end58:
	.size	_ZL30rocblas_trmm_outofplace_kernelIdLi32ELi2ELb0ELb1ELb1ELb1EPKdS0_dEv17rocblas_diagonal_iiT6_lPT7_lllS5_lllPT8_llli, .Lfunc_end58-_ZL30rocblas_trmm_outofplace_kernelIdLi32ELi2ELb0ELb1ELb1ELb1EPKdS0_dEv17rocblas_diagonal_iiT6_lPT7_lllS5_lllPT8_llli
                                        ; -- End function
	.section	.AMDGPU.csdata,"",@progbits
; Kernel info:
; codeLenInByte = 2888
; NumSgprs: 49
; NumVgprs: 58
; ScratchSize: 0
; MemoryBound: 1
; FloatMode: 240
; IeeeMode: 1
; LDSByteSize: 16384 bytes/workgroup (compile time only)
; SGPRBlocks: 6
; VGPRBlocks: 7
; NumSGPRsForWavesPerEU: 49
; NumVGPRsForWavesPerEU: 58
; Occupancy: 16
; WaveLimiterHint : 0
; COMPUTE_PGM_RSRC2:SCRATCH_EN: 0
; COMPUTE_PGM_RSRC2:USER_SGPR: 13
; COMPUTE_PGM_RSRC2:TRAP_HANDLER: 0
; COMPUTE_PGM_RSRC2:TGID_X_EN: 1
; COMPUTE_PGM_RSRC2:TGID_Y_EN: 1
; COMPUTE_PGM_RSRC2:TGID_Z_EN: 1
; COMPUTE_PGM_RSRC2:TIDIG_COMP_CNT: 1
	.section	.text._ZL30rocblas_trmm_outofplace_kernelIdLi32ELi2ELb0ELb1ELb1ELb1EdKddEv17rocblas_diagonal_iiT6_lPT7_lllS4_lllPT8_llli,"axG",@progbits,_ZL30rocblas_trmm_outofplace_kernelIdLi32ELi2ELb0ELb1ELb1ELb1EdKddEv17rocblas_diagonal_iiT6_lPT7_lllS4_lllPT8_llli,comdat
	.globl	_ZL30rocblas_trmm_outofplace_kernelIdLi32ELi2ELb0ELb1ELb1ELb1EdKddEv17rocblas_diagonal_iiT6_lPT7_lllS4_lllPT8_llli ; -- Begin function _ZL30rocblas_trmm_outofplace_kernelIdLi32ELi2ELb0ELb1ELb1ELb1EdKddEv17rocblas_diagonal_iiT6_lPT7_lllS4_lllPT8_llli
	.p2align	8
	.type	_ZL30rocblas_trmm_outofplace_kernelIdLi32ELi2ELb0ELb1ELb1ELb1EdKddEv17rocblas_diagonal_iiT6_lPT7_lllS4_lllPT8_llli,@function
_ZL30rocblas_trmm_outofplace_kernelIdLi32ELi2ELb0ELb1ELb1ELb1EdKddEv17rocblas_diagonal_iiT6_lPT7_lllS4_lllPT8_llli: ; @_ZL30rocblas_trmm_outofplace_kernelIdLi32ELi2ELb0ELb1ELb1ELb1EdKddEv17rocblas_diagonal_iiT6_lPT7_lllS4_lllPT8_llli
; %bb.0:
	s_load_b64 s[34:35], s[0:1], 0x10
	s_waitcnt lgkmcnt(0)
	v_cmp_eq_f64_e64 s2, s[34:35], 0
	s_delay_alu instid0(VALU_DEP_1)
	s_and_b32 vcc_lo, exec_lo, s2
	s_cbranch_vccnz .LBB59_65
; %bb.1:
	s_load_b128 s[8:11], s[0:1], 0x0
	s_waitcnt lgkmcnt(0)
	s_add_i32 s2, s10, -1
	s_delay_alu instid0(SALU_CYCLE_1) | instskip(NEXT) | instid1(SALU_CYCLE_1)
	s_ashr_i32 s3, s2, 31
	s_lshr_b32 s3, s3, 27
	s_delay_alu instid0(SALU_CYCLE_1) | instskip(NEXT) | instid1(SALU_CYCLE_1)
	s_add_i32 s2, s2, s3
	s_ashr_i32 s33, s2, 5
	s_delay_alu instid0(SALU_CYCLE_1)
	s_cmp_gt_i32 s14, s33
	s_cbranch_scc1 .LBB59_65
; %bb.2:
	s_clause 0x1
	s_load_b512 s[16:31], s[0:1], 0x20
	s_load_b256 s[36:43], s[0:1], 0x60
	v_and_b32_e32 v26, 0x3ff, v0
	v_bfe_u32 v27, v0, 10, 10
	s_delay_alu instid0(VALU_DEP_2) | instskip(SKIP_1) | instid1(VALU_DEP_3)
	v_lshl_add_u32 v3, s13, 5, v26
	v_lshlrev_b32_e32 v2, 3, v26
	v_lshlrev_b32_e32 v28, 8, v27
	s_delay_alu instid0(VALU_DEP_3) | instskip(NEXT) | instid1(VALU_DEP_1)
	v_ashrrev_i32_e32 v4, 31, v3
	v_lshlrev_b64 v[0:1], 3, v[3:4]
	s_waitcnt lgkmcnt(0)
	s_mul_i32 s3, s15, s23
	s_mul_hi_u32 s4, s15, s22
	s_mul_i32 s2, s15, s22
	s_add_i32 s3, s4, s3
	s_mul_i32 s5, s15, s31
	s_lshl_b64 s[2:3], s[2:3], 3
	s_mul_hi_u32 s6, s15, s30
	s_add_u32 s7, s16, s2
	s_addc_u32 s11, s17, s3
	s_lshl_b64 s[2:3], s[18:19], 3
	s_mul_i32 s4, s15, s30
	s_add_u32 s30, s7, s2
	s_addc_u32 s31, s11, s3
	s_add_i32 s5, s6, s5
	s_mul_i32 s6, s15, s43
	s_lshl_b64 s[2:3], s[4:5], 3
	s_mul_hi_u32 s5, s15, s42
	s_add_u32 s7, s24, s2
	s_addc_u32 s11, s25, s3
	s_lshl_b64 s[2:3], s[26:27], 3
	s_mul_i32 s4, s15, s42
	s_add_u32 s7, s7, s2
	s_addc_u32 s11, s11, s3
	s_add_i32 s5, s5, s6
	v_add_co_u32 v29, vcc_lo, s7, v0
	s_lshl_b64 s[2:3], s[4:5], 3
	v_add_co_ci_u32_e32 v30, vcc_lo, s11, v1, vcc_lo
	s_add_u32 s4, s36, s2
	s_addc_u32 s5, s37, s3
	s_lshl_b64 s[2:3], s[38:39], 3
	s_load_b32 s38, s[0:1], 0x8c
	s_add_u32 s15, s4, s2
	s_addc_u32 s36, s5, s3
	s_cmpk_eq_i32 s8, 0x84
	v_sub_co_u32 v5, vcc_lo, s9, v3
	s_cselect_b32 s37, -1, 0
	s_ashr_i32 s2, s9, 31
	v_cmp_gt_i32_e64 s1, s9, v3
	v_sub_co_ci_u32_e32 v6, vcc_lo, s2, v4, vcc_lo
	v_mov_b32_e32 v4, 0
	s_ashr_i32 s11, s10, 31
	s_lshl_b64 s[12:13], s[20:21], 8
	s_delay_alu instid0(VALU_DEP_2)
	v_cmp_gt_i64_e32 vcc_lo, 1, v[5:6]
	v_cmp_gt_i64_e64 s0, 17, v[5:6]
	v_mov_b32_e32 v5, 0x3ff00000
	v_add_nc_u32_e32 v31, v28, v2
	v_or_b32_e32 v32, 0x2000, v2
	v_add_nc_u32_e32 v2, 16, v3
	s_lshl_b64 s[16:17], s[28:29], 8
	s_lshl_b64 s[18:19], s[20:21], 7
	;; [unrolled: 1-line block ×3, first 2 shown]
	v_add_nc_u32_e32 v33, v32, v28
	v_cmp_gt_i32_e64 s2, s9, v2
	v_ashrrev_i32_e32 v3, 31, v2
	s_add_u32 s22, s10, -16
	s_addc_u32 s23, s11, -1
	s_lshl_b64 s[24:25], s[28:29], 4
	s_lshl_b64 s[26:27], s[4:5], 3
	s_branch .LBB59_4
.LBB59_3:                               ;   in Loop: Header=BB59_4 Depth=1
	s_or_b32 exec_lo, exec_lo, s4
	s_waitcnt lgkmcnt(0)
	s_add_i32 s14, s38, s14
	s_delay_alu instid0(SALU_CYCLE_1)
	s_cmp_le_i32 s14, s33
	s_cbranch_scc0 .LBB59_65
.LBB59_4:                               ; =>This Loop Header: Depth=1
                                        ;     Child Loop BB59_6 Depth 2
                                        ;       Child Loop BB59_55 Depth 3
	s_lshl_b32 s3, s14, 5
	v_mov_b32_e32 v24, 0
	v_dual_mov_b32 v25, 0 :: v_dual_add_nc_u32 v6, s3, v27
	s_delay_alu instid0(VALU_DEP_2) | instskip(SKIP_1) | instid1(VALU_DEP_3)
	v_mov_b32_e32 v22, v24
	v_mov_b32_e32 v14, v24
	v_dual_mov_b32 v10, v24 :: v_dual_mov_b32 v11, v25
	v_mov_b32_e32 v23, v25
	v_mov_b32_e32 v15, v25
	v_ashrrev_i32_e32 v7, 31, v6
	s_sub_i32 s39, s10, s3
	s_delay_alu instid0(SALU_CYCLE_1)
	s_cmp_lt_i32 s39, 1
	s_cbranch_scc1 .LBB59_57
; %bb.5:                                ;   in Loop: Header=BB59_4 Depth=1
	v_add_nc_u32_e32 v8, s3, v26
	v_mul_lo_u32 v20, v7, s28
	v_mul_lo_u32 v21, v6, s29
	v_mad_u64_u32 v[16:17], null, v6, s28, 0
	s_delay_alu instid0(VALU_DEP_4) | instskip(SKIP_3) | instid1(VALU_DEP_4)
	v_ashrrev_i32_e32 v9, 31, v8
	v_mul_lo_u32 v10, v8, s21
	v_mad_u64_u32 v[14:15], null, v8, s20, 0
	v_lshlrev_b64 v[18:19], 3, v[6:7]
	v_mul_lo_u32 v11, v9, s20
	v_add3_u32 v17, v17, v21, v20
	v_add_co_u32 v12, s3, v6, 16
	s_delay_alu instid0(VALU_DEP_1) | instskip(NEXT) | instid1(VALU_DEP_3)
	v_add_co_ci_u32_e64 v13, s3, 0, v7, s3
	v_lshlrev_b64 v[16:17], 3, v[16:17]
	v_cmp_le_i32_e64 s3, s10, v6
	v_add3_u32 v15, v15, v10, v11
	v_mov_b32_e32 v10, 0
	v_mov_b32_e32 v11, 0
	v_cmp_le_i64_e64 s4, s[10:11], v[12:13]
	s_mov_b32 s42, 0
	v_lshlrev_b64 v[20:21], 3, v[14:15]
	s_delay_alu instid0(VALU_DEP_3) | instskip(SKIP_1) | instid1(VALU_DEP_3)
	v_dual_mov_b32 v15, v11 :: v_dual_mov_b32 v14, v10
	v_dual_mov_b32 v23, v11 :: v_dual_mov_b32 v22, v10
	v_add_co_u32 v20, s5, s30, v20
	s_delay_alu instid0(VALU_DEP_1) | instskip(SKIP_1) | instid1(VALU_DEP_1)
	v_add_co_ci_u32_e64 v21, s5, s31, v21, s5
	v_add_co_u32 v16, s5, v29, v16
	v_add_co_ci_u32_e64 v17, s5, v30, v17, s5
	s_delay_alu instid0(VALU_DEP_4) | instskip(NEXT) | instid1(VALU_DEP_1)
	v_add_co_u32 v18, s5, v20, v18
	v_add_co_ci_u32_e64 v19, s5, v21, v19, s5
	v_mov_b32_e32 v21, v7
	v_dual_mov_b32 v25, v11 :: v_dual_mov_b32 v24, v10
	v_mov_b32_e32 v20, v6
.LBB59_6:                               ;   Parent Loop BB59_4 Depth=1
                                        ; =>  This Loop Header: Depth=2
                                        ;       Child Loop BB59_55 Depth 3
	v_cmp_lt_i64_e64 s5, v[8:9], v[6:7]
	v_cmp_eq_u64_e64 s7, v[8:9], v[6:7]
	v_cmp_le_i64_e64 s6, s[10:11], v[8:9]
	s_delay_alu instid0(VALU_DEP_3) | instskip(NEXT) | instid1(VALU_DEP_2)
	s_or_b32 s8, s3, s5
	s_and_b32 s44, s37, s7
	s_delay_alu instid0(VALU_DEP_1) | instskip(NEXT) | instid1(SALU_CYCLE_1)
	s_or_b32 s7, s6, s8
	s_or_b32 s7, s7, s44
	s_delay_alu instid0(SALU_CYCLE_1) | instskip(NEXT) | instid1(SALU_CYCLE_1)
	s_xor_b32 s7, s7, -1
	s_and_saveexec_b32 s8, s7
	s_delay_alu instid0(SALU_CYCLE_1)
	s_xor_b32 s7, exec_lo, s8
	s_cbranch_execz .LBB59_8
; %bb.7:                                ;   in Loop: Header=BB59_6 Depth=2
	global_load_b64 v[34:35], v[18:19], off
	s_waitcnt vmcnt(0)
	ds_store_b64 v31, v[34:35]
.LBB59_8:                               ;   in Loop: Header=BB59_6 Depth=2
	s_or_saveexec_b32 s7, s7
	s_xor_b32 s43, s44, -1
	s_xor_b32 exec_lo, exec_lo, s7
	s_cbranch_execz .LBB59_14
; %bb.9:                                ;   in Loop: Header=BB59_6 Depth=2
	s_and_saveexec_b32 s8, s43
	s_delay_alu instid0(SALU_CYCLE_1)
	s_xor_b32 s8, exec_lo, s8
	s_cbranch_execz .LBB59_11
; %bb.10:                               ;   in Loop: Header=BB59_6 Depth=2
	v_mov_b32_e32 v34, v4
	v_mov_b32_e32 v35, v4
	ds_store_b64 v31, v[34:35]
.LBB59_11:                              ;   in Loop: Header=BB59_6 Depth=2
	s_and_not1_saveexec_b32 s8, s8
	s_cbranch_execz .LBB59_13
; %bb.12:                               ;   in Loop: Header=BB59_6 Depth=2
	ds_store_b64 v31, v[4:5]
.LBB59_13:                              ;   in Loop: Header=BB59_6 Depth=2
	s_or_b32 exec_lo, exec_lo, s8
.LBB59_14:                              ;   in Loop: Header=BB59_6 Depth=2
	s_delay_alu instid0(SALU_CYCLE_1) | instskip(SKIP_1) | instid1(VALU_DEP_1)
	s_or_b32 exec_lo, exec_lo, s7
	v_add_co_u32 v34, s7, v8, 16
	v_add_co_ci_u32_e64 v35, s7, 0, v9, s7
	s_delay_alu instid0(VALU_DEP_1) | instskip(SKIP_2) | instid1(VALU_DEP_3)
	v_cmp_lt_i64_e64 s8, v[34:35], v[6:7]
	v_cmp_eq_u64_e64 s9, v[34:35], v[6:7]
	v_cmp_le_i64_e64 s7, s[10:11], v[34:35]
	s_or_b32 s8, s3, s8
	s_delay_alu instid0(VALU_DEP_2) | instskip(NEXT) | instid1(VALU_DEP_1)
	s_and_b32 s9, s37, s9
	s_or_b32 s8, s7, s8
	s_delay_alu instid0(SALU_CYCLE_1) | instskip(NEXT) | instid1(SALU_CYCLE_1)
	s_or_b32 s8, s8, s9
	s_xor_b32 s8, s8, -1
	s_delay_alu instid0(SALU_CYCLE_1) | instskip(NEXT) | instid1(SALU_CYCLE_1)
	s_and_saveexec_b32 s45, s8
	s_xor_b32 s45, exec_lo, s45
	s_cbranch_execz .LBB59_16
; %bb.15:                               ;   in Loop: Header=BB59_6 Depth=2
	v_add_co_u32 v34, s8, v18, s18
	s_delay_alu instid0(VALU_DEP_1)
	v_add_co_ci_u32_e64 v35, s8, s19, v19, s8
	global_load_b64 v[34:35], v[34:35], off
	s_waitcnt vmcnt(0)
	ds_store_b64 v31, v[34:35] offset:128
.LBB59_16:                              ;   in Loop: Header=BB59_6 Depth=2
	s_and_not1_saveexec_b32 s8, s45
	s_cbranch_execz .LBB59_22
; %bb.17:                               ;   in Loop: Header=BB59_6 Depth=2
	s_xor_b32 s9, s9, -1
	s_delay_alu instid0(SALU_CYCLE_1) | instskip(NEXT) | instid1(SALU_CYCLE_1)
	s_and_saveexec_b32 s45, s9
	s_xor_b32 s9, exec_lo, s45
	s_cbranch_execz .LBB59_19
; %bb.18:                               ;   in Loop: Header=BB59_6 Depth=2
	v_mov_b32_e32 v34, v4
	v_mov_b32_e32 v35, v4
	ds_store_b64 v31, v[34:35] offset:128
.LBB59_19:                              ;   in Loop: Header=BB59_6 Depth=2
	s_and_not1_saveexec_b32 s9, s9
	s_cbranch_execz .LBB59_21
; %bb.20:                               ;   in Loop: Header=BB59_6 Depth=2
	ds_store_b64 v31, v[4:5] offset:128
.LBB59_21:                              ;   in Loop: Header=BB59_6 Depth=2
	s_or_b32 exec_lo, exec_lo, s9
.LBB59_22:                              ;   in Loop: Header=BB59_6 Depth=2
	s_delay_alu instid0(SALU_CYCLE_1) | instskip(SKIP_2) | instid1(VALU_DEP_2)
	s_or_b32 exec_lo, exec_lo, s8
	v_cmp_eq_u64_e64 s8, v[8:9], v[12:13]
	v_cmp_lt_i64_e64 s9, v[8:9], v[12:13]
	s_and_b32 s8, s37, s8
	s_delay_alu instid0(VALU_DEP_1) | instskip(NEXT) | instid1(SALU_CYCLE_1)
	s_or_b32 s9, s4, s9
	s_or_b32 s9, s9, s8
	s_delay_alu instid0(SALU_CYCLE_1) | instskip(NEXT) | instid1(SALU_CYCLE_1)
	s_or_b32 s6, s6, s9
	s_xor_b32 s6, s6, -1
	s_delay_alu instid0(SALU_CYCLE_1) | instskip(NEXT) | instid1(SALU_CYCLE_1)
	s_and_saveexec_b32 s9, s6
	s_xor_b32 s6, exec_lo, s9
	s_cbranch_execz .LBB59_24
; %bb.23:                               ;   in Loop: Header=BB59_6 Depth=2
	global_load_b64 v[34:35], v[18:19], off offset:128
	s_waitcnt vmcnt(0)
	ds_store_b64 v31, v[34:35] offset:4096
.LBB59_24:                              ;   in Loop: Header=BB59_6 Depth=2
	s_and_not1_saveexec_b32 s6, s6
	s_cbranch_execz .LBB59_30
; %bb.25:                               ;   in Loop: Header=BB59_6 Depth=2
	s_xor_b32 s8, s8, -1
	s_delay_alu instid0(SALU_CYCLE_1) | instskip(NEXT) | instid1(SALU_CYCLE_1)
	s_and_saveexec_b32 s9, s8
	s_xor_b32 s8, exec_lo, s9
	s_cbranch_execz .LBB59_27
; %bb.26:                               ;   in Loop: Header=BB59_6 Depth=2
	v_mov_b32_e32 v34, v4
	v_mov_b32_e32 v35, v4
	ds_store_b64 v31, v[34:35] offset:4096
.LBB59_27:                              ;   in Loop: Header=BB59_6 Depth=2
	s_and_not1_saveexec_b32 s8, s8
	s_cbranch_execz .LBB59_29
; %bb.28:                               ;   in Loop: Header=BB59_6 Depth=2
	ds_store_b64 v31, v[4:5] offset:4096
.LBB59_29:                              ;   in Loop: Header=BB59_6 Depth=2
	s_or_b32 exec_lo, exec_lo, s8
.LBB59_30:                              ;   in Loop: Header=BB59_6 Depth=2
	s_delay_alu instid0(SALU_CYCLE_1) | instskip(SKIP_1) | instid1(SALU_CYCLE_1)
	s_or_b32 exec_lo, exec_lo, s6
	s_or_b32 s5, s4, s5
	s_or_b32 s5, s7, s5
	s_delay_alu instid0(SALU_CYCLE_1) | instskip(NEXT) | instid1(SALU_CYCLE_1)
	s_or_b32 s5, s5, s44
	s_xor_b32 s5, s5, -1
	s_delay_alu instid0(SALU_CYCLE_1) | instskip(NEXT) | instid1(SALU_CYCLE_1)
	s_and_saveexec_b32 s6, s5
	s_xor_b32 s6, exec_lo, s6
	s_cbranch_execz .LBB59_32
; %bb.31:                               ;   in Loop: Header=BB59_6 Depth=2
	v_add_co_u32 v34, s5, v18, s26
	s_delay_alu instid0(VALU_DEP_1)
	v_add_co_ci_u32_e64 v35, s5, s27, v19, s5
	global_load_b64 v[34:35], v[34:35], off offset:128
	s_waitcnt vmcnt(0)
	ds_store_b64 v31, v[34:35] offset:4224
.LBB59_32:                              ;   in Loop: Header=BB59_6 Depth=2
	s_and_not1_saveexec_b32 s5, s6
	s_cbranch_execz .LBB59_38
; %bb.33:                               ;   in Loop: Header=BB59_6 Depth=2
	s_and_saveexec_b32 s6, s43
	s_delay_alu instid0(SALU_CYCLE_1)
	s_xor_b32 s6, exec_lo, s6
	s_cbranch_execz .LBB59_35
; %bb.34:                               ;   in Loop: Header=BB59_6 Depth=2
	v_mov_b32_e32 v34, v4
	v_mov_b32_e32 v35, v4
	ds_store_b64 v31, v[34:35] offset:4224
.LBB59_35:                              ;   in Loop: Header=BB59_6 Depth=2
	s_and_not1_saveexec_b32 s6, s6
	s_cbranch_execz .LBB59_37
; %bb.36:                               ;   in Loop: Header=BB59_6 Depth=2
	ds_store_b64 v31, v[4:5] offset:4224
.LBB59_37:                              ;   in Loop: Header=BB59_6 Depth=2
	s_or_b32 exec_lo, exec_lo, s6
.LBB59_38:                              ;   in Loop: Header=BB59_6 Depth=2
	s_delay_alu instid0(SALU_CYCLE_1) | instskip(SKIP_1) | instid1(VALU_DEP_1)
	s_or_b32 exec_lo, exec_lo, s5
	v_cmp_le_i64_e64 s5, s[10:11], v[20:21]
	s_or_b32 s6, s5, vcc_lo
	s_delay_alu instid0(SALU_CYCLE_1) | instskip(NEXT) | instid1(SALU_CYCLE_1)
	s_xor_b32 s6, s6, -1
	s_and_saveexec_b32 s7, s6
	s_delay_alu instid0(SALU_CYCLE_1)
	s_xor_b32 s6, exec_lo, s7
	s_cbranch_execz .LBB59_40
; %bb.39:                               ;   in Loop: Header=BB59_6 Depth=2
	global_load_b64 v[34:35], v[16:17], off
	s_waitcnt vmcnt(0)
	ds_store_b64 v33, v[34:35]
.LBB59_40:                              ;   in Loop: Header=BB59_6 Depth=2
	s_and_not1_saveexec_b32 s6, s6
	s_cbranch_execz .LBB59_42
; %bb.41:                               ;   in Loop: Header=BB59_6 Depth=2
	v_mov_b32_e32 v34, v4
	v_mov_b32_e32 v35, v4
	ds_store_b64 v33, v[34:35]
.LBB59_42:                              ;   in Loop: Header=BB59_6 Depth=2
	s_or_b32 exec_lo, exec_lo, s6
	s_or_b32 s5, s5, s0
	s_delay_alu instid0(SALU_CYCLE_1) | instskip(NEXT) | instid1(SALU_CYCLE_1)
	s_xor_b32 s5, s5, -1
	s_and_saveexec_b32 s6, s5
	s_delay_alu instid0(SALU_CYCLE_1)
	s_xor_b32 s5, exec_lo, s6
	s_cbranch_execz .LBB59_44
; %bb.43:                               ;   in Loop: Header=BB59_6 Depth=2
	global_load_b64 v[34:35], v[16:17], off offset:128
	s_waitcnt vmcnt(0)
	ds_store_b64 v33, v[34:35] offset:128
.LBB59_44:                              ;   in Loop: Header=BB59_6 Depth=2
	s_and_not1_saveexec_b32 s5, s5
	s_cbranch_execz .LBB59_46
; %bb.45:                               ;   in Loop: Header=BB59_6 Depth=2
	v_mov_b32_e32 v34, v4
	v_mov_b32_e32 v35, v4
	ds_store_b64 v33, v[34:35] offset:128
.LBB59_46:                              ;   in Loop: Header=BB59_6 Depth=2
	s_or_b32 exec_lo, exec_lo, s5
	v_cmp_le_i64_e64 s5, s[22:23], v[20:21]
	s_delay_alu instid0(VALU_DEP_1) | instskip(NEXT) | instid1(SALU_CYCLE_1)
	s_or_b32 s6, s5, vcc_lo
	s_xor_b32 s6, s6, -1
	s_delay_alu instid0(SALU_CYCLE_1) | instskip(NEXT) | instid1(SALU_CYCLE_1)
	s_and_saveexec_b32 s7, s6
	s_xor_b32 s7, exec_lo, s7
	s_cbranch_execz .LBB59_48
; %bb.47:                               ;   in Loop: Header=BB59_6 Depth=2
	s_lshl_b64 s[8:9], s[24:25], 3
	s_delay_alu instid0(SALU_CYCLE_1) | instskip(NEXT) | instid1(VALU_DEP_1)
	v_add_co_u32 v34, s6, v16, s8
	v_add_co_ci_u32_e64 v35, s6, s9, v17, s6
	global_load_b64 v[34:35], v[34:35], off
	s_waitcnt vmcnt(0)
	ds_store_b64 v33, v[34:35] offset:4096
.LBB59_48:                              ;   in Loop: Header=BB59_6 Depth=2
	s_and_not1_saveexec_b32 s6, s7
	s_cbranch_execz .LBB59_50
; %bb.49:                               ;   in Loop: Header=BB59_6 Depth=2
	v_mov_b32_e32 v34, v4
	v_mov_b32_e32 v35, v4
	ds_store_b64 v33, v[34:35] offset:4096
.LBB59_50:                              ;   in Loop: Header=BB59_6 Depth=2
	s_or_b32 exec_lo, exec_lo, s6
	s_or_b32 s5, s5, s0
	s_delay_alu instid0(SALU_CYCLE_1) | instskip(NEXT) | instid1(SALU_CYCLE_1)
	s_xor_b32 s5, s5, -1
	s_and_saveexec_b32 s6, s5
	s_delay_alu instid0(SALU_CYCLE_1)
	s_xor_b32 s6, exec_lo, s6
	s_cbranch_execz .LBB59_52
; %bb.51:                               ;   in Loop: Header=BB59_6 Depth=2
	s_lshl_b64 s[8:9], s[24:25], 3
	s_delay_alu instid0(SALU_CYCLE_1) | instskip(NEXT) | instid1(VALU_DEP_1)
	v_add_co_u32 v34, s5, v16, s8
	v_add_co_ci_u32_e64 v35, s5, s9, v17, s5
	global_load_b64 v[34:35], v[34:35], off offset:128
	s_waitcnt vmcnt(0)
	ds_store_b64 v33, v[34:35] offset:4224
.LBB59_52:                              ;   in Loop: Header=BB59_6 Depth=2
	s_and_not1_saveexec_b32 s5, s6
	s_cbranch_execz .LBB59_54
; %bb.53:                               ;   in Loop: Header=BB59_6 Depth=2
	v_mov_b32_e32 v34, v4
	v_mov_b32_e32 v35, v4
	ds_store_b64 v33, v[34:35] offset:4224
.LBB59_54:                              ;   in Loop: Header=BB59_6 Depth=2
	s_or_b32 exec_lo, exec_lo, s5
	v_mov_b32_e32 v34, v32
	s_mov_b32 s5, 0
	s_waitcnt lgkmcnt(0)
	s_waitcnt_vscnt null, 0x0
	s_barrier
	buffer_gl0_inv
.LBB59_55:                              ;   Parent Loop BB59_4 Depth=1
                                        ;     Parent Loop BB59_6 Depth=2
                                        ; =>    This Inner Loop Header: Depth=3
	v_add_nc_u32_e32 v57, s5, v28
	s_add_i32 s5, s5, 64
	ds_load_2addr_b64 v[35:38], v34 offset1:16
	ds_load_b128 v[39:42], v57
	ds_load_b128 v[43:46], v57 offset:4096
	ds_load_b128 v[47:50], v57 offset:16
	;; [unrolled: 1-line block ×3, first 2 shown]
	s_cmpk_lg_i32 s5, 0x100
	s_waitcnt lgkmcnt(3)
	v_fma_f64 v[55:56], v[35:36], v[39:40], v[24:25]
	v_fma_f64 v[39:40], v[37:38], v[39:40], v[22:23]
	s_waitcnt lgkmcnt(2)
	v_fma_f64 v[14:15], v[35:36], v[43:44], v[14:15]
	v_fma_f64 v[10:11], v[37:38], v[43:44], v[10:11]
	ds_load_2addr_b64 v[22:25], v34 offset0:32 offset1:48
	s_waitcnt lgkmcnt(0)
	v_fma_f64 v[35:36], v[22:23], v[41:42], v[55:56]
	v_fma_f64 v[37:38], v[24:25], v[41:42], v[39:40]
	v_fma_f64 v[14:15], v[22:23], v[45:46], v[14:15]
	v_fma_f64 v[10:11], v[24:25], v[45:46], v[10:11]
	ds_load_2addr_b64 v[22:25], v34 offset0:64 offset1:80
	s_waitcnt lgkmcnt(0)
	v_fma_f64 v[35:36], v[22:23], v[47:48], v[35:36]
	v_fma_f64 v[37:38], v[24:25], v[47:48], v[37:38]
	;; [unrolled: 6-line block ×3, first 2 shown]
	v_fma_f64 v[14:15], v[22:23], v[53:54], v[14:15]
	v_fma_f64 v[10:11], v[24:25], v[53:54], v[10:11]
	ds_load_2addr_b64 v[22:25], v34 offset0:128 offset1:144
	ds_load_b128 v[35:38], v57 offset:32
	ds_load_b128 v[39:42], v57 offset:4128
	;; [unrolled: 1-line block ×4, first 2 shown]
	s_waitcnt lgkmcnt(3)
	v_fma_f64 v[51:52], v[22:23], v[35:36], v[51:52]
	v_fma_f64 v[35:36], v[24:25], v[35:36], v[55:56]
	s_waitcnt lgkmcnt(2)
	v_fma_f64 v[14:15], v[22:23], v[39:40], v[14:15]
	v_fma_f64 v[10:11], v[24:25], v[39:40], v[10:11]
	ds_load_2addr_b64 v[22:25], v34 offset0:160 offset1:176
	s_waitcnt lgkmcnt(0)
	v_fma_f64 v[39:40], v[22:23], v[37:38], v[51:52]
	v_fma_f64 v[35:36], v[24:25], v[37:38], v[35:36]
	;; [unrolled: 1-line block ×4, first 2 shown]
	ds_load_2addr_b64 v[22:25], v34 offset0:192 offset1:208
	s_waitcnt lgkmcnt(0)
	v_fma_f64 v[39:40], v[22:23], v[43:44], v[39:40]
	v_fma_f64 v[41:42], v[24:25], v[43:44], v[35:36]
	;; [unrolled: 1-line block ×4, first 2 shown]
	ds_load_2addr_b64 v[35:38], v34 offset0:224 offset1:240
	v_add_nc_u32_e32 v34, 0x800, v34
	s_waitcnt lgkmcnt(0)
	v_fma_f64 v[24:25], v[35:36], v[45:46], v[39:40]
	v_fma_f64 v[22:23], v[37:38], v[45:46], v[41:42]
	;; [unrolled: 1-line block ×4, first 2 shown]
	s_cbranch_scc1 .LBB59_55
; %bb.56:                               ;   in Loop: Header=BB59_6 Depth=2
	v_add_co_u32 v18, s5, v18, s12
	s_delay_alu instid0(VALU_DEP_1) | instskip(SKIP_1) | instid1(VALU_DEP_1)
	v_add_co_ci_u32_e64 v19, s5, s13, v19, s5
	v_add_co_u32 v8, s5, v8, 32
	v_add_co_ci_u32_e64 v9, s5, 0, v9, s5
	v_add_co_u32 v16, s5, v16, s16
	s_delay_alu instid0(VALU_DEP_1) | instskip(SKIP_1) | instid1(VALU_DEP_1)
	v_add_co_ci_u32_e64 v17, s5, s17, v17, s5
	v_add_co_u32 v20, s5, v20, 32
	v_add_co_ci_u32_e64 v21, s5, 0, v21, s5
	s_add_i32 s42, s42, 32
	s_delay_alu instid0(SALU_CYCLE_1)
	s_cmp_ge_i32 s42, s39
	s_barrier
	buffer_gl0_inv
	s_cbranch_scc0 .LBB59_6
.LBB59_57:                              ;   in Loop: Header=BB59_4 Depth=1
	s_delay_alu instid0(VALU_DEP_1) | instskip(SKIP_3) | instid1(VALU_DEP_2)
	v_mul_lo_u32 v9, v7, s40
	v_mul_lo_u32 v12, v6, s41
	v_mad_u64_u32 v[7:8], null, v6, s40, 0
	v_cmp_gt_i32_e64 s3, s10, v6
	v_add3_u32 v8, v8, v12, v9
	s_delay_alu instid0(VALU_DEP_1) | instskip(NEXT) | instid1(VALU_DEP_1)
	v_lshlrev_b64 v[7:8], 3, v[7:8]
	v_add_co_u32 v7, s4, s15, v7
	s_delay_alu instid0(VALU_DEP_1) | instskip(SKIP_1) | instid1(SALU_CYCLE_1)
	v_add_co_ci_u32_e64 v8, s4, s36, v8, s4
	s_and_b32 s4, s1, s3
	s_and_saveexec_b32 s5, s4
	s_cbranch_execz .LBB59_59
; %bb.58:                               ;   in Loop: Header=BB59_4 Depth=1
	v_add_co_u32 v12, s4, v7, v0
	s_delay_alu instid0(VALU_DEP_1)
	v_add_co_ci_u32_e64 v13, s4, v8, v1, s4
	global_load_b64 v[16:17], v[12:13], off
	s_waitcnt vmcnt(0)
	v_fma_f64 v[16:17], v[24:25], s[34:35], v[16:17]
	global_store_b64 v[12:13], v[16:17], off
.LBB59_59:                              ;   in Loop: Header=BB59_4 Depth=1
	s_or_b32 exec_lo, exec_lo, s5
	s_and_b32 s3, s2, s3
	s_delay_alu instid0(SALU_CYCLE_1)
	s_and_saveexec_b32 s4, s3
	s_cbranch_execz .LBB59_61
; %bb.60:                               ;   in Loop: Header=BB59_4 Depth=1
	v_lshlrev_b64 v[12:13], 3, v[2:3]
	s_delay_alu instid0(VALU_DEP_1) | instskip(NEXT) | instid1(VALU_DEP_1)
	v_add_co_u32 v7, s3, v7, v12
	v_add_co_ci_u32_e64 v8, s3, v8, v13, s3
	global_load_b64 v[12:13], v[7:8], off
	s_waitcnt vmcnt(0)
	v_fma_f64 v[12:13], v[22:23], s[34:35], v[12:13]
	global_store_b64 v[7:8], v[12:13], off
.LBB59_61:                              ;   in Loop: Header=BB59_4 Depth=1
	s_or_b32 exec_lo, exec_lo, s4
	v_add_nc_u32_e32 v8, 16, v6
	s_delay_alu instid0(VALU_DEP_1) | instskip(SKIP_3) | instid1(VALU_DEP_4)
	v_ashrrev_i32_e32 v9, 31, v8
	v_mul_lo_u32 v12, v8, s41
	v_mad_u64_u32 v[6:7], null, v8, s40, 0
	v_cmp_gt_i32_e64 s3, s10, v8
	v_mul_lo_u32 v9, v9, s40
	s_delay_alu instid0(VALU_DEP_1) | instskip(NEXT) | instid1(VALU_DEP_1)
	v_add3_u32 v7, v7, v12, v9
	v_lshlrev_b64 v[6:7], 3, v[6:7]
	s_delay_alu instid0(VALU_DEP_1) | instskip(NEXT) | instid1(VALU_DEP_1)
	v_add_co_u32 v6, s4, s15, v6
	v_add_co_ci_u32_e64 v7, s4, s36, v7, s4
	s_and_b32 s4, s1, s3
	s_delay_alu instid0(SALU_CYCLE_1)
	s_and_saveexec_b32 s5, s4
	s_cbranch_execnz .LBB59_63
; %bb.62:                               ;   in Loop: Header=BB59_4 Depth=1
	s_or_b32 exec_lo, exec_lo, s5
	s_and_b32 s3, s2, s3
	s_delay_alu instid0(SALU_CYCLE_1)
	s_and_saveexec_b32 s4, s3
	s_cbranch_execz .LBB59_3
	s_branch .LBB59_64
.LBB59_63:                              ;   in Loop: Header=BB59_4 Depth=1
	v_add_co_u32 v8, s4, v6, v0
	s_delay_alu instid0(VALU_DEP_1)
	v_add_co_ci_u32_e64 v9, s4, v7, v1, s4
	global_load_b64 v[12:13], v[8:9], off
	s_waitcnt vmcnt(0)
	v_fma_f64 v[12:13], v[14:15], s[34:35], v[12:13]
	global_store_b64 v[8:9], v[12:13], off
	s_or_b32 exec_lo, exec_lo, s5
	s_and_b32 s3, s2, s3
	s_delay_alu instid0(SALU_CYCLE_1)
	s_and_saveexec_b32 s4, s3
	s_cbranch_execz .LBB59_3
.LBB59_64:                              ;   in Loop: Header=BB59_4 Depth=1
	v_lshlrev_b64 v[8:9], 3, v[2:3]
	s_delay_alu instid0(VALU_DEP_1) | instskip(NEXT) | instid1(VALU_DEP_1)
	v_add_co_u32 v6, s3, v6, v8
	v_add_co_ci_u32_e64 v7, s3, v7, v9, s3
	global_load_b64 v[8:9], v[6:7], off
	s_waitcnt vmcnt(0)
	v_fma_f64 v[8:9], v[10:11], s[34:35], v[8:9]
	global_store_b64 v[6:7], v[8:9], off
	s_branch .LBB59_3
.LBB59_65:
	s_nop 0
	s_sendmsg sendmsg(MSG_DEALLOC_VGPRS)
	s_endpgm
	.section	.rodata,"a",@progbits
	.p2align	6, 0x0
	.amdhsa_kernel _ZL30rocblas_trmm_outofplace_kernelIdLi32ELi2ELb0ELb1ELb1ELb1EdKddEv17rocblas_diagonal_iiT6_lPT7_lllS4_lllPT8_llli
		.amdhsa_group_segment_fixed_size 16384
		.amdhsa_private_segment_fixed_size 0
		.amdhsa_kernarg_size 392
		.amdhsa_user_sgpr_count 13
		.amdhsa_user_sgpr_dispatch_ptr 0
		.amdhsa_user_sgpr_queue_ptr 0
		.amdhsa_user_sgpr_kernarg_segment_ptr 1
		.amdhsa_user_sgpr_dispatch_id 0
		.amdhsa_user_sgpr_private_segment_size 0
		.amdhsa_wavefront_size32 1
		.amdhsa_uses_dynamic_stack 0
		.amdhsa_enable_private_segment 0
		.amdhsa_system_sgpr_workgroup_id_x 1
		.amdhsa_system_sgpr_workgroup_id_y 1
		.amdhsa_system_sgpr_workgroup_id_z 1
		.amdhsa_system_sgpr_workgroup_info 0
		.amdhsa_system_vgpr_workitem_id 1
		.amdhsa_next_free_vgpr 58
		.amdhsa_next_free_sgpr 46
		.amdhsa_reserve_vcc 1
		.amdhsa_float_round_mode_32 0
		.amdhsa_float_round_mode_16_64 0
		.amdhsa_float_denorm_mode_32 3
		.amdhsa_float_denorm_mode_16_64 3
		.amdhsa_dx10_clamp 1
		.amdhsa_ieee_mode 1
		.amdhsa_fp16_overflow 0
		.amdhsa_workgroup_processor_mode 1
		.amdhsa_memory_ordered 1
		.amdhsa_forward_progress 0
		.amdhsa_shared_vgpr_count 0
		.amdhsa_exception_fp_ieee_invalid_op 0
		.amdhsa_exception_fp_denorm_src 0
		.amdhsa_exception_fp_ieee_div_zero 0
		.amdhsa_exception_fp_ieee_overflow 0
		.amdhsa_exception_fp_ieee_underflow 0
		.amdhsa_exception_fp_ieee_inexact 0
		.amdhsa_exception_int_div_zero 0
	.end_amdhsa_kernel
	.section	.text._ZL30rocblas_trmm_outofplace_kernelIdLi32ELi2ELb0ELb1ELb1ELb1EdKddEv17rocblas_diagonal_iiT6_lPT7_lllS4_lllPT8_llli,"axG",@progbits,_ZL30rocblas_trmm_outofplace_kernelIdLi32ELi2ELb0ELb1ELb1ELb1EdKddEv17rocblas_diagonal_iiT6_lPT7_lllS4_lllPT8_llli,comdat
.Lfunc_end59:
	.size	_ZL30rocblas_trmm_outofplace_kernelIdLi32ELi2ELb0ELb1ELb1ELb1EdKddEv17rocblas_diagonal_iiT6_lPT7_lllS4_lllPT8_llli, .Lfunc_end59-_ZL30rocblas_trmm_outofplace_kernelIdLi32ELi2ELb0ELb1ELb1ELb1EdKddEv17rocblas_diagonal_iiT6_lPT7_lllS4_lllPT8_llli
                                        ; -- End function
	.section	.AMDGPU.csdata,"",@progbits
; Kernel info:
; codeLenInByte = 2848
; NumSgprs: 48
; NumVgprs: 58
; ScratchSize: 0
; MemoryBound: 1
; FloatMode: 240
; IeeeMode: 1
; LDSByteSize: 16384 bytes/workgroup (compile time only)
; SGPRBlocks: 5
; VGPRBlocks: 7
; NumSGPRsForWavesPerEU: 48
; NumVGPRsForWavesPerEU: 58
; Occupancy: 16
; WaveLimiterHint : 0
; COMPUTE_PGM_RSRC2:SCRATCH_EN: 0
; COMPUTE_PGM_RSRC2:USER_SGPR: 13
; COMPUTE_PGM_RSRC2:TRAP_HANDLER: 0
; COMPUTE_PGM_RSRC2:TGID_X_EN: 1
; COMPUTE_PGM_RSRC2:TGID_Y_EN: 1
; COMPUTE_PGM_RSRC2:TGID_Z_EN: 1
; COMPUTE_PGM_RSRC2:TIDIG_COMP_CNT: 1
	.section	.text._ZL23rocblas_trmm_lNx_kernelILi32EdPKdS0_dEv13rocblas_fill_17rocblas_diagonal_iiT1_lPT2_llS6_llPT3_lli,"axG",@progbits,_ZL23rocblas_trmm_lNx_kernelILi32EdPKdS0_dEv13rocblas_fill_17rocblas_diagonal_iiT1_lPT2_llS6_llPT3_lli,comdat
	.globl	_ZL23rocblas_trmm_lNx_kernelILi32EdPKdS0_dEv13rocblas_fill_17rocblas_diagonal_iiT1_lPT2_llS6_llPT3_lli ; -- Begin function _ZL23rocblas_trmm_lNx_kernelILi32EdPKdS0_dEv13rocblas_fill_17rocblas_diagonal_iiT1_lPT2_llS6_llPT3_lli
	.p2align	8
	.type	_ZL23rocblas_trmm_lNx_kernelILi32EdPKdS0_dEv13rocblas_fill_17rocblas_diagonal_iiT1_lPT2_llS6_llPT3_lli,@function
_ZL23rocblas_trmm_lNx_kernelILi32EdPKdS0_dEv13rocblas_fill_17rocblas_diagonal_iiT1_lPT2_llS6_llPT3_lli: ; @_ZL23rocblas_trmm_lNx_kernelILi32EdPKdS0_dEv13rocblas_fill_17rocblas_diagonal_iiT1_lPT2_llS6_llPT3_lli
; %bb.0:
	s_load_b512 s[16:31], s[0:1], 0x10
	s_waitcnt lgkmcnt(0)
	s_mul_i32 s2, s15, s19
	s_mul_hi_u32 s3, s15, s18
	s_delay_alu instid0(SALU_CYCLE_1) | instskip(SKIP_1) | instid1(SALU_CYCLE_1)
	s_add_i32 s3, s3, s2
	s_mul_i32 s2, s15, s18
	s_lshl_b64 s[2:3], s[2:3], 3
	s_delay_alu instid0(SALU_CYCLE_1) | instskip(SKIP_4) | instid1(VALU_DEP_1)
	s_add_u32 s2, s16, s2
	s_addc_u32 s3, s17, s3
	s_load_b64 s[8:9], s[2:3], 0x0
	s_waitcnt lgkmcnt(0)
	v_cmp_eq_f64_e64 s2, s[8:9], 0
	s_and_b32 vcc_lo, exec_lo, s2
	s_cbranch_vccnz .LBB60_15
; %bb.1:
	s_load_b128 s[4:7], s[0:1], 0x0
	v_bfe_u32 v1, v0, 10, 10
	s_mov_b32 s10, 0
	s_delay_alu instid0(SALU_CYCLE_1) | instskip(SKIP_1) | instid1(VALU_DEP_2)
	s_mov_b32 s11, s10
	v_dual_mov_b32 v5, s10 :: v_dual_and_b32 v4, 0x3ff, v0
	v_lshlrev_b32_e32 v2, 5, v1
	v_mov_b32_e32 v6, s11
	s_delay_alu instid0(VALU_DEP_3) | instskip(NEXT) | instid1(VALU_DEP_3)
	v_lshlrev_b32_e32 v0, 3, v4
	v_add_lshl_u32 v3, v2, v4, 3
	ds_store_2addr_stride64_b64 v3, v[5:6], v[5:6] offset1:16
	s_waitcnt lgkmcnt(0)
	v_cmp_gt_i32_e64 s2, s6, v1
	v_cmp_gt_i32_e32 vcc_lo, s6, v4
	s_delay_alu instid0(VALU_DEP_2) | instskip(NEXT) | instid1(SALU_CYCLE_1)
	s_and_b32 s2, s2, vcc_lo
	s_and_saveexec_b32 s3, s2
	s_cbranch_execz .LBB60_3
; %bb.2:
	v_mad_u64_u32 v[5:6], null, v1, s22, 0
	s_mul_i32 s2, s15, s25
	s_mul_hi_u32 s6, s15, s24
	s_mul_i32 s10, s15, s24
	s_add_i32 s11, s6, s2
	s_delay_alu instid0(SALU_CYCLE_1) | instskip(NEXT) | instid1(VALU_DEP_1)
	s_lshl_b64 s[10:11], s[10:11], 3
	v_mad_u64_u32 v[7:8], null, v1, s23, v[6:7]
	s_add_u32 s2, s20, s10
	s_addc_u32 s6, s21, s11
	s_delay_alu instid0(VALU_DEP_1) | instskip(NEXT) | instid1(VALU_DEP_1)
	v_mov_b32_e32 v6, v7
	v_lshlrev_b64 v[5:6], 3, v[5:6]
	s_delay_alu instid0(VALU_DEP_1) | instskip(NEXT) | instid1(VALU_DEP_1)
	v_add_co_u32 v5, s2, s2, v5
	v_add_co_ci_u32_e64 v6, s2, s6, v6, s2
	s_delay_alu instid0(VALU_DEP_2) | instskip(NEXT) | instid1(VALU_DEP_1)
	v_add_co_u32 v5, s2, v5, v0
	v_add_co_ci_u32_e64 v6, s2, 0, v6, s2
	global_load_b64 v[5:6], v[5:6], off
	s_waitcnt vmcnt(0)
	ds_store_b64 v3, v[5:6]
.LBB60_3:
	s_or_b32 exec_lo, exec_lo, s3
	s_add_i32 s2, s7, -1
	s_delay_alu instid0(SALU_CYCLE_1) | instskip(NEXT) | instid1(SALU_CYCLE_1)
	s_ashr_i32 s3, s2, 31
	s_lshr_b32 s3, s3, 27
	s_delay_alu instid0(SALU_CYCLE_1) | instskip(NEXT) | instid1(SALU_CYCLE_1)
	s_add_i32 s2, s2, s3
	s_and_b32 s3, s2, 0xffffffe0
	s_ashr_i32 s2, s2, 5
	s_sub_i32 s3, s7, s3
	s_cmp_ge_i32 s14, s2
	s_cselect_b32 s2, s3, 32
	s_lshl_b32 s3, s14, 5
	v_cmp_gt_i32_e64 s2, s2, v1
	s_ashr_i32 s6, s3, 31
	s_delay_alu instid0(VALU_DEP_1) | instskip(NEXT) | instid1(SALU_CYCLE_1)
	s_and_b32 s2, vcc_lo, s2
	s_and_saveexec_b32 s7, s2
	s_cbranch_execz .LBB60_5
; %bb.4:
	v_mad_u64_u32 v[5:6], null, v1, s28, 0
	s_mul_i32 s11, s15, s31
	s_mul_hi_u32 s12, s15, s30
	s_mul_i32 s10, s15, s30
	s_add_i32 s11, s12, s11
	s_mul_i32 s13, s3, s29
	s_lshl_b64 s[10:11], s[10:11], 3
	s_delay_alu instid0(VALU_DEP_1)
	v_mad_u64_u32 v[7:8], null, v1, s29, v[6:7]
	s_mul_hi_u32 s12, s3, s28
	s_add_u32 s16, s26, s10
	s_mul_i32 s14, s6, s28
	s_addc_u32 s17, s27, s11
	s_add_i32 s11, s12, s13
	s_mul_i32 s10, s3, s28
	s_delay_alu instid0(VALU_DEP_1) | instskip(SKIP_1) | instid1(SALU_CYCLE_1)
	v_dual_mov_b32 v6, v7 :: v_dual_add_nc_u32 v7, 0x2000, v3
	s_add_i32 s11, s11, s14
	s_lshl_b64 s[10:11], s[10:11], 3
	s_delay_alu instid0(VALU_DEP_1) | instskip(SKIP_2) | instid1(VALU_DEP_1)
	v_lshlrev_b64 v[5:6], 3, v[5:6]
	s_add_u32 s10, s16, s10
	s_addc_u32 s11, s17, s11
	v_add_co_u32 v5, vcc_lo, s10, v5
	s_delay_alu instid0(VALU_DEP_2) | instskip(NEXT) | instid1(VALU_DEP_2)
	v_add_co_ci_u32_e32 v6, vcc_lo, s11, v6, vcc_lo
	v_add_co_u32 v5, vcc_lo, v5, v0
	s_delay_alu instid0(VALU_DEP_2)
	v_add_co_ci_u32_e32 v6, vcc_lo, 0, v6, vcc_lo
	global_load_b64 v[5:6], v[5:6], off
	s_waitcnt vmcnt(0)
	ds_store_b64 v7, v[5:6]
.LBB60_5:
	s_or_b32 exec_lo, exec_lo, s7
	v_cmp_eq_u32_e32 vcc_lo, v1, v4
	s_cmpk_eq_i32 s5, 0x84
	s_cselect_b32 s5, -1, 0
	s_delay_alu instid0(SALU_CYCLE_1) | instskip(NEXT) | instid1(SALU_CYCLE_1)
	s_and_b32 s7, vcc_lo, s5
	s_and_saveexec_b32 s5, s7
	s_cbranch_execz .LBB60_7
; %bb.6:
	v_dual_mov_b32 v5, 0 :: v_dual_mov_b32 v6, 0x3ff00000
	ds_store_b64 v3, v[5:6]
.LBB60_7:
	s_or_b32 exec_lo, exec_lo, s5
	s_cmpk_lg_i32 s4, 0x79
	s_cbranch_scc0 .LBB60_9
; %bb.8:
	v_cmp_lt_u32_e32 vcc_lo, v4, v1
	s_and_b32 s4, vcc_lo, exec_lo
	s_cbranch_execz .LBB60_10
	s_branch .LBB60_11
.LBB60_9:
	s_mov_b32 s4, 0
.LBB60_10:
	v_cmp_gt_u32_e32 vcc_lo, v4, v1
	s_and_not1_b32 s4, s4, exec_lo
	s_and_b32 s5, vcc_lo, exec_lo
	s_delay_alu instid0(SALU_CYCLE_1)
	s_or_b32 s4, s4, s5
.LBB60_11:
	s_delay_alu instid0(SALU_CYCLE_1)
	s_and_saveexec_b32 s5, s4
	s_cbranch_execz .LBB60_13
; %bb.12:
	v_mov_b32_e32 v4, 0
	s_delay_alu instid0(VALU_DEP_1)
	v_mov_b32_e32 v5, v4
	ds_store_b64 v3, v[4:5]
.LBB60_13:
	s_or_b32 exec_lo, exec_lo, s5
	s_waitcnt lgkmcnt(0)
	s_barrier
	buffer_gl0_inv
	s_and_saveexec_b32 s4, s2
	s_cbranch_execz .LBB60_15
; %bb.14:
	v_lshlrev_b32_e32 v16, 3, v2
	v_add_nc_u32_e32 v17, 0x800, v0
	ds_load_2addr_b64 v[2:5], v0 offset1:32
	ds_load_b128 v[6:9], v16 offset:8192
	ds_load_b128 v[10:13], v16 offset:8208
	s_waitcnt lgkmcnt(1)
	v_fma_f64 v[2:3], v[2:3], v[6:7], 0
	s_delay_alu instid0(VALU_DEP_1) | instskip(SKIP_3) | instid1(VALU_DEP_1)
	v_fma_f64 v[6:7], v[4:5], v[8:9], v[2:3]
	ds_load_2addr_b64 v[2:5], v0 offset0:64 offset1:96
	s_waitcnt lgkmcnt(0)
	v_fma_f64 v[2:3], v[2:3], v[10:11], v[6:7]
	v_fma_f64 v[14:15], v[4:5], v[12:13], v[2:3]
	ds_load_2addr_b64 v[2:5], v0 offset0:128 offset1:160
	ds_load_b128 v[6:9], v16 offset:8224
	ds_load_b128 v[10:13], v16 offset:8240
	s_waitcnt lgkmcnt(1)
	v_fma_f64 v[2:3], v[2:3], v[6:7], v[14:15]
	s_delay_alu instid0(VALU_DEP_1) | instskip(SKIP_3) | instid1(VALU_DEP_1)
	v_fma_f64 v[6:7], v[4:5], v[8:9], v[2:3]
	ds_load_2addr_b64 v[2:5], v0 offset0:192 offset1:224
	s_waitcnt lgkmcnt(0)
	v_fma_f64 v[2:3], v[2:3], v[10:11], v[6:7]
	v_fma_f64 v[14:15], v[4:5], v[12:13], v[2:3]
	ds_load_2addr_b64 v[2:5], v17 offset1:32
	ds_load_b128 v[6:9], v16 offset:8256
	ds_load_b128 v[10:13], v16 offset:8272
	s_waitcnt lgkmcnt(1)
	v_fma_f64 v[2:3], v[2:3], v[6:7], v[14:15]
	s_delay_alu instid0(VALU_DEP_1) | instskip(SKIP_3) | instid1(VALU_DEP_1)
	v_fma_f64 v[6:7], v[4:5], v[8:9], v[2:3]
	ds_load_2addr_b64 v[2:5], v17 offset0:64 offset1:96
	s_waitcnt lgkmcnt(0)
	v_fma_f64 v[2:3], v[2:3], v[10:11], v[6:7]
	v_fma_f64 v[14:15], v[4:5], v[12:13], v[2:3]
	ds_load_2addr_b64 v[2:5], v17 offset0:128 offset1:160
	ds_load_b128 v[6:9], v16 offset:8288
	ds_load_b128 v[10:13], v16 offset:8304
	s_waitcnt lgkmcnt(1)
	v_fma_f64 v[2:3], v[2:3], v[6:7], v[14:15]
	s_delay_alu instid0(VALU_DEP_1) | instskip(SKIP_4) | instid1(VALU_DEP_1)
	v_fma_f64 v[6:7], v[4:5], v[8:9], v[2:3]
	ds_load_2addr_b64 v[2:5], v17 offset0:192 offset1:224
	v_add_nc_u32_e32 v17, 0x1000, v0
	s_waitcnt lgkmcnt(0)
	v_fma_f64 v[2:3], v[2:3], v[10:11], v[6:7]
	v_fma_f64 v[14:15], v[4:5], v[12:13], v[2:3]
	ds_load_2addr_b64 v[2:5], v17 offset1:32
	ds_load_b128 v[6:9], v16 offset:8320
	ds_load_b128 v[10:13], v16 offset:8336
	s_waitcnt lgkmcnt(1)
	v_fma_f64 v[2:3], v[2:3], v[6:7], v[14:15]
	s_delay_alu instid0(VALU_DEP_1) | instskip(SKIP_3) | instid1(VALU_DEP_1)
	v_fma_f64 v[6:7], v[4:5], v[8:9], v[2:3]
	ds_load_2addr_b64 v[2:5], v17 offset0:64 offset1:96
	s_waitcnt lgkmcnt(0)
	v_fma_f64 v[2:3], v[2:3], v[10:11], v[6:7]
	v_fma_f64 v[14:15], v[4:5], v[12:13], v[2:3]
	ds_load_2addr_b64 v[2:5], v17 offset0:128 offset1:160
	ds_load_b128 v[6:9], v16 offset:8352
	ds_load_b128 v[10:13], v16 offset:8368
	s_waitcnt lgkmcnt(1)
	v_fma_f64 v[2:3], v[2:3], v[6:7], v[14:15]
	s_delay_alu instid0(VALU_DEP_1) | instskip(SKIP_4) | instid1(VALU_DEP_1)
	v_fma_f64 v[6:7], v[4:5], v[8:9], v[2:3]
	ds_load_2addr_b64 v[2:5], v17 offset0:192 offset1:224
	v_add_nc_u32_e32 v17, 0x1800, v0
	s_waitcnt lgkmcnt(0)
	v_fma_f64 v[2:3], v[2:3], v[10:11], v[6:7]
	v_fma_f64 v[14:15], v[4:5], v[12:13], v[2:3]
	ds_load_2addr_b64 v[2:5], v17 offset1:32
	ds_load_b128 v[6:9], v16 offset:8384
	ds_load_b128 v[10:13], v16 offset:8400
	s_waitcnt lgkmcnt(1)
	v_fma_f64 v[2:3], v[2:3], v[6:7], v[14:15]
	s_delay_alu instid0(VALU_DEP_1) | instskip(SKIP_3) | instid1(VALU_DEP_1)
	v_fma_f64 v[6:7], v[4:5], v[8:9], v[2:3]
	ds_load_2addr_b64 v[2:5], v17 offset0:64 offset1:96
	s_waitcnt lgkmcnt(0)
	v_fma_f64 v[2:3], v[2:3], v[10:11], v[6:7]
	v_fma_f64 v[14:15], v[4:5], v[12:13], v[2:3]
	ds_load_2addr_b64 v[2:5], v17 offset0:128 offset1:160
	ds_load_b128 v[6:9], v16 offset:8416
	ds_load_b128 v[10:13], v16 offset:8432
	s_waitcnt lgkmcnt(1)
	v_fma_f64 v[2:3], v[2:3], v[6:7], v[14:15]
	s_delay_alu instid0(VALU_DEP_1)
	v_fma_f64 v[6:7], v[4:5], v[8:9], v[2:3]
	ds_load_2addr_b64 v[2:5], v17 offset0:192 offset1:224
	s_clause 0x1
	s_load_b128 s[16:19], s[0:1], 0x50
	s_load_b64 s[0:1], s[0:1], 0x60
	s_waitcnt lgkmcnt(0)
	s_mul_hi_u32 s4, s3, s18
	s_mul_i32 s1, s15, s1
	s_mul_hi_u32 s2, s15, s0
	s_mul_i32 s0, s15, s0
	s_add_i32 s1, s2, s1
	s_mul_i32 s6, s6, s18
	s_lshl_b64 s[0:1], s[0:1], 3
	s_delay_alu instid0(SALU_CYCLE_1) | instskip(SKIP_3) | instid1(SALU_CYCLE_1)
	s_add_u32 s2, s16, s0
	s_mul_i32 s0, s3, s19
	s_addc_u32 s5, s17, s1
	s_add_i32 s0, s4, s0
	s_add_i32 s1, s0, s6
	s_mul_i32 s0, s3, s18
	s_delay_alu instid0(SALU_CYCLE_1) | instskip(SKIP_3) | instid1(VALU_DEP_1)
	s_lshl_b64 s[0:1], s[0:1], 3
	v_fma_f64 v[2:3], v[2:3], v[10:11], v[6:7]
	s_add_u32 s0, s2, s0
	s_addc_u32 s1, s5, s1
	v_fma_f64 v[2:3], v[4:5], v[12:13], v[2:3]
	v_mad_u64_u32 v[4:5], null, v1, s18, 0
	s_delay_alu instid0(VALU_DEP_1) | instskip(NEXT) | instid1(VALU_DEP_1)
	v_mad_u64_u32 v[6:7], null, v1, s19, v[5:6]
	v_mov_b32_e32 v5, v6
	s_delay_alu instid0(VALU_DEP_1) | instskip(NEXT) | instid1(VALU_DEP_1)
	v_lshlrev_b64 v[4:5], 3, v[4:5]
	v_add_co_u32 v1, vcc_lo, s0, v4
	s_delay_alu instid0(VALU_DEP_2) | instskip(NEXT) | instid1(VALU_DEP_2)
	v_add_co_ci_u32_e32 v4, vcc_lo, s1, v5, vcc_lo
	v_add_co_u32 v0, vcc_lo, v1, v0
	s_delay_alu instid0(VALU_DEP_2)
	v_add_co_ci_u32_e32 v1, vcc_lo, 0, v4, vcc_lo
	v_mul_f64 v[2:3], s[8:9], v[2:3]
	global_store_b64 v[0:1], v[2:3], off
.LBB60_15:
	s_nop 0
	s_sendmsg sendmsg(MSG_DEALLOC_VGPRS)
	s_endpgm
	.section	.rodata,"a",@progbits
	.p2align	6, 0x0
	.amdhsa_kernel _ZL23rocblas_trmm_lNx_kernelILi32EdPKdS0_dEv13rocblas_fill_17rocblas_diagonal_iiT1_lPT2_llS6_llPT3_lli
		.amdhsa_group_segment_fixed_size 16384
		.amdhsa_private_segment_fixed_size 0
		.amdhsa_kernarg_size 108
		.amdhsa_user_sgpr_count 14
		.amdhsa_user_sgpr_dispatch_ptr 0
		.amdhsa_user_sgpr_queue_ptr 0
		.amdhsa_user_sgpr_kernarg_segment_ptr 1
		.amdhsa_user_sgpr_dispatch_id 0
		.amdhsa_user_sgpr_private_segment_size 0
		.amdhsa_wavefront_size32 1
		.amdhsa_uses_dynamic_stack 0
		.amdhsa_enable_private_segment 0
		.amdhsa_system_sgpr_workgroup_id_x 1
		.amdhsa_system_sgpr_workgroup_id_y 0
		.amdhsa_system_sgpr_workgroup_id_z 1
		.amdhsa_system_sgpr_workgroup_info 0
		.amdhsa_system_vgpr_workitem_id 1
		.amdhsa_next_free_vgpr 18
		.amdhsa_next_free_sgpr 32
		.amdhsa_reserve_vcc 1
		.amdhsa_float_round_mode_32 0
		.amdhsa_float_round_mode_16_64 0
		.amdhsa_float_denorm_mode_32 3
		.amdhsa_float_denorm_mode_16_64 3
		.amdhsa_dx10_clamp 1
		.amdhsa_ieee_mode 1
		.amdhsa_fp16_overflow 0
		.amdhsa_workgroup_processor_mode 1
		.amdhsa_memory_ordered 1
		.amdhsa_forward_progress 0
		.amdhsa_shared_vgpr_count 0
		.amdhsa_exception_fp_ieee_invalid_op 0
		.amdhsa_exception_fp_denorm_src 0
		.amdhsa_exception_fp_ieee_div_zero 0
		.amdhsa_exception_fp_ieee_overflow 0
		.amdhsa_exception_fp_ieee_underflow 0
		.amdhsa_exception_fp_ieee_inexact 0
		.amdhsa_exception_int_div_zero 0
	.end_amdhsa_kernel
	.section	.text._ZL23rocblas_trmm_lNx_kernelILi32EdPKdS0_dEv13rocblas_fill_17rocblas_diagonal_iiT1_lPT2_llS6_llPT3_lli,"axG",@progbits,_ZL23rocblas_trmm_lNx_kernelILi32EdPKdS0_dEv13rocblas_fill_17rocblas_diagonal_iiT1_lPT2_llS6_llPT3_lli,comdat
.Lfunc_end60:
	.size	_ZL23rocblas_trmm_lNx_kernelILi32EdPKdS0_dEv13rocblas_fill_17rocblas_diagonal_iiT1_lPT2_llS6_llPT3_lli, .Lfunc_end60-_ZL23rocblas_trmm_lNx_kernelILi32EdPKdS0_dEv13rocblas_fill_17rocblas_diagonal_iiT1_lPT2_llS6_llPT3_lli
                                        ; -- End function
	.section	.AMDGPU.csdata,"",@progbits
; Kernel info:
; codeLenInByte = 1540
; NumSgprs: 34
; NumVgprs: 18
; ScratchSize: 0
; MemoryBound: 0
; FloatMode: 240
; IeeeMode: 1
; LDSByteSize: 16384 bytes/workgroup (compile time only)
; SGPRBlocks: 4
; VGPRBlocks: 2
; NumSGPRsForWavesPerEU: 34
; NumVGPRsForWavesPerEU: 18
; Occupancy: 16
; WaveLimiterHint : 0
; COMPUTE_PGM_RSRC2:SCRATCH_EN: 0
; COMPUTE_PGM_RSRC2:USER_SGPR: 14
; COMPUTE_PGM_RSRC2:TRAP_HANDLER: 0
; COMPUTE_PGM_RSRC2:TGID_X_EN: 1
; COMPUTE_PGM_RSRC2:TGID_Y_EN: 0
; COMPUTE_PGM_RSRC2:TGID_Z_EN: 1
; COMPUTE_PGM_RSRC2:TIDIG_COMP_CNT: 1
	.section	.text._ZL23rocblas_trmm_lNx_kernelILi32EddKddEv13rocblas_fill_17rocblas_diagonal_iiT1_lPT2_llS5_llPT3_lli,"axG",@progbits,_ZL23rocblas_trmm_lNx_kernelILi32EddKddEv13rocblas_fill_17rocblas_diagonal_iiT1_lPT2_llS5_llPT3_lli,comdat
	.globl	_ZL23rocblas_trmm_lNx_kernelILi32EddKddEv13rocblas_fill_17rocblas_diagonal_iiT1_lPT2_llS5_llPT3_lli ; -- Begin function _ZL23rocblas_trmm_lNx_kernelILi32EddKddEv13rocblas_fill_17rocblas_diagonal_iiT1_lPT2_llS5_llPT3_lli
	.p2align	8
	.type	_ZL23rocblas_trmm_lNx_kernelILi32EddKddEv13rocblas_fill_17rocblas_diagonal_iiT1_lPT2_llS5_llPT3_lli,@function
_ZL23rocblas_trmm_lNx_kernelILi32EddKddEv13rocblas_fill_17rocblas_diagonal_iiT1_lPT2_llS5_llPT3_lli: ; @_ZL23rocblas_trmm_lNx_kernelILi32EddKddEv13rocblas_fill_17rocblas_diagonal_iiT1_lPT2_llS5_llPT3_lli
; %bb.0:
	s_load_b64 s[8:9], s[0:1], 0x10
	s_waitcnt lgkmcnt(0)
	v_cmp_eq_f64_e64 s2, s[8:9], 0
	s_delay_alu instid0(VALU_DEP_1)
	s_and_b32 vcc_lo, exec_lo, s2
	s_cbranch_vccnz .LBB61_15
; %bb.1:
	s_clause 0x1
	s_load_b128 s[4:7], s[0:1], 0x0
	s_load_b512 s[16:31], s[0:1], 0x20
	v_bfe_u32 v1, v0, 10, 10
	s_mov_b32 s10, 0
	s_delay_alu instid0(SALU_CYCLE_1) | instskip(SKIP_1) | instid1(VALU_DEP_2)
	s_mov_b32 s11, s10
	v_dual_mov_b32 v5, s10 :: v_dual_and_b32 v4, 0x3ff, v0
	v_lshlrev_b32_e32 v2, 5, v1
	v_mov_b32_e32 v6, s11
	s_delay_alu instid0(VALU_DEP_3) | instskip(NEXT) | instid1(VALU_DEP_3)
	v_lshlrev_b32_e32 v0, 3, v4
	v_add_lshl_u32 v3, v2, v4, 3
	ds_store_2addr_stride64_b64 v3, v[5:6], v[5:6] offset1:16
	s_waitcnt lgkmcnt(0)
	v_cmp_gt_i32_e64 s2, s6, v1
	v_cmp_gt_i32_e32 vcc_lo, s6, v4
	s_delay_alu instid0(VALU_DEP_2) | instskip(NEXT) | instid1(SALU_CYCLE_1)
	s_and_b32 s2, s2, vcc_lo
	s_and_saveexec_b32 s3, s2
	s_cbranch_execz .LBB61_3
; %bb.2:
	v_mad_u64_u32 v[5:6], null, v1, s18, 0
	s_mul_i32 s2, s15, s21
	s_mul_hi_u32 s6, s15, s20
	s_mul_i32 s10, s15, s20
	s_add_i32 s11, s6, s2
	s_delay_alu instid0(SALU_CYCLE_1) | instskip(NEXT) | instid1(VALU_DEP_1)
	s_lshl_b64 s[10:11], s[10:11], 3
	v_mad_u64_u32 v[7:8], null, v1, s19, v[6:7]
	s_add_u32 s2, s16, s10
	s_addc_u32 s6, s17, s11
	s_delay_alu instid0(VALU_DEP_1) | instskip(NEXT) | instid1(VALU_DEP_1)
	v_mov_b32_e32 v6, v7
	v_lshlrev_b64 v[5:6], 3, v[5:6]
	s_delay_alu instid0(VALU_DEP_1) | instskip(NEXT) | instid1(VALU_DEP_1)
	v_add_co_u32 v5, s2, s2, v5
	v_add_co_ci_u32_e64 v6, s2, s6, v6, s2
	s_delay_alu instid0(VALU_DEP_2) | instskip(NEXT) | instid1(VALU_DEP_1)
	v_add_co_u32 v5, s2, v5, v0
	v_add_co_ci_u32_e64 v6, s2, 0, v6, s2
	global_load_b64 v[5:6], v[5:6], off
	s_waitcnt vmcnt(0)
	ds_store_b64 v3, v[5:6]
.LBB61_3:
	s_or_b32 exec_lo, exec_lo, s3
	s_add_i32 s2, s7, -1
	s_delay_alu instid0(SALU_CYCLE_1) | instskip(NEXT) | instid1(SALU_CYCLE_1)
	s_ashr_i32 s3, s2, 31
	s_lshr_b32 s3, s3, 27
	s_delay_alu instid0(SALU_CYCLE_1) | instskip(NEXT) | instid1(SALU_CYCLE_1)
	s_add_i32 s2, s2, s3
	s_and_b32 s3, s2, 0xffffffe0
	s_ashr_i32 s2, s2, 5
	s_sub_i32 s3, s7, s3
	s_cmp_ge_i32 s14, s2
	s_cselect_b32 s2, s3, 32
	s_lshl_b32 s3, s14, 5
	v_cmp_gt_i32_e64 s2, s2, v1
	s_ashr_i32 s6, s3, 31
	s_delay_alu instid0(VALU_DEP_1) | instskip(NEXT) | instid1(SALU_CYCLE_1)
	s_and_b32 s2, vcc_lo, s2
	s_and_saveexec_b32 s7, s2
	s_cbranch_execz .LBB61_5
; %bb.4:
	v_mad_u64_u32 v[5:6], null, v1, s24, 0
	s_mul_i32 s11, s15, s27
	s_mul_hi_u32 s12, s15, s26
	s_mul_i32 s10, s15, s26
	s_add_i32 s11, s12, s11
	s_mul_i32 s13, s3, s25
	s_lshl_b64 s[10:11], s[10:11], 3
	s_delay_alu instid0(VALU_DEP_1)
	v_mad_u64_u32 v[7:8], null, v1, s25, v[6:7]
	s_mul_hi_u32 s12, s3, s24
	s_add_u32 s16, s22, s10
	s_mul_i32 s14, s6, s24
	s_addc_u32 s17, s23, s11
	s_add_i32 s11, s12, s13
	s_mul_i32 s10, s3, s24
	s_delay_alu instid0(VALU_DEP_1) | instskip(SKIP_1) | instid1(SALU_CYCLE_1)
	v_dual_mov_b32 v6, v7 :: v_dual_add_nc_u32 v7, 0x2000, v3
	s_add_i32 s11, s11, s14
	s_lshl_b64 s[10:11], s[10:11], 3
	s_delay_alu instid0(VALU_DEP_1) | instskip(SKIP_2) | instid1(VALU_DEP_1)
	v_lshlrev_b64 v[5:6], 3, v[5:6]
	s_add_u32 s10, s16, s10
	s_addc_u32 s11, s17, s11
	v_add_co_u32 v5, vcc_lo, s10, v5
	s_delay_alu instid0(VALU_DEP_2) | instskip(NEXT) | instid1(VALU_DEP_2)
	v_add_co_ci_u32_e32 v6, vcc_lo, s11, v6, vcc_lo
	v_add_co_u32 v5, vcc_lo, v5, v0
	s_delay_alu instid0(VALU_DEP_2)
	v_add_co_ci_u32_e32 v6, vcc_lo, 0, v6, vcc_lo
	global_load_b64 v[5:6], v[5:6], off
	s_waitcnt vmcnt(0)
	ds_store_b64 v7, v[5:6]
.LBB61_5:
	s_or_b32 exec_lo, exec_lo, s7
	v_cmp_eq_u32_e32 vcc_lo, v1, v4
	s_cmpk_eq_i32 s5, 0x84
	s_cselect_b32 s5, -1, 0
	s_delay_alu instid0(SALU_CYCLE_1) | instskip(NEXT) | instid1(SALU_CYCLE_1)
	s_and_b32 s7, vcc_lo, s5
	s_and_saveexec_b32 s5, s7
	s_cbranch_execz .LBB61_7
; %bb.6:
	v_dual_mov_b32 v5, 0 :: v_dual_mov_b32 v6, 0x3ff00000
	ds_store_b64 v3, v[5:6]
.LBB61_7:
	s_or_b32 exec_lo, exec_lo, s5
	s_cmpk_lg_i32 s4, 0x79
	s_cbranch_scc0 .LBB61_9
; %bb.8:
	v_cmp_lt_u32_e32 vcc_lo, v4, v1
	s_and_b32 s4, vcc_lo, exec_lo
	s_cbranch_execz .LBB61_10
	s_branch .LBB61_11
.LBB61_9:
	s_mov_b32 s4, 0
.LBB61_10:
	v_cmp_gt_u32_e32 vcc_lo, v4, v1
	s_and_not1_b32 s4, s4, exec_lo
	s_and_b32 s5, vcc_lo, exec_lo
	s_delay_alu instid0(SALU_CYCLE_1)
	s_or_b32 s4, s4, s5
.LBB61_11:
	s_delay_alu instid0(SALU_CYCLE_1)
	s_and_saveexec_b32 s5, s4
	s_cbranch_execz .LBB61_13
; %bb.12:
	v_mov_b32_e32 v4, 0
	s_delay_alu instid0(VALU_DEP_1)
	v_mov_b32_e32 v5, v4
	ds_store_b64 v3, v[4:5]
.LBB61_13:
	s_or_b32 exec_lo, exec_lo, s5
	s_waitcnt lgkmcnt(0)
	s_barrier
	buffer_gl0_inv
	s_and_saveexec_b32 s4, s2
	s_cbranch_execz .LBB61_15
; %bb.14:
	v_lshlrev_b32_e32 v16, 3, v2
	v_add_nc_u32_e32 v17, 0x800, v0
	s_load_b64 s[0:1], s[0:1], 0x60
	s_mul_hi_u32 s4, s3, s30
	ds_load_2addr_b64 v[2:5], v0 offset1:32
	ds_load_b128 v[6:9], v16 offset:8192
	ds_load_b128 v[10:13], v16 offset:8208
	s_mul_i32 s6, s6, s30
	s_waitcnt lgkmcnt(0)
	s_mul_i32 s1, s15, s1
	v_fma_f64 v[2:3], v[2:3], v[6:7], 0
	s_mul_hi_u32 s2, s15, s0
	s_mul_i32 s0, s15, s0
	s_add_i32 s1, s2, s1
	s_delay_alu instid0(SALU_CYCLE_1) | instskip(NEXT) | instid1(SALU_CYCLE_1)
	s_lshl_b64 s[0:1], s[0:1], 3
	s_add_u32 s2, s28, s0
	s_mul_i32 s0, s3, s31
	s_addc_u32 s5, s29, s1
	s_add_i32 s0, s4, s0
	s_delay_alu instid0(SALU_CYCLE_1) | instskip(SKIP_1) | instid1(SALU_CYCLE_1)
	s_add_i32 s1, s0, s6
	s_mul_i32 s0, s3, s30
	s_lshl_b64 s[0:1], s[0:1], 3
	s_delay_alu instid0(SALU_CYCLE_1) | instskip(SKIP_1) | instid1(VALU_DEP_1)
	s_add_u32 s0, s2, s0
	s_addc_u32 s1, s5, s1
	v_fma_f64 v[6:7], v[4:5], v[8:9], v[2:3]
	ds_load_2addr_b64 v[2:5], v0 offset0:64 offset1:96
	s_waitcnt lgkmcnt(0)
	v_fma_f64 v[2:3], v[2:3], v[10:11], v[6:7]
	s_delay_alu instid0(VALU_DEP_1)
	v_fma_f64 v[14:15], v[4:5], v[12:13], v[2:3]
	ds_load_2addr_b64 v[2:5], v0 offset0:128 offset1:160
	ds_load_b128 v[6:9], v16 offset:8224
	ds_load_b128 v[10:13], v16 offset:8240
	s_waitcnt lgkmcnt(1)
	v_fma_f64 v[2:3], v[2:3], v[6:7], v[14:15]
	s_delay_alu instid0(VALU_DEP_1) | instskip(SKIP_3) | instid1(VALU_DEP_1)
	v_fma_f64 v[6:7], v[4:5], v[8:9], v[2:3]
	ds_load_2addr_b64 v[2:5], v0 offset0:192 offset1:224
	s_waitcnt lgkmcnt(0)
	v_fma_f64 v[2:3], v[2:3], v[10:11], v[6:7]
	v_fma_f64 v[14:15], v[4:5], v[12:13], v[2:3]
	ds_load_2addr_b64 v[2:5], v17 offset1:32
	ds_load_b128 v[6:9], v16 offset:8256
	ds_load_b128 v[10:13], v16 offset:8272
	s_waitcnt lgkmcnt(1)
	v_fma_f64 v[2:3], v[2:3], v[6:7], v[14:15]
	s_delay_alu instid0(VALU_DEP_1) | instskip(SKIP_3) | instid1(VALU_DEP_1)
	v_fma_f64 v[6:7], v[4:5], v[8:9], v[2:3]
	ds_load_2addr_b64 v[2:5], v17 offset0:64 offset1:96
	s_waitcnt lgkmcnt(0)
	v_fma_f64 v[2:3], v[2:3], v[10:11], v[6:7]
	v_fma_f64 v[14:15], v[4:5], v[12:13], v[2:3]
	ds_load_2addr_b64 v[2:5], v17 offset0:128 offset1:160
	ds_load_b128 v[6:9], v16 offset:8288
	ds_load_b128 v[10:13], v16 offset:8304
	s_waitcnt lgkmcnt(1)
	v_fma_f64 v[2:3], v[2:3], v[6:7], v[14:15]
	s_delay_alu instid0(VALU_DEP_1) | instskip(SKIP_4) | instid1(VALU_DEP_1)
	v_fma_f64 v[6:7], v[4:5], v[8:9], v[2:3]
	ds_load_2addr_b64 v[2:5], v17 offset0:192 offset1:224
	v_add_nc_u32_e32 v17, 0x1000, v0
	s_waitcnt lgkmcnt(0)
	v_fma_f64 v[2:3], v[2:3], v[10:11], v[6:7]
	v_fma_f64 v[14:15], v[4:5], v[12:13], v[2:3]
	ds_load_2addr_b64 v[2:5], v17 offset1:32
	ds_load_b128 v[6:9], v16 offset:8320
	ds_load_b128 v[10:13], v16 offset:8336
	s_waitcnt lgkmcnt(1)
	v_fma_f64 v[2:3], v[2:3], v[6:7], v[14:15]
	s_delay_alu instid0(VALU_DEP_1) | instskip(SKIP_3) | instid1(VALU_DEP_1)
	v_fma_f64 v[6:7], v[4:5], v[8:9], v[2:3]
	ds_load_2addr_b64 v[2:5], v17 offset0:64 offset1:96
	s_waitcnt lgkmcnt(0)
	v_fma_f64 v[2:3], v[2:3], v[10:11], v[6:7]
	v_fma_f64 v[14:15], v[4:5], v[12:13], v[2:3]
	ds_load_2addr_b64 v[2:5], v17 offset0:128 offset1:160
	ds_load_b128 v[6:9], v16 offset:8352
	ds_load_b128 v[10:13], v16 offset:8368
	s_waitcnt lgkmcnt(1)
	v_fma_f64 v[2:3], v[2:3], v[6:7], v[14:15]
	s_delay_alu instid0(VALU_DEP_1) | instskip(SKIP_4) | instid1(VALU_DEP_1)
	v_fma_f64 v[6:7], v[4:5], v[8:9], v[2:3]
	ds_load_2addr_b64 v[2:5], v17 offset0:192 offset1:224
	v_add_nc_u32_e32 v17, 0x1800, v0
	s_waitcnt lgkmcnt(0)
	v_fma_f64 v[2:3], v[2:3], v[10:11], v[6:7]
	v_fma_f64 v[14:15], v[4:5], v[12:13], v[2:3]
	ds_load_2addr_b64 v[2:5], v17 offset1:32
	ds_load_b128 v[6:9], v16 offset:8384
	ds_load_b128 v[10:13], v16 offset:8400
	s_waitcnt lgkmcnt(1)
	v_fma_f64 v[2:3], v[2:3], v[6:7], v[14:15]
	s_delay_alu instid0(VALU_DEP_1) | instskip(SKIP_3) | instid1(VALU_DEP_1)
	v_fma_f64 v[6:7], v[4:5], v[8:9], v[2:3]
	ds_load_2addr_b64 v[2:5], v17 offset0:64 offset1:96
	s_waitcnt lgkmcnt(0)
	v_fma_f64 v[2:3], v[2:3], v[10:11], v[6:7]
	v_fma_f64 v[14:15], v[4:5], v[12:13], v[2:3]
	ds_load_2addr_b64 v[2:5], v17 offset0:128 offset1:160
	ds_load_b128 v[6:9], v16 offset:8416
	ds_load_b128 v[10:13], v16 offset:8432
	s_waitcnt lgkmcnt(1)
	v_fma_f64 v[2:3], v[2:3], v[6:7], v[14:15]
	s_delay_alu instid0(VALU_DEP_1) | instskip(SKIP_3) | instid1(VALU_DEP_1)
	v_fma_f64 v[6:7], v[4:5], v[8:9], v[2:3]
	ds_load_2addr_b64 v[2:5], v17 offset0:192 offset1:224
	s_waitcnt lgkmcnt(0)
	v_fma_f64 v[2:3], v[2:3], v[10:11], v[6:7]
	v_fma_f64 v[2:3], v[4:5], v[12:13], v[2:3]
	v_mad_u64_u32 v[4:5], null, v1, s30, 0
	s_delay_alu instid0(VALU_DEP_1) | instskip(NEXT) | instid1(VALU_DEP_1)
	v_mad_u64_u32 v[6:7], null, v1, s31, v[5:6]
	v_mov_b32_e32 v5, v6
	s_delay_alu instid0(VALU_DEP_1) | instskip(NEXT) | instid1(VALU_DEP_1)
	v_lshlrev_b64 v[4:5], 3, v[4:5]
	v_add_co_u32 v1, vcc_lo, s0, v4
	s_delay_alu instid0(VALU_DEP_2) | instskip(NEXT) | instid1(VALU_DEP_2)
	v_add_co_ci_u32_e32 v4, vcc_lo, s1, v5, vcc_lo
	v_add_co_u32 v0, vcc_lo, v1, v0
	s_delay_alu instid0(VALU_DEP_2)
	v_add_co_ci_u32_e32 v1, vcc_lo, 0, v4, vcc_lo
	v_mul_f64 v[2:3], v[2:3], s[8:9]
	global_store_b64 v[0:1], v[2:3], off
.LBB61_15:
	s_nop 0
	s_sendmsg sendmsg(MSG_DEALLOC_VGPRS)
	s_endpgm
	.section	.rodata,"a",@progbits
	.p2align	6, 0x0
	.amdhsa_kernel _ZL23rocblas_trmm_lNx_kernelILi32EddKddEv13rocblas_fill_17rocblas_diagonal_iiT1_lPT2_llS5_llPT3_lli
		.amdhsa_group_segment_fixed_size 16384
		.amdhsa_private_segment_fixed_size 0
		.amdhsa_kernarg_size 108
		.amdhsa_user_sgpr_count 14
		.amdhsa_user_sgpr_dispatch_ptr 0
		.amdhsa_user_sgpr_queue_ptr 0
		.amdhsa_user_sgpr_kernarg_segment_ptr 1
		.amdhsa_user_sgpr_dispatch_id 0
		.amdhsa_user_sgpr_private_segment_size 0
		.amdhsa_wavefront_size32 1
		.amdhsa_uses_dynamic_stack 0
		.amdhsa_enable_private_segment 0
		.amdhsa_system_sgpr_workgroup_id_x 1
		.amdhsa_system_sgpr_workgroup_id_y 0
		.amdhsa_system_sgpr_workgroup_id_z 1
		.amdhsa_system_sgpr_workgroup_info 0
		.amdhsa_system_vgpr_workitem_id 1
		.amdhsa_next_free_vgpr 18
		.amdhsa_next_free_sgpr 32
		.amdhsa_reserve_vcc 1
		.amdhsa_float_round_mode_32 0
		.amdhsa_float_round_mode_16_64 0
		.amdhsa_float_denorm_mode_32 3
		.amdhsa_float_denorm_mode_16_64 3
		.amdhsa_dx10_clamp 1
		.amdhsa_ieee_mode 1
		.amdhsa_fp16_overflow 0
		.amdhsa_workgroup_processor_mode 1
		.amdhsa_memory_ordered 1
		.amdhsa_forward_progress 0
		.amdhsa_shared_vgpr_count 0
		.amdhsa_exception_fp_ieee_invalid_op 0
		.amdhsa_exception_fp_denorm_src 0
		.amdhsa_exception_fp_ieee_div_zero 0
		.amdhsa_exception_fp_ieee_overflow 0
		.amdhsa_exception_fp_ieee_underflow 0
		.amdhsa_exception_fp_ieee_inexact 0
		.amdhsa_exception_int_div_zero 0
	.end_amdhsa_kernel
	.section	.text._ZL23rocblas_trmm_lNx_kernelILi32EddKddEv13rocblas_fill_17rocblas_diagonal_iiT1_lPT2_llS5_llPT3_lli,"axG",@progbits,_ZL23rocblas_trmm_lNx_kernelILi32EddKddEv13rocblas_fill_17rocblas_diagonal_iiT1_lPT2_llS5_llPT3_lli,comdat
.Lfunc_end61:
	.size	_ZL23rocblas_trmm_lNx_kernelILi32EddKddEv13rocblas_fill_17rocblas_diagonal_iiT1_lPT2_llS5_llPT3_lli, .Lfunc_end61-_ZL23rocblas_trmm_lNx_kernelILi32EddKddEv13rocblas_fill_17rocblas_diagonal_iiT1_lPT2_llS5_llPT3_lli
                                        ; -- End function
	.section	.AMDGPU.csdata,"",@progbits
; Kernel info:
; codeLenInByte = 1500
; NumSgprs: 34
; NumVgprs: 18
; ScratchSize: 0
; MemoryBound: 0
; FloatMode: 240
; IeeeMode: 1
; LDSByteSize: 16384 bytes/workgroup (compile time only)
; SGPRBlocks: 4
; VGPRBlocks: 2
; NumSGPRsForWavesPerEU: 34
; NumVGPRsForWavesPerEU: 18
; Occupancy: 16
; WaveLimiterHint : 0
; COMPUTE_PGM_RSRC2:SCRATCH_EN: 0
; COMPUTE_PGM_RSRC2:USER_SGPR: 14
; COMPUTE_PGM_RSRC2:TRAP_HANDLER: 0
; COMPUTE_PGM_RSRC2:TGID_X_EN: 1
; COMPUTE_PGM_RSRC2:TGID_Y_EN: 0
; COMPUTE_PGM_RSRC2:TGID_Z_EN: 1
; COMPUTE_PGM_RSRC2:TIDIG_COMP_CNT: 1
	.section	.text._ZL23rocblas_trmm_lTx_kernelILi32ELb0EdPKdS0_dEv13rocblas_fill_17rocblas_diagonal_iiT2_lPT3_llS6_llPT4_lli,"axG",@progbits,_ZL23rocblas_trmm_lTx_kernelILi32ELb0EdPKdS0_dEv13rocblas_fill_17rocblas_diagonal_iiT2_lPT3_llS6_llPT4_lli,comdat
	.globl	_ZL23rocblas_trmm_lTx_kernelILi32ELb0EdPKdS0_dEv13rocblas_fill_17rocblas_diagonal_iiT2_lPT3_llS6_llPT4_lli ; -- Begin function _ZL23rocblas_trmm_lTx_kernelILi32ELb0EdPKdS0_dEv13rocblas_fill_17rocblas_diagonal_iiT2_lPT3_llS6_llPT4_lli
	.p2align	8
	.type	_ZL23rocblas_trmm_lTx_kernelILi32ELb0EdPKdS0_dEv13rocblas_fill_17rocblas_diagonal_iiT2_lPT3_llS6_llPT4_lli,@function
_ZL23rocblas_trmm_lTx_kernelILi32ELb0EdPKdS0_dEv13rocblas_fill_17rocblas_diagonal_iiT2_lPT3_llS6_llPT4_lli: ; @_ZL23rocblas_trmm_lTx_kernelILi32ELb0EdPKdS0_dEv13rocblas_fill_17rocblas_diagonal_iiT2_lPT3_llS6_llPT4_lli
; %bb.0:
	s_load_b512 s[16:31], s[0:1], 0x10
	s_waitcnt lgkmcnt(0)
	s_mul_i32 s2, s15, s19
	s_mul_hi_u32 s3, s15, s18
	s_delay_alu instid0(SALU_CYCLE_1) | instskip(SKIP_1) | instid1(SALU_CYCLE_1)
	s_add_i32 s3, s3, s2
	s_mul_i32 s2, s15, s18
	s_lshl_b64 s[2:3], s[2:3], 3
	s_delay_alu instid0(SALU_CYCLE_1) | instskip(SKIP_4) | instid1(VALU_DEP_1)
	s_add_u32 s2, s16, s2
	s_addc_u32 s3, s17, s3
	s_load_b64 s[8:9], s[2:3], 0x0
	s_waitcnt lgkmcnt(0)
	v_cmp_eq_f64_e64 s2, s[8:9], 0
	s_and_b32 vcc_lo, exec_lo, s2
	s_cbranch_vccnz .LBB62_15
; %bb.1:
	s_load_b128 s[4:7], s[0:1], 0x0
	v_bfe_u32 v1, v0, 10, 10
	s_mov_b32 s2, 0
	s_delay_alu instid0(SALU_CYCLE_1) | instskip(SKIP_1) | instid1(VALU_DEP_2)
	s_mov_b32 s3, s2
	v_and_b32_e32 v4, 0x3ff, v0
	v_lshlrev_b32_e32 v2, 5, v1
	v_dual_mov_b32 v6, s3 :: v_dual_mov_b32 v5, s2
	s_delay_alu instid0(VALU_DEP_3) | instskip(NEXT) | instid1(VALU_DEP_3)
	v_lshlrev_b32_e32 v0, 3, v4
	v_add_lshl_u32 v3, v2, v4, 3
	ds_store_2addr_stride64_b64 v3, v[5:6], v[5:6] offset1:16
	s_waitcnt lgkmcnt(0)
	s_barrier
	buffer_gl0_inv
	v_cmp_gt_i32_e64 s2, s6, v1
	v_cmp_gt_i32_e32 vcc_lo, s6, v4
	s_delay_alu instid0(VALU_DEP_2) | instskip(NEXT) | instid1(SALU_CYCLE_1)
	s_and_b32 s2, s2, vcc_lo
	s_and_saveexec_b32 s3, s2
	s_cbranch_execz .LBB62_3
; %bb.2:
	v_mad_u64_u32 v[5:6], null, v1, s22, 0
	s_mul_i32 s2, s15, s25
	s_mul_hi_u32 s6, s15, s24
	s_mul_i32 s10, s15, s24
	s_add_i32 s11, s6, s2
	s_delay_alu instid0(SALU_CYCLE_1) | instskip(NEXT) | instid1(VALU_DEP_1)
	s_lshl_b64 s[10:11], s[10:11], 3
	v_mad_u64_u32 v[7:8], null, v1, s23, v[6:7]
	s_add_u32 s2, s20, s10
	s_addc_u32 s6, s21, s11
	s_delay_alu instid0(VALU_DEP_1) | instskip(NEXT) | instid1(VALU_DEP_1)
	v_dual_mov_b32 v6, v7 :: v_dual_lshlrev_b32 v7, 5, v4
	v_lshlrev_b64 v[5:6], 3, v[5:6]
	s_delay_alu instid0(VALU_DEP_2) | instskip(NEXT) | instid1(VALU_DEP_2)
	v_add_lshl_u32 v7, v7, v1, 3
	v_add_co_u32 v5, s2, s2, v5
	s_delay_alu instid0(VALU_DEP_1) | instskip(NEXT) | instid1(VALU_DEP_2)
	v_add_co_ci_u32_e64 v6, s2, s6, v6, s2
	v_add_co_u32 v5, s2, v5, v0
	s_delay_alu instid0(VALU_DEP_1)
	v_add_co_ci_u32_e64 v6, s2, 0, v6, s2
	global_load_b64 v[5:6], v[5:6], off
	s_waitcnt vmcnt(0)
	ds_store_b64 v7, v[5:6]
.LBB62_3:
	s_or_b32 exec_lo, exec_lo, s3
	s_add_i32 s2, s7, -1
	s_delay_alu instid0(SALU_CYCLE_1) | instskip(NEXT) | instid1(SALU_CYCLE_1)
	s_ashr_i32 s3, s2, 31
	s_lshr_b32 s3, s3, 27
	s_delay_alu instid0(SALU_CYCLE_1) | instskip(NEXT) | instid1(SALU_CYCLE_1)
	s_add_i32 s2, s2, s3
	s_and_b32 s3, s2, 0xffffffe0
	s_ashr_i32 s2, s2, 5
	s_sub_i32 s3, s7, s3
	s_cmp_ge_i32 s14, s2
	s_cselect_b32 s2, s3, 32
	s_lshl_b32 s3, s14, 5
	v_cmp_gt_i32_e64 s2, s2, v1
	s_ashr_i32 s6, s3, 31
	s_delay_alu instid0(VALU_DEP_1) | instskip(NEXT) | instid1(SALU_CYCLE_1)
	s_and_b32 s2, vcc_lo, s2
	s_and_saveexec_b32 s7, s2
	s_cbranch_execz .LBB62_5
; %bb.4:
	v_mad_u64_u32 v[5:6], null, v1, s28, 0
	s_mul_i32 s11, s15, s31
	s_mul_hi_u32 s12, s15, s30
	s_mul_i32 s10, s15, s30
	s_add_i32 s11, s12, s11
	s_mul_i32 s13, s3, s29
	s_lshl_b64 s[10:11], s[10:11], 3
	s_delay_alu instid0(VALU_DEP_1)
	v_mad_u64_u32 v[7:8], null, v1, s29, v[6:7]
	s_mul_hi_u32 s12, s3, s28
	s_add_u32 s16, s26, s10
	s_mul_i32 s14, s6, s28
	s_addc_u32 s17, s27, s11
	s_add_i32 s11, s12, s13
	s_mul_i32 s10, s3, s28
	s_delay_alu instid0(VALU_DEP_1) | instskip(SKIP_1) | instid1(SALU_CYCLE_1)
	v_dual_mov_b32 v6, v7 :: v_dual_add_nc_u32 v7, 0x2000, v3
	s_add_i32 s11, s11, s14
	s_lshl_b64 s[10:11], s[10:11], 3
	s_delay_alu instid0(VALU_DEP_1) | instskip(SKIP_2) | instid1(VALU_DEP_1)
	v_lshlrev_b64 v[5:6], 3, v[5:6]
	s_add_u32 s10, s16, s10
	s_addc_u32 s11, s17, s11
	v_add_co_u32 v5, vcc_lo, s10, v5
	s_delay_alu instid0(VALU_DEP_2) | instskip(NEXT) | instid1(VALU_DEP_2)
	v_add_co_ci_u32_e32 v6, vcc_lo, s11, v6, vcc_lo
	v_add_co_u32 v5, vcc_lo, v5, v0
	s_delay_alu instid0(VALU_DEP_2)
	v_add_co_ci_u32_e32 v6, vcc_lo, 0, v6, vcc_lo
	global_load_b64 v[5:6], v[5:6], off
	s_waitcnt vmcnt(0)
	ds_store_b64 v7, v[5:6]
.LBB62_5:
	s_or_b32 exec_lo, exec_lo, s7
	v_cmp_eq_u32_e32 vcc_lo, v1, v4
	s_cmpk_eq_i32 s5, 0x84
	s_cselect_b32 s5, -1, 0
	s_delay_alu instid0(SALU_CYCLE_1) | instskip(NEXT) | instid1(SALU_CYCLE_1)
	s_and_b32 s7, vcc_lo, s5
	s_and_saveexec_b32 s5, s7
	s_cbranch_execz .LBB62_7
; %bb.6:
	v_dual_mov_b32 v5, 0 :: v_dual_mov_b32 v6, 0x3ff00000
	ds_store_b64 v3, v[5:6]
.LBB62_7:
	s_or_b32 exec_lo, exec_lo, s5
	s_cmpk_lg_i32 s4, 0x7a
	s_waitcnt lgkmcnt(0)
	s_barrier
	buffer_gl0_inv
	s_cbranch_scc0 .LBB62_9
; %bb.8:
	v_cmp_lt_u32_e32 vcc_lo, v4, v1
	s_and_b32 s4, vcc_lo, exec_lo
	s_cbranch_execz .LBB62_10
	s_branch .LBB62_11
.LBB62_9:
	s_mov_b32 s4, 0
.LBB62_10:
	v_cmp_gt_u32_e32 vcc_lo, v4, v1
	s_and_not1_b32 s4, s4, exec_lo
	s_and_b32 s5, vcc_lo, exec_lo
	s_delay_alu instid0(SALU_CYCLE_1)
	s_or_b32 s4, s4, s5
.LBB62_11:
	s_delay_alu instid0(SALU_CYCLE_1)
	s_and_saveexec_b32 s5, s4
	s_cbranch_execz .LBB62_13
; %bb.12:
	v_mov_b32_e32 v4, 0
	s_delay_alu instid0(VALU_DEP_1)
	v_mov_b32_e32 v5, v4
	ds_store_b64 v3, v[4:5]
.LBB62_13:
	s_or_b32 exec_lo, exec_lo, s5
	s_waitcnt lgkmcnt(0)
	s_barrier
	buffer_gl0_inv
	s_and_saveexec_b32 s4, s2
	s_cbranch_execz .LBB62_15
; %bb.14:
	v_lshlrev_b32_e32 v16, 3, v2
	v_add_nc_u32_e32 v17, 0x800, v0
	ds_load_2addr_b64 v[2:5], v0 offset1:32
	ds_load_b128 v[6:9], v16 offset:8192
	ds_load_b128 v[10:13], v16 offset:8208
	s_waitcnt lgkmcnt(1)
	v_fma_f64 v[2:3], v[2:3], v[6:7], 0
	s_delay_alu instid0(VALU_DEP_1) | instskip(SKIP_3) | instid1(VALU_DEP_1)
	v_fma_f64 v[6:7], v[4:5], v[8:9], v[2:3]
	ds_load_2addr_b64 v[2:5], v0 offset0:64 offset1:96
	s_waitcnt lgkmcnt(0)
	v_fma_f64 v[2:3], v[2:3], v[10:11], v[6:7]
	v_fma_f64 v[14:15], v[4:5], v[12:13], v[2:3]
	ds_load_2addr_b64 v[2:5], v0 offset0:128 offset1:160
	ds_load_b128 v[6:9], v16 offset:8224
	ds_load_b128 v[10:13], v16 offset:8240
	s_waitcnt lgkmcnt(1)
	v_fma_f64 v[2:3], v[2:3], v[6:7], v[14:15]
	s_delay_alu instid0(VALU_DEP_1) | instskip(SKIP_3) | instid1(VALU_DEP_1)
	v_fma_f64 v[6:7], v[4:5], v[8:9], v[2:3]
	ds_load_2addr_b64 v[2:5], v0 offset0:192 offset1:224
	s_waitcnt lgkmcnt(0)
	v_fma_f64 v[2:3], v[2:3], v[10:11], v[6:7]
	v_fma_f64 v[14:15], v[4:5], v[12:13], v[2:3]
	ds_load_2addr_b64 v[2:5], v17 offset1:32
	ds_load_b128 v[6:9], v16 offset:8256
	ds_load_b128 v[10:13], v16 offset:8272
	s_waitcnt lgkmcnt(1)
	v_fma_f64 v[2:3], v[2:3], v[6:7], v[14:15]
	s_delay_alu instid0(VALU_DEP_1) | instskip(SKIP_3) | instid1(VALU_DEP_1)
	v_fma_f64 v[6:7], v[4:5], v[8:9], v[2:3]
	ds_load_2addr_b64 v[2:5], v17 offset0:64 offset1:96
	s_waitcnt lgkmcnt(0)
	v_fma_f64 v[2:3], v[2:3], v[10:11], v[6:7]
	v_fma_f64 v[14:15], v[4:5], v[12:13], v[2:3]
	ds_load_2addr_b64 v[2:5], v17 offset0:128 offset1:160
	ds_load_b128 v[6:9], v16 offset:8288
	ds_load_b128 v[10:13], v16 offset:8304
	s_waitcnt lgkmcnt(1)
	v_fma_f64 v[2:3], v[2:3], v[6:7], v[14:15]
	s_delay_alu instid0(VALU_DEP_1) | instskip(SKIP_4) | instid1(VALU_DEP_1)
	v_fma_f64 v[6:7], v[4:5], v[8:9], v[2:3]
	ds_load_2addr_b64 v[2:5], v17 offset0:192 offset1:224
	v_add_nc_u32_e32 v17, 0x1000, v0
	s_waitcnt lgkmcnt(0)
	v_fma_f64 v[2:3], v[2:3], v[10:11], v[6:7]
	v_fma_f64 v[14:15], v[4:5], v[12:13], v[2:3]
	ds_load_2addr_b64 v[2:5], v17 offset1:32
	ds_load_b128 v[6:9], v16 offset:8320
	ds_load_b128 v[10:13], v16 offset:8336
	s_waitcnt lgkmcnt(1)
	v_fma_f64 v[2:3], v[2:3], v[6:7], v[14:15]
	s_delay_alu instid0(VALU_DEP_1) | instskip(SKIP_3) | instid1(VALU_DEP_1)
	v_fma_f64 v[6:7], v[4:5], v[8:9], v[2:3]
	ds_load_2addr_b64 v[2:5], v17 offset0:64 offset1:96
	s_waitcnt lgkmcnt(0)
	v_fma_f64 v[2:3], v[2:3], v[10:11], v[6:7]
	v_fma_f64 v[14:15], v[4:5], v[12:13], v[2:3]
	ds_load_2addr_b64 v[2:5], v17 offset0:128 offset1:160
	ds_load_b128 v[6:9], v16 offset:8352
	ds_load_b128 v[10:13], v16 offset:8368
	s_waitcnt lgkmcnt(1)
	v_fma_f64 v[2:3], v[2:3], v[6:7], v[14:15]
	s_delay_alu instid0(VALU_DEP_1) | instskip(SKIP_4) | instid1(VALU_DEP_1)
	v_fma_f64 v[6:7], v[4:5], v[8:9], v[2:3]
	ds_load_2addr_b64 v[2:5], v17 offset0:192 offset1:224
	v_add_nc_u32_e32 v17, 0x1800, v0
	s_waitcnt lgkmcnt(0)
	v_fma_f64 v[2:3], v[2:3], v[10:11], v[6:7]
	v_fma_f64 v[14:15], v[4:5], v[12:13], v[2:3]
	ds_load_2addr_b64 v[2:5], v17 offset1:32
	ds_load_b128 v[6:9], v16 offset:8384
	ds_load_b128 v[10:13], v16 offset:8400
	s_waitcnt lgkmcnt(1)
	v_fma_f64 v[2:3], v[2:3], v[6:7], v[14:15]
	s_delay_alu instid0(VALU_DEP_1) | instskip(SKIP_3) | instid1(VALU_DEP_1)
	v_fma_f64 v[6:7], v[4:5], v[8:9], v[2:3]
	ds_load_2addr_b64 v[2:5], v17 offset0:64 offset1:96
	s_waitcnt lgkmcnt(0)
	v_fma_f64 v[2:3], v[2:3], v[10:11], v[6:7]
	v_fma_f64 v[14:15], v[4:5], v[12:13], v[2:3]
	ds_load_2addr_b64 v[2:5], v17 offset0:128 offset1:160
	ds_load_b128 v[6:9], v16 offset:8416
	ds_load_b128 v[10:13], v16 offset:8432
	s_waitcnt lgkmcnt(1)
	v_fma_f64 v[2:3], v[2:3], v[6:7], v[14:15]
	s_delay_alu instid0(VALU_DEP_1)
	v_fma_f64 v[6:7], v[4:5], v[8:9], v[2:3]
	ds_load_2addr_b64 v[2:5], v17 offset0:192 offset1:224
	s_clause 0x1
	s_load_b128 s[16:19], s[0:1], 0x50
	s_load_b64 s[0:1], s[0:1], 0x60
	s_waitcnt lgkmcnt(0)
	s_mul_hi_u32 s4, s3, s18
	s_mul_i32 s1, s15, s1
	s_mul_hi_u32 s2, s15, s0
	s_mul_i32 s0, s15, s0
	s_add_i32 s1, s2, s1
	s_mul_i32 s6, s6, s18
	s_lshl_b64 s[0:1], s[0:1], 3
	s_delay_alu instid0(SALU_CYCLE_1) | instskip(SKIP_3) | instid1(SALU_CYCLE_1)
	s_add_u32 s2, s16, s0
	s_mul_i32 s0, s3, s19
	s_addc_u32 s5, s17, s1
	s_add_i32 s0, s4, s0
	s_add_i32 s1, s0, s6
	s_mul_i32 s0, s3, s18
	s_delay_alu instid0(SALU_CYCLE_1) | instskip(SKIP_3) | instid1(VALU_DEP_1)
	s_lshl_b64 s[0:1], s[0:1], 3
	v_fma_f64 v[2:3], v[2:3], v[10:11], v[6:7]
	s_add_u32 s0, s2, s0
	s_addc_u32 s1, s5, s1
	v_fma_f64 v[2:3], v[4:5], v[12:13], v[2:3]
	v_mad_u64_u32 v[4:5], null, v1, s18, 0
	s_delay_alu instid0(VALU_DEP_1) | instskip(NEXT) | instid1(VALU_DEP_1)
	v_mad_u64_u32 v[6:7], null, v1, s19, v[5:6]
	v_mov_b32_e32 v5, v6
	s_delay_alu instid0(VALU_DEP_1) | instskip(NEXT) | instid1(VALU_DEP_1)
	v_lshlrev_b64 v[4:5], 3, v[4:5]
	v_add_co_u32 v1, vcc_lo, s0, v4
	s_delay_alu instid0(VALU_DEP_2) | instskip(NEXT) | instid1(VALU_DEP_2)
	v_add_co_ci_u32_e32 v4, vcc_lo, s1, v5, vcc_lo
	v_add_co_u32 v0, vcc_lo, v1, v0
	s_delay_alu instid0(VALU_DEP_2)
	v_add_co_ci_u32_e32 v1, vcc_lo, 0, v4, vcc_lo
	v_mul_f64 v[2:3], s[8:9], v[2:3]
	global_store_b64 v[0:1], v[2:3], off
.LBB62_15:
	s_nop 0
	s_sendmsg sendmsg(MSG_DEALLOC_VGPRS)
	s_endpgm
	.section	.rodata,"a",@progbits
	.p2align	6, 0x0
	.amdhsa_kernel _ZL23rocblas_trmm_lTx_kernelILi32ELb0EdPKdS0_dEv13rocblas_fill_17rocblas_diagonal_iiT2_lPT3_llS6_llPT4_lli
		.amdhsa_group_segment_fixed_size 16384
		.amdhsa_private_segment_fixed_size 0
		.amdhsa_kernarg_size 108
		.amdhsa_user_sgpr_count 14
		.amdhsa_user_sgpr_dispatch_ptr 0
		.amdhsa_user_sgpr_queue_ptr 0
		.amdhsa_user_sgpr_kernarg_segment_ptr 1
		.amdhsa_user_sgpr_dispatch_id 0
		.amdhsa_user_sgpr_private_segment_size 0
		.amdhsa_wavefront_size32 1
		.amdhsa_uses_dynamic_stack 0
		.amdhsa_enable_private_segment 0
		.amdhsa_system_sgpr_workgroup_id_x 1
		.amdhsa_system_sgpr_workgroup_id_y 0
		.amdhsa_system_sgpr_workgroup_id_z 1
		.amdhsa_system_sgpr_workgroup_info 0
		.amdhsa_system_vgpr_workitem_id 1
		.amdhsa_next_free_vgpr 18
		.amdhsa_next_free_sgpr 32
		.amdhsa_reserve_vcc 1
		.amdhsa_float_round_mode_32 0
		.amdhsa_float_round_mode_16_64 0
		.amdhsa_float_denorm_mode_32 3
		.amdhsa_float_denorm_mode_16_64 3
		.amdhsa_dx10_clamp 1
		.amdhsa_ieee_mode 1
		.amdhsa_fp16_overflow 0
		.amdhsa_workgroup_processor_mode 1
		.amdhsa_memory_ordered 1
		.amdhsa_forward_progress 0
		.amdhsa_shared_vgpr_count 0
		.amdhsa_exception_fp_ieee_invalid_op 0
		.amdhsa_exception_fp_denorm_src 0
		.amdhsa_exception_fp_ieee_div_zero 0
		.amdhsa_exception_fp_ieee_overflow 0
		.amdhsa_exception_fp_ieee_underflow 0
		.amdhsa_exception_fp_ieee_inexact 0
		.amdhsa_exception_int_div_zero 0
	.end_amdhsa_kernel
	.section	.text._ZL23rocblas_trmm_lTx_kernelILi32ELb0EdPKdS0_dEv13rocblas_fill_17rocblas_diagonal_iiT2_lPT3_llS6_llPT4_lli,"axG",@progbits,_ZL23rocblas_trmm_lTx_kernelILi32ELb0EdPKdS0_dEv13rocblas_fill_17rocblas_diagonal_iiT2_lPT3_llS6_llPT4_lli,comdat
.Lfunc_end62:
	.size	_ZL23rocblas_trmm_lTx_kernelILi32ELb0EdPKdS0_dEv13rocblas_fill_17rocblas_diagonal_iiT2_lPT3_llS6_llPT4_lli, .Lfunc_end62-_ZL23rocblas_trmm_lTx_kernelILi32ELb0EdPKdS0_dEv13rocblas_fill_17rocblas_diagonal_iiT2_lPT3_llS6_llPT4_lli
                                        ; -- End function
	.section	.AMDGPU.csdata,"",@progbits
; Kernel info:
; codeLenInByte = 1584
; NumSgprs: 34
; NumVgprs: 18
; ScratchSize: 0
; MemoryBound: 0
; FloatMode: 240
; IeeeMode: 1
; LDSByteSize: 16384 bytes/workgroup (compile time only)
; SGPRBlocks: 4
; VGPRBlocks: 2
; NumSGPRsForWavesPerEU: 34
; NumVGPRsForWavesPerEU: 18
; Occupancy: 16
; WaveLimiterHint : 0
; COMPUTE_PGM_RSRC2:SCRATCH_EN: 0
; COMPUTE_PGM_RSRC2:USER_SGPR: 14
; COMPUTE_PGM_RSRC2:TRAP_HANDLER: 0
; COMPUTE_PGM_RSRC2:TGID_X_EN: 1
; COMPUTE_PGM_RSRC2:TGID_Y_EN: 0
; COMPUTE_PGM_RSRC2:TGID_Z_EN: 1
; COMPUTE_PGM_RSRC2:TIDIG_COMP_CNT: 1
	.section	.text._ZL23rocblas_trmm_lTx_kernelILi32ELb0EddKddEv13rocblas_fill_17rocblas_diagonal_iiT2_lPT3_llS5_llPT4_lli,"axG",@progbits,_ZL23rocblas_trmm_lTx_kernelILi32ELb0EddKddEv13rocblas_fill_17rocblas_diagonal_iiT2_lPT3_llS5_llPT4_lli,comdat
	.globl	_ZL23rocblas_trmm_lTx_kernelILi32ELb0EddKddEv13rocblas_fill_17rocblas_diagonal_iiT2_lPT3_llS5_llPT4_lli ; -- Begin function _ZL23rocblas_trmm_lTx_kernelILi32ELb0EddKddEv13rocblas_fill_17rocblas_diagonal_iiT2_lPT3_llS5_llPT4_lli
	.p2align	8
	.type	_ZL23rocblas_trmm_lTx_kernelILi32ELb0EddKddEv13rocblas_fill_17rocblas_diagonal_iiT2_lPT3_llS5_llPT4_lli,@function
_ZL23rocblas_trmm_lTx_kernelILi32ELb0EddKddEv13rocblas_fill_17rocblas_diagonal_iiT2_lPT3_llS5_llPT4_lli: ; @_ZL23rocblas_trmm_lTx_kernelILi32ELb0EddKddEv13rocblas_fill_17rocblas_diagonal_iiT2_lPT3_llS5_llPT4_lli
; %bb.0:
	s_load_b64 s[8:9], s[0:1], 0x10
	s_waitcnt lgkmcnt(0)
	v_cmp_eq_f64_e64 s2, s[8:9], 0
	s_delay_alu instid0(VALU_DEP_1)
	s_and_b32 vcc_lo, exec_lo, s2
	s_cbranch_vccnz .LBB63_15
; %bb.1:
	s_clause 0x1
	s_load_b128 s[4:7], s[0:1], 0x0
	s_load_b512 s[16:31], s[0:1], 0x20
	v_bfe_u32 v1, v0, 10, 10
	s_mov_b32 s2, 0
	s_delay_alu instid0(SALU_CYCLE_1) | instskip(SKIP_1) | instid1(VALU_DEP_2)
	s_mov_b32 s3, s2
	v_and_b32_e32 v4, 0x3ff, v0
	v_lshlrev_b32_e32 v2, 5, v1
	v_dual_mov_b32 v6, s3 :: v_dual_mov_b32 v5, s2
	s_delay_alu instid0(VALU_DEP_3) | instskip(NEXT) | instid1(VALU_DEP_3)
	v_lshlrev_b32_e32 v0, 3, v4
	v_add_lshl_u32 v3, v2, v4, 3
	ds_store_2addr_stride64_b64 v3, v[5:6], v[5:6] offset1:16
	s_waitcnt lgkmcnt(0)
	s_barrier
	v_cmp_gt_i32_e64 s2, s6, v1
	v_cmp_gt_i32_e32 vcc_lo, s6, v4
	buffer_gl0_inv
	s_and_b32 s2, s2, vcc_lo
	s_delay_alu instid0(SALU_CYCLE_1)
	s_and_saveexec_b32 s3, s2
	s_cbranch_execz .LBB63_3
; %bb.2:
	v_mad_u64_u32 v[5:6], null, v1, s18, 0
	s_mul_i32 s2, s15, s21
	s_mul_hi_u32 s6, s15, s20
	s_mul_i32 s10, s15, s20
	s_add_i32 s11, s6, s2
	s_delay_alu instid0(SALU_CYCLE_1) | instskip(NEXT) | instid1(VALU_DEP_1)
	s_lshl_b64 s[10:11], s[10:11], 3
	v_mad_u64_u32 v[7:8], null, v1, s19, v[6:7]
	s_add_u32 s2, s16, s10
	s_addc_u32 s6, s17, s11
	s_delay_alu instid0(VALU_DEP_1) | instskip(NEXT) | instid1(VALU_DEP_1)
	v_dual_mov_b32 v6, v7 :: v_dual_lshlrev_b32 v7, 5, v4
	v_lshlrev_b64 v[5:6], 3, v[5:6]
	s_delay_alu instid0(VALU_DEP_2) | instskip(NEXT) | instid1(VALU_DEP_2)
	v_add_lshl_u32 v7, v7, v1, 3
	v_add_co_u32 v5, s2, s2, v5
	s_delay_alu instid0(VALU_DEP_1) | instskip(NEXT) | instid1(VALU_DEP_2)
	v_add_co_ci_u32_e64 v6, s2, s6, v6, s2
	v_add_co_u32 v5, s2, v5, v0
	s_delay_alu instid0(VALU_DEP_1)
	v_add_co_ci_u32_e64 v6, s2, 0, v6, s2
	global_load_b64 v[5:6], v[5:6], off
	s_waitcnt vmcnt(0)
	ds_store_b64 v7, v[5:6]
.LBB63_3:
	s_or_b32 exec_lo, exec_lo, s3
	s_add_i32 s2, s7, -1
	s_delay_alu instid0(SALU_CYCLE_1) | instskip(NEXT) | instid1(SALU_CYCLE_1)
	s_ashr_i32 s3, s2, 31
	s_lshr_b32 s3, s3, 27
	s_delay_alu instid0(SALU_CYCLE_1) | instskip(NEXT) | instid1(SALU_CYCLE_1)
	s_add_i32 s2, s2, s3
	s_and_b32 s3, s2, 0xffffffe0
	s_ashr_i32 s2, s2, 5
	s_sub_i32 s3, s7, s3
	s_cmp_ge_i32 s14, s2
	s_cselect_b32 s2, s3, 32
	s_lshl_b32 s3, s14, 5
	v_cmp_gt_i32_e64 s2, s2, v1
	s_ashr_i32 s6, s3, 31
	s_delay_alu instid0(VALU_DEP_1) | instskip(NEXT) | instid1(SALU_CYCLE_1)
	s_and_b32 s2, vcc_lo, s2
	s_and_saveexec_b32 s7, s2
	s_cbranch_execz .LBB63_5
; %bb.4:
	v_mad_u64_u32 v[5:6], null, v1, s24, 0
	s_mul_i32 s11, s15, s27
	s_mul_hi_u32 s12, s15, s26
	s_mul_i32 s10, s15, s26
	s_add_i32 s11, s12, s11
	s_mul_i32 s13, s3, s25
	s_lshl_b64 s[10:11], s[10:11], 3
	s_delay_alu instid0(VALU_DEP_1)
	v_mad_u64_u32 v[7:8], null, v1, s25, v[6:7]
	s_mul_hi_u32 s12, s3, s24
	s_add_u32 s16, s22, s10
	s_mul_i32 s14, s6, s24
	s_addc_u32 s17, s23, s11
	s_add_i32 s11, s12, s13
	s_mul_i32 s10, s3, s24
	s_delay_alu instid0(VALU_DEP_1) | instskip(SKIP_1) | instid1(SALU_CYCLE_1)
	v_dual_mov_b32 v6, v7 :: v_dual_add_nc_u32 v7, 0x2000, v3
	s_add_i32 s11, s11, s14
	s_lshl_b64 s[10:11], s[10:11], 3
	s_delay_alu instid0(VALU_DEP_1) | instskip(SKIP_2) | instid1(VALU_DEP_1)
	v_lshlrev_b64 v[5:6], 3, v[5:6]
	s_add_u32 s10, s16, s10
	s_addc_u32 s11, s17, s11
	v_add_co_u32 v5, vcc_lo, s10, v5
	s_delay_alu instid0(VALU_DEP_2) | instskip(NEXT) | instid1(VALU_DEP_2)
	v_add_co_ci_u32_e32 v6, vcc_lo, s11, v6, vcc_lo
	v_add_co_u32 v5, vcc_lo, v5, v0
	s_delay_alu instid0(VALU_DEP_2)
	v_add_co_ci_u32_e32 v6, vcc_lo, 0, v6, vcc_lo
	global_load_b64 v[5:6], v[5:6], off
	s_waitcnt vmcnt(0)
	ds_store_b64 v7, v[5:6]
.LBB63_5:
	s_or_b32 exec_lo, exec_lo, s7
	v_cmp_eq_u32_e32 vcc_lo, v1, v4
	s_cmpk_eq_i32 s5, 0x84
	s_cselect_b32 s5, -1, 0
	s_delay_alu instid0(SALU_CYCLE_1) | instskip(NEXT) | instid1(SALU_CYCLE_1)
	s_and_b32 s7, vcc_lo, s5
	s_and_saveexec_b32 s5, s7
	s_cbranch_execz .LBB63_7
; %bb.6:
	v_dual_mov_b32 v5, 0 :: v_dual_mov_b32 v6, 0x3ff00000
	ds_store_b64 v3, v[5:6]
.LBB63_7:
	s_or_b32 exec_lo, exec_lo, s5
	s_cmpk_lg_i32 s4, 0x7a
	s_waitcnt lgkmcnt(0)
	s_barrier
	buffer_gl0_inv
	s_cbranch_scc0 .LBB63_9
; %bb.8:
	v_cmp_lt_u32_e32 vcc_lo, v4, v1
	s_and_b32 s4, vcc_lo, exec_lo
	s_cbranch_execz .LBB63_10
	s_branch .LBB63_11
.LBB63_9:
	s_mov_b32 s4, 0
.LBB63_10:
	v_cmp_gt_u32_e32 vcc_lo, v4, v1
	s_and_not1_b32 s4, s4, exec_lo
	s_and_b32 s5, vcc_lo, exec_lo
	s_delay_alu instid0(SALU_CYCLE_1)
	s_or_b32 s4, s4, s5
.LBB63_11:
	s_delay_alu instid0(SALU_CYCLE_1)
	s_and_saveexec_b32 s5, s4
	s_cbranch_execz .LBB63_13
; %bb.12:
	v_mov_b32_e32 v4, 0
	s_delay_alu instid0(VALU_DEP_1)
	v_mov_b32_e32 v5, v4
	ds_store_b64 v3, v[4:5]
.LBB63_13:
	s_or_b32 exec_lo, exec_lo, s5
	s_waitcnt lgkmcnt(0)
	s_barrier
	buffer_gl0_inv
	s_and_saveexec_b32 s4, s2
	s_cbranch_execz .LBB63_15
; %bb.14:
	v_lshlrev_b32_e32 v16, 3, v2
	v_add_nc_u32_e32 v17, 0x800, v0
	s_load_b64 s[0:1], s[0:1], 0x60
	s_mul_hi_u32 s4, s3, s30
	ds_load_2addr_b64 v[2:5], v0 offset1:32
	ds_load_b128 v[6:9], v16 offset:8192
	ds_load_b128 v[10:13], v16 offset:8208
	s_mul_i32 s6, s6, s30
	s_waitcnt lgkmcnt(0)
	s_mul_i32 s1, s15, s1
	v_fma_f64 v[2:3], v[2:3], v[6:7], 0
	s_mul_hi_u32 s2, s15, s0
	s_mul_i32 s0, s15, s0
	s_add_i32 s1, s2, s1
	s_delay_alu instid0(SALU_CYCLE_1) | instskip(NEXT) | instid1(SALU_CYCLE_1)
	s_lshl_b64 s[0:1], s[0:1], 3
	s_add_u32 s2, s28, s0
	s_mul_i32 s0, s3, s31
	s_addc_u32 s5, s29, s1
	s_add_i32 s0, s4, s0
	s_delay_alu instid0(SALU_CYCLE_1) | instskip(SKIP_1) | instid1(SALU_CYCLE_1)
	s_add_i32 s1, s0, s6
	s_mul_i32 s0, s3, s30
	s_lshl_b64 s[0:1], s[0:1], 3
	s_delay_alu instid0(SALU_CYCLE_1) | instskip(SKIP_1) | instid1(VALU_DEP_1)
	s_add_u32 s0, s2, s0
	s_addc_u32 s1, s5, s1
	v_fma_f64 v[6:7], v[4:5], v[8:9], v[2:3]
	ds_load_2addr_b64 v[2:5], v0 offset0:64 offset1:96
	s_waitcnt lgkmcnt(0)
	v_fma_f64 v[2:3], v[2:3], v[10:11], v[6:7]
	s_delay_alu instid0(VALU_DEP_1)
	v_fma_f64 v[14:15], v[4:5], v[12:13], v[2:3]
	ds_load_2addr_b64 v[2:5], v0 offset0:128 offset1:160
	ds_load_b128 v[6:9], v16 offset:8224
	ds_load_b128 v[10:13], v16 offset:8240
	s_waitcnt lgkmcnt(1)
	v_fma_f64 v[2:3], v[2:3], v[6:7], v[14:15]
	s_delay_alu instid0(VALU_DEP_1) | instskip(SKIP_3) | instid1(VALU_DEP_1)
	v_fma_f64 v[6:7], v[4:5], v[8:9], v[2:3]
	ds_load_2addr_b64 v[2:5], v0 offset0:192 offset1:224
	s_waitcnt lgkmcnt(0)
	v_fma_f64 v[2:3], v[2:3], v[10:11], v[6:7]
	v_fma_f64 v[14:15], v[4:5], v[12:13], v[2:3]
	ds_load_2addr_b64 v[2:5], v17 offset1:32
	ds_load_b128 v[6:9], v16 offset:8256
	ds_load_b128 v[10:13], v16 offset:8272
	s_waitcnt lgkmcnt(1)
	v_fma_f64 v[2:3], v[2:3], v[6:7], v[14:15]
	s_delay_alu instid0(VALU_DEP_1) | instskip(SKIP_3) | instid1(VALU_DEP_1)
	v_fma_f64 v[6:7], v[4:5], v[8:9], v[2:3]
	ds_load_2addr_b64 v[2:5], v17 offset0:64 offset1:96
	s_waitcnt lgkmcnt(0)
	v_fma_f64 v[2:3], v[2:3], v[10:11], v[6:7]
	v_fma_f64 v[14:15], v[4:5], v[12:13], v[2:3]
	ds_load_2addr_b64 v[2:5], v17 offset0:128 offset1:160
	ds_load_b128 v[6:9], v16 offset:8288
	ds_load_b128 v[10:13], v16 offset:8304
	s_waitcnt lgkmcnt(1)
	v_fma_f64 v[2:3], v[2:3], v[6:7], v[14:15]
	s_delay_alu instid0(VALU_DEP_1) | instskip(SKIP_4) | instid1(VALU_DEP_1)
	v_fma_f64 v[6:7], v[4:5], v[8:9], v[2:3]
	ds_load_2addr_b64 v[2:5], v17 offset0:192 offset1:224
	v_add_nc_u32_e32 v17, 0x1000, v0
	s_waitcnt lgkmcnt(0)
	v_fma_f64 v[2:3], v[2:3], v[10:11], v[6:7]
	v_fma_f64 v[14:15], v[4:5], v[12:13], v[2:3]
	ds_load_2addr_b64 v[2:5], v17 offset1:32
	ds_load_b128 v[6:9], v16 offset:8320
	ds_load_b128 v[10:13], v16 offset:8336
	s_waitcnt lgkmcnt(1)
	v_fma_f64 v[2:3], v[2:3], v[6:7], v[14:15]
	s_delay_alu instid0(VALU_DEP_1) | instskip(SKIP_3) | instid1(VALU_DEP_1)
	v_fma_f64 v[6:7], v[4:5], v[8:9], v[2:3]
	ds_load_2addr_b64 v[2:5], v17 offset0:64 offset1:96
	s_waitcnt lgkmcnt(0)
	v_fma_f64 v[2:3], v[2:3], v[10:11], v[6:7]
	v_fma_f64 v[14:15], v[4:5], v[12:13], v[2:3]
	ds_load_2addr_b64 v[2:5], v17 offset0:128 offset1:160
	ds_load_b128 v[6:9], v16 offset:8352
	ds_load_b128 v[10:13], v16 offset:8368
	s_waitcnt lgkmcnt(1)
	v_fma_f64 v[2:3], v[2:3], v[6:7], v[14:15]
	s_delay_alu instid0(VALU_DEP_1) | instskip(SKIP_4) | instid1(VALU_DEP_1)
	v_fma_f64 v[6:7], v[4:5], v[8:9], v[2:3]
	ds_load_2addr_b64 v[2:5], v17 offset0:192 offset1:224
	v_add_nc_u32_e32 v17, 0x1800, v0
	s_waitcnt lgkmcnt(0)
	v_fma_f64 v[2:3], v[2:3], v[10:11], v[6:7]
	v_fma_f64 v[14:15], v[4:5], v[12:13], v[2:3]
	ds_load_2addr_b64 v[2:5], v17 offset1:32
	ds_load_b128 v[6:9], v16 offset:8384
	ds_load_b128 v[10:13], v16 offset:8400
	s_waitcnt lgkmcnt(1)
	v_fma_f64 v[2:3], v[2:3], v[6:7], v[14:15]
	s_delay_alu instid0(VALU_DEP_1) | instskip(SKIP_3) | instid1(VALU_DEP_1)
	v_fma_f64 v[6:7], v[4:5], v[8:9], v[2:3]
	ds_load_2addr_b64 v[2:5], v17 offset0:64 offset1:96
	s_waitcnt lgkmcnt(0)
	v_fma_f64 v[2:3], v[2:3], v[10:11], v[6:7]
	v_fma_f64 v[14:15], v[4:5], v[12:13], v[2:3]
	ds_load_2addr_b64 v[2:5], v17 offset0:128 offset1:160
	ds_load_b128 v[6:9], v16 offset:8416
	ds_load_b128 v[10:13], v16 offset:8432
	s_waitcnt lgkmcnt(1)
	v_fma_f64 v[2:3], v[2:3], v[6:7], v[14:15]
	s_delay_alu instid0(VALU_DEP_1) | instskip(SKIP_3) | instid1(VALU_DEP_1)
	v_fma_f64 v[6:7], v[4:5], v[8:9], v[2:3]
	ds_load_2addr_b64 v[2:5], v17 offset0:192 offset1:224
	s_waitcnt lgkmcnt(0)
	v_fma_f64 v[2:3], v[2:3], v[10:11], v[6:7]
	v_fma_f64 v[2:3], v[4:5], v[12:13], v[2:3]
	v_mad_u64_u32 v[4:5], null, v1, s30, 0
	s_delay_alu instid0(VALU_DEP_1) | instskip(NEXT) | instid1(VALU_DEP_1)
	v_mad_u64_u32 v[6:7], null, v1, s31, v[5:6]
	v_mov_b32_e32 v5, v6
	s_delay_alu instid0(VALU_DEP_1) | instskip(NEXT) | instid1(VALU_DEP_1)
	v_lshlrev_b64 v[4:5], 3, v[4:5]
	v_add_co_u32 v1, vcc_lo, s0, v4
	s_delay_alu instid0(VALU_DEP_2) | instskip(NEXT) | instid1(VALU_DEP_2)
	v_add_co_ci_u32_e32 v4, vcc_lo, s1, v5, vcc_lo
	v_add_co_u32 v0, vcc_lo, v1, v0
	s_delay_alu instid0(VALU_DEP_2)
	v_add_co_ci_u32_e32 v1, vcc_lo, 0, v4, vcc_lo
	v_mul_f64 v[2:3], v[2:3], s[8:9]
	global_store_b64 v[0:1], v[2:3], off
.LBB63_15:
	s_nop 0
	s_sendmsg sendmsg(MSG_DEALLOC_VGPRS)
	s_endpgm
	.section	.rodata,"a",@progbits
	.p2align	6, 0x0
	.amdhsa_kernel _ZL23rocblas_trmm_lTx_kernelILi32ELb0EddKddEv13rocblas_fill_17rocblas_diagonal_iiT2_lPT3_llS5_llPT4_lli
		.amdhsa_group_segment_fixed_size 16384
		.amdhsa_private_segment_fixed_size 0
		.amdhsa_kernarg_size 108
		.amdhsa_user_sgpr_count 14
		.amdhsa_user_sgpr_dispatch_ptr 0
		.amdhsa_user_sgpr_queue_ptr 0
		.amdhsa_user_sgpr_kernarg_segment_ptr 1
		.amdhsa_user_sgpr_dispatch_id 0
		.amdhsa_user_sgpr_private_segment_size 0
		.amdhsa_wavefront_size32 1
		.amdhsa_uses_dynamic_stack 0
		.amdhsa_enable_private_segment 0
		.amdhsa_system_sgpr_workgroup_id_x 1
		.amdhsa_system_sgpr_workgroup_id_y 0
		.amdhsa_system_sgpr_workgroup_id_z 1
		.amdhsa_system_sgpr_workgroup_info 0
		.amdhsa_system_vgpr_workitem_id 1
		.amdhsa_next_free_vgpr 18
		.amdhsa_next_free_sgpr 32
		.amdhsa_reserve_vcc 1
		.amdhsa_float_round_mode_32 0
		.amdhsa_float_round_mode_16_64 0
		.amdhsa_float_denorm_mode_32 3
		.amdhsa_float_denorm_mode_16_64 3
		.amdhsa_dx10_clamp 1
		.amdhsa_ieee_mode 1
		.amdhsa_fp16_overflow 0
		.amdhsa_workgroup_processor_mode 1
		.amdhsa_memory_ordered 1
		.amdhsa_forward_progress 0
		.amdhsa_shared_vgpr_count 0
		.amdhsa_exception_fp_ieee_invalid_op 0
		.amdhsa_exception_fp_denorm_src 0
		.amdhsa_exception_fp_ieee_div_zero 0
		.amdhsa_exception_fp_ieee_overflow 0
		.amdhsa_exception_fp_ieee_underflow 0
		.amdhsa_exception_fp_ieee_inexact 0
		.amdhsa_exception_int_div_zero 0
	.end_amdhsa_kernel
	.section	.text._ZL23rocblas_trmm_lTx_kernelILi32ELb0EddKddEv13rocblas_fill_17rocblas_diagonal_iiT2_lPT3_llS5_llPT4_lli,"axG",@progbits,_ZL23rocblas_trmm_lTx_kernelILi32ELb0EddKddEv13rocblas_fill_17rocblas_diagonal_iiT2_lPT3_llS5_llPT4_lli,comdat
.Lfunc_end63:
	.size	_ZL23rocblas_trmm_lTx_kernelILi32ELb0EddKddEv13rocblas_fill_17rocblas_diagonal_iiT2_lPT3_llS5_llPT4_lli, .Lfunc_end63-_ZL23rocblas_trmm_lTx_kernelILi32ELb0EddKddEv13rocblas_fill_17rocblas_diagonal_iiT2_lPT3_llS5_llPT4_lli
                                        ; -- End function
	.section	.AMDGPU.csdata,"",@progbits
; Kernel info:
; codeLenInByte = 1544
; NumSgprs: 34
; NumVgprs: 18
; ScratchSize: 0
; MemoryBound: 0
; FloatMode: 240
; IeeeMode: 1
; LDSByteSize: 16384 bytes/workgroup (compile time only)
; SGPRBlocks: 4
; VGPRBlocks: 2
; NumSGPRsForWavesPerEU: 34
; NumVGPRsForWavesPerEU: 18
; Occupancy: 16
; WaveLimiterHint : 0
; COMPUTE_PGM_RSRC2:SCRATCH_EN: 0
; COMPUTE_PGM_RSRC2:USER_SGPR: 14
; COMPUTE_PGM_RSRC2:TRAP_HANDLER: 0
; COMPUTE_PGM_RSRC2:TGID_X_EN: 1
; COMPUTE_PGM_RSRC2:TGID_Y_EN: 0
; COMPUTE_PGM_RSRC2:TGID_Z_EN: 1
; COMPUTE_PGM_RSRC2:TIDIG_COMP_CNT: 1
	.section	.text._ZL23rocblas_trmm_lTx_kernelILi32ELb1EdPKdS0_dEv13rocblas_fill_17rocblas_diagonal_iiT2_lPT3_llS6_llPT4_lli,"axG",@progbits,_ZL23rocblas_trmm_lTx_kernelILi32ELb1EdPKdS0_dEv13rocblas_fill_17rocblas_diagonal_iiT2_lPT3_llS6_llPT4_lli,comdat
	.globl	_ZL23rocblas_trmm_lTx_kernelILi32ELb1EdPKdS0_dEv13rocblas_fill_17rocblas_diagonal_iiT2_lPT3_llS6_llPT4_lli ; -- Begin function _ZL23rocblas_trmm_lTx_kernelILi32ELb1EdPKdS0_dEv13rocblas_fill_17rocblas_diagonal_iiT2_lPT3_llS6_llPT4_lli
	.p2align	8
	.type	_ZL23rocblas_trmm_lTx_kernelILi32ELb1EdPKdS0_dEv13rocblas_fill_17rocblas_diagonal_iiT2_lPT3_llS6_llPT4_lli,@function
_ZL23rocblas_trmm_lTx_kernelILi32ELb1EdPKdS0_dEv13rocblas_fill_17rocblas_diagonal_iiT2_lPT3_llS6_llPT4_lli: ; @_ZL23rocblas_trmm_lTx_kernelILi32ELb1EdPKdS0_dEv13rocblas_fill_17rocblas_diagonal_iiT2_lPT3_llS6_llPT4_lli
; %bb.0:
	s_load_b512 s[16:31], s[0:1], 0x10
	s_waitcnt lgkmcnt(0)
	s_mul_i32 s2, s15, s19
	s_mul_hi_u32 s3, s15, s18
	s_delay_alu instid0(SALU_CYCLE_1) | instskip(SKIP_1) | instid1(SALU_CYCLE_1)
	s_add_i32 s3, s3, s2
	s_mul_i32 s2, s15, s18
	s_lshl_b64 s[2:3], s[2:3], 3
	s_delay_alu instid0(SALU_CYCLE_1) | instskip(SKIP_4) | instid1(VALU_DEP_1)
	s_add_u32 s2, s16, s2
	s_addc_u32 s3, s17, s3
	s_load_b64 s[8:9], s[2:3], 0x0
	s_waitcnt lgkmcnt(0)
	v_cmp_eq_f64_e64 s2, s[8:9], 0
	s_and_b32 vcc_lo, exec_lo, s2
	s_cbranch_vccnz .LBB64_15
; %bb.1:
	s_load_b128 s[4:7], s[0:1], 0x0
	v_bfe_u32 v1, v0, 10, 10
	s_mov_b32 s2, 0
	s_delay_alu instid0(SALU_CYCLE_1) | instskip(SKIP_1) | instid1(VALU_DEP_2)
	s_mov_b32 s3, s2
	v_and_b32_e32 v4, 0x3ff, v0
	v_lshlrev_b32_e32 v2, 5, v1
	v_dual_mov_b32 v6, s3 :: v_dual_mov_b32 v5, s2
	s_delay_alu instid0(VALU_DEP_3) | instskip(NEXT) | instid1(VALU_DEP_3)
	v_lshlrev_b32_e32 v0, 3, v4
	v_add_lshl_u32 v3, v2, v4, 3
	ds_store_2addr_stride64_b64 v3, v[5:6], v[5:6] offset1:16
	s_waitcnt lgkmcnt(0)
	s_barrier
	buffer_gl0_inv
	v_cmp_gt_i32_e64 s2, s6, v1
	v_cmp_gt_i32_e32 vcc_lo, s6, v4
	s_delay_alu instid0(VALU_DEP_2) | instskip(NEXT) | instid1(SALU_CYCLE_1)
	s_and_b32 s2, s2, vcc_lo
	s_and_saveexec_b32 s3, s2
	s_cbranch_execz .LBB64_3
; %bb.2:
	v_mad_u64_u32 v[5:6], null, v1, s22, 0
	s_mul_i32 s2, s15, s25
	s_mul_hi_u32 s6, s15, s24
	s_mul_i32 s10, s15, s24
	s_add_i32 s11, s6, s2
	s_delay_alu instid0(SALU_CYCLE_1) | instskip(NEXT) | instid1(VALU_DEP_1)
	s_lshl_b64 s[10:11], s[10:11], 3
	v_mad_u64_u32 v[7:8], null, v1, s23, v[6:7]
	s_add_u32 s2, s20, s10
	s_addc_u32 s6, s21, s11
	s_delay_alu instid0(VALU_DEP_1) | instskip(NEXT) | instid1(VALU_DEP_1)
	v_dual_mov_b32 v6, v7 :: v_dual_lshlrev_b32 v7, 5, v4
	v_lshlrev_b64 v[5:6], 3, v[5:6]
	s_delay_alu instid0(VALU_DEP_2) | instskip(NEXT) | instid1(VALU_DEP_2)
	v_add_lshl_u32 v7, v7, v1, 3
	v_add_co_u32 v5, s2, s2, v5
	s_delay_alu instid0(VALU_DEP_1) | instskip(NEXT) | instid1(VALU_DEP_2)
	v_add_co_ci_u32_e64 v6, s2, s6, v6, s2
	v_add_co_u32 v5, s2, v5, v0
	s_delay_alu instid0(VALU_DEP_1)
	v_add_co_ci_u32_e64 v6, s2, 0, v6, s2
	global_load_b64 v[5:6], v[5:6], off
	s_waitcnt vmcnt(0)
	ds_store_b64 v7, v[5:6]
.LBB64_3:
	s_or_b32 exec_lo, exec_lo, s3
	s_add_i32 s2, s7, -1
	s_delay_alu instid0(SALU_CYCLE_1) | instskip(NEXT) | instid1(SALU_CYCLE_1)
	s_ashr_i32 s3, s2, 31
	s_lshr_b32 s3, s3, 27
	s_delay_alu instid0(SALU_CYCLE_1) | instskip(NEXT) | instid1(SALU_CYCLE_1)
	s_add_i32 s2, s2, s3
	s_and_b32 s3, s2, 0xffffffe0
	s_ashr_i32 s2, s2, 5
	s_sub_i32 s3, s7, s3
	s_cmp_ge_i32 s14, s2
	s_cselect_b32 s2, s3, 32
	s_lshl_b32 s3, s14, 5
	v_cmp_gt_i32_e64 s2, s2, v1
	s_ashr_i32 s6, s3, 31
	s_delay_alu instid0(VALU_DEP_1) | instskip(NEXT) | instid1(SALU_CYCLE_1)
	s_and_b32 s2, vcc_lo, s2
	s_and_saveexec_b32 s7, s2
	s_cbranch_execz .LBB64_5
; %bb.4:
	v_mad_u64_u32 v[5:6], null, v1, s28, 0
	s_mul_i32 s11, s15, s31
	s_mul_hi_u32 s12, s15, s30
	s_mul_i32 s10, s15, s30
	s_add_i32 s11, s12, s11
	s_mul_i32 s13, s3, s29
	s_lshl_b64 s[10:11], s[10:11], 3
	s_delay_alu instid0(VALU_DEP_1)
	v_mad_u64_u32 v[7:8], null, v1, s29, v[6:7]
	s_mul_hi_u32 s12, s3, s28
	s_add_u32 s16, s26, s10
	s_mul_i32 s14, s6, s28
	s_addc_u32 s17, s27, s11
	s_add_i32 s11, s12, s13
	s_mul_i32 s10, s3, s28
	s_delay_alu instid0(VALU_DEP_1) | instskip(SKIP_1) | instid1(SALU_CYCLE_1)
	v_dual_mov_b32 v6, v7 :: v_dual_add_nc_u32 v7, 0x2000, v3
	s_add_i32 s11, s11, s14
	s_lshl_b64 s[10:11], s[10:11], 3
	s_delay_alu instid0(VALU_DEP_1) | instskip(SKIP_2) | instid1(VALU_DEP_1)
	v_lshlrev_b64 v[5:6], 3, v[5:6]
	s_add_u32 s10, s16, s10
	s_addc_u32 s11, s17, s11
	v_add_co_u32 v5, vcc_lo, s10, v5
	s_delay_alu instid0(VALU_DEP_2) | instskip(NEXT) | instid1(VALU_DEP_2)
	v_add_co_ci_u32_e32 v6, vcc_lo, s11, v6, vcc_lo
	v_add_co_u32 v5, vcc_lo, v5, v0
	s_delay_alu instid0(VALU_DEP_2)
	v_add_co_ci_u32_e32 v6, vcc_lo, 0, v6, vcc_lo
	global_load_b64 v[5:6], v[5:6], off
	s_waitcnt vmcnt(0)
	ds_store_b64 v7, v[5:6]
.LBB64_5:
	s_or_b32 exec_lo, exec_lo, s7
	v_cmp_eq_u32_e32 vcc_lo, v1, v4
	s_cmpk_eq_i32 s5, 0x84
	s_cselect_b32 s5, -1, 0
	s_delay_alu instid0(SALU_CYCLE_1) | instskip(NEXT) | instid1(SALU_CYCLE_1)
	s_and_b32 s7, vcc_lo, s5
	s_and_saveexec_b32 s5, s7
	s_cbranch_execz .LBB64_7
; %bb.6:
	v_dual_mov_b32 v5, 0 :: v_dual_mov_b32 v6, 0x3ff00000
	ds_store_b64 v3, v[5:6]
.LBB64_7:
	s_or_b32 exec_lo, exec_lo, s5
	s_cmpk_lg_i32 s4, 0x7a
	s_waitcnt lgkmcnt(0)
	s_barrier
	buffer_gl0_inv
	s_cbranch_scc0 .LBB64_9
; %bb.8:
	v_cmp_lt_u32_e32 vcc_lo, v4, v1
	s_and_b32 s4, vcc_lo, exec_lo
	s_cbranch_execz .LBB64_10
	s_branch .LBB64_11
.LBB64_9:
	s_mov_b32 s4, 0
.LBB64_10:
	v_cmp_gt_u32_e32 vcc_lo, v4, v1
	s_and_not1_b32 s4, s4, exec_lo
	s_and_b32 s5, vcc_lo, exec_lo
	s_delay_alu instid0(SALU_CYCLE_1)
	s_or_b32 s4, s4, s5
.LBB64_11:
	s_delay_alu instid0(SALU_CYCLE_1)
	s_and_saveexec_b32 s5, s4
	s_cbranch_execz .LBB64_13
; %bb.12:
	v_mov_b32_e32 v4, 0
	s_delay_alu instid0(VALU_DEP_1)
	v_mov_b32_e32 v5, v4
	ds_store_b64 v3, v[4:5]
.LBB64_13:
	s_or_b32 exec_lo, exec_lo, s5
	s_waitcnt lgkmcnt(0)
	s_barrier
	buffer_gl0_inv
	s_and_saveexec_b32 s4, s2
	s_cbranch_execz .LBB64_15
; %bb.14:
	v_lshlrev_b32_e32 v16, 3, v2
	v_add_nc_u32_e32 v17, 0x800, v0
	ds_load_2addr_b64 v[2:5], v0 offset1:32
	ds_load_b128 v[6:9], v16 offset:8192
	ds_load_b128 v[10:13], v16 offset:8208
	s_waitcnt lgkmcnt(1)
	v_fma_f64 v[2:3], v[2:3], v[6:7], 0
	s_delay_alu instid0(VALU_DEP_1) | instskip(SKIP_3) | instid1(VALU_DEP_1)
	v_fma_f64 v[6:7], v[4:5], v[8:9], v[2:3]
	ds_load_2addr_b64 v[2:5], v0 offset0:64 offset1:96
	s_waitcnt lgkmcnt(0)
	v_fma_f64 v[2:3], v[2:3], v[10:11], v[6:7]
	v_fma_f64 v[14:15], v[4:5], v[12:13], v[2:3]
	ds_load_2addr_b64 v[2:5], v0 offset0:128 offset1:160
	ds_load_b128 v[6:9], v16 offset:8224
	ds_load_b128 v[10:13], v16 offset:8240
	s_waitcnt lgkmcnt(1)
	v_fma_f64 v[2:3], v[2:3], v[6:7], v[14:15]
	s_delay_alu instid0(VALU_DEP_1) | instskip(SKIP_3) | instid1(VALU_DEP_1)
	v_fma_f64 v[6:7], v[4:5], v[8:9], v[2:3]
	ds_load_2addr_b64 v[2:5], v0 offset0:192 offset1:224
	s_waitcnt lgkmcnt(0)
	v_fma_f64 v[2:3], v[2:3], v[10:11], v[6:7]
	v_fma_f64 v[14:15], v[4:5], v[12:13], v[2:3]
	ds_load_2addr_b64 v[2:5], v17 offset1:32
	ds_load_b128 v[6:9], v16 offset:8256
	ds_load_b128 v[10:13], v16 offset:8272
	s_waitcnt lgkmcnt(1)
	v_fma_f64 v[2:3], v[2:3], v[6:7], v[14:15]
	s_delay_alu instid0(VALU_DEP_1) | instskip(SKIP_3) | instid1(VALU_DEP_1)
	v_fma_f64 v[6:7], v[4:5], v[8:9], v[2:3]
	ds_load_2addr_b64 v[2:5], v17 offset0:64 offset1:96
	s_waitcnt lgkmcnt(0)
	v_fma_f64 v[2:3], v[2:3], v[10:11], v[6:7]
	v_fma_f64 v[14:15], v[4:5], v[12:13], v[2:3]
	ds_load_2addr_b64 v[2:5], v17 offset0:128 offset1:160
	ds_load_b128 v[6:9], v16 offset:8288
	ds_load_b128 v[10:13], v16 offset:8304
	s_waitcnt lgkmcnt(1)
	v_fma_f64 v[2:3], v[2:3], v[6:7], v[14:15]
	s_delay_alu instid0(VALU_DEP_1) | instskip(SKIP_4) | instid1(VALU_DEP_1)
	v_fma_f64 v[6:7], v[4:5], v[8:9], v[2:3]
	ds_load_2addr_b64 v[2:5], v17 offset0:192 offset1:224
	v_add_nc_u32_e32 v17, 0x1000, v0
	s_waitcnt lgkmcnt(0)
	v_fma_f64 v[2:3], v[2:3], v[10:11], v[6:7]
	v_fma_f64 v[14:15], v[4:5], v[12:13], v[2:3]
	ds_load_2addr_b64 v[2:5], v17 offset1:32
	ds_load_b128 v[6:9], v16 offset:8320
	ds_load_b128 v[10:13], v16 offset:8336
	s_waitcnt lgkmcnt(1)
	v_fma_f64 v[2:3], v[2:3], v[6:7], v[14:15]
	s_delay_alu instid0(VALU_DEP_1) | instskip(SKIP_3) | instid1(VALU_DEP_1)
	v_fma_f64 v[6:7], v[4:5], v[8:9], v[2:3]
	ds_load_2addr_b64 v[2:5], v17 offset0:64 offset1:96
	s_waitcnt lgkmcnt(0)
	v_fma_f64 v[2:3], v[2:3], v[10:11], v[6:7]
	v_fma_f64 v[14:15], v[4:5], v[12:13], v[2:3]
	ds_load_2addr_b64 v[2:5], v17 offset0:128 offset1:160
	ds_load_b128 v[6:9], v16 offset:8352
	ds_load_b128 v[10:13], v16 offset:8368
	s_waitcnt lgkmcnt(1)
	v_fma_f64 v[2:3], v[2:3], v[6:7], v[14:15]
	s_delay_alu instid0(VALU_DEP_1) | instskip(SKIP_4) | instid1(VALU_DEP_1)
	v_fma_f64 v[6:7], v[4:5], v[8:9], v[2:3]
	ds_load_2addr_b64 v[2:5], v17 offset0:192 offset1:224
	v_add_nc_u32_e32 v17, 0x1800, v0
	s_waitcnt lgkmcnt(0)
	v_fma_f64 v[2:3], v[2:3], v[10:11], v[6:7]
	v_fma_f64 v[14:15], v[4:5], v[12:13], v[2:3]
	ds_load_2addr_b64 v[2:5], v17 offset1:32
	ds_load_b128 v[6:9], v16 offset:8384
	ds_load_b128 v[10:13], v16 offset:8400
	s_waitcnt lgkmcnt(1)
	v_fma_f64 v[2:3], v[2:3], v[6:7], v[14:15]
	s_delay_alu instid0(VALU_DEP_1) | instskip(SKIP_3) | instid1(VALU_DEP_1)
	v_fma_f64 v[6:7], v[4:5], v[8:9], v[2:3]
	ds_load_2addr_b64 v[2:5], v17 offset0:64 offset1:96
	s_waitcnt lgkmcnt(0)
	v_fma_f64 v[2:3], v[2:3], v[10:11], v[6:7]
	v_fma_f64 v[14:15], v[4:5], v[12:13], v[2:3]
	ds_load_2addr_b64 v[2:5], v17 offset0:128 offset1:160
	ds_load_b128 v[6:9], v16 offset:8416
	ds_load_b128 v[10:13], v16 offset:8432
	s_waitcnt lgkmcnt(1)
	v_fma_f64 v[2:3], v[2:3], v[6:7], v[14:15]
	s_delay_alu instid0(VALU_DEP_1)
	v_fma_f64 v[6:7], v[4:5], v[8:9], v[2:3]
	ds_load_2addr_b64 v[2:5], v17 offset0:192 offset1:224
	s_clause 0x1
	s_load_b128 s[16:19], s[0:1], 0x50
	s_load_b64 s[0:1], s[0:1], 0x60
	s_waitcnt lgkmcnt(0)
	s_mul_hi_u32 s4, s3, s18
	s_mul_i32 s1, s15, s1
	s_mul_hi_u32 s2, s15, s0
	s_mul_i32 s0, s15, s0
	s_add_i32 s1, s2, s1
	s_mul_i32 s6, s6, s18
	s_lshl_b64 s[0:1], s[0:1], 3
	s_delay_alu instid0(SALU_CYCLE_1) | instskip(SKIP_3) | instid1(SALU_CYCLE_1)
	s_add_u32 s2, s16, s0
	s_mul_i32 s0, s3, s19
	s_addc_u32 s5, s17, s1
	s_add_i32 s0, s4, s0
	s_add_i32 s1, s0, s6
	s_mul_i32 s0, s3, s18
	s_delay_alu instid0(SALU_CYCLE_1) | instskip(SKIP_3) | instid1(VALU_DEP_1)
	s_lshl_b64 s[0:1], s[0:1], 3
	v_fma_f64 v[2:3], v[2:3], v[10:11], v[6:7]
	s_add_u32 s0, s2, s0
	s_addc_u32 s1, s5, s1
	v_fma_f64 v[2:3], v[4:5], v[12:13], v[2:3]
	v_mad_u64_u32 v[4:5], null, v1, s18, 0
	s_delay_alu instid0(VALU_DEP_1) | instskip(NEXT) | instid1(VALU_DEP_1)
	v_mad_u64_u32 v[6:7], null, v1, s19, v[5:6]
	v_mov_b32_e32 v5, v6
	s_delay_alu instid0(VALU_DEP_1) | instskip(NEXT) | instid1(VALU_DEP_1)
	v_lshlrev_b64 v[4:5], 3, v[4:5]
	v_add_co_u32 v1, vcc_lo, s0, v4
	s_delay_alu instid0(VALU_DEP_2) | instskip(NEXT) | instid1(VALU_DEP_2)
	v_add_co_ci_u32_e32 v4, vcc_lo, s1, v5, vcc_lo
	v_add_co_u32 v0, vcc_lo, v1, v0
	s_delay_alu instid0(VALU_DEP_2)
	v_add_co_ci_u32_e32 v1, vcc_lo, 0, v4, vcc_lo
	v_mul_f64 v[2:3], s[8:9], v[2:3]
	global_store_b64 v[0:1], v[2:3], off
.LBB64_15:
	s_nop 0
	s_sendmsg sendmsg(MSG_DEALLOC_VGPRS)
	s_endpgm
	.section	.rodata,"a",@progbits
	.p2align	6, 0x0
	.amdhsa_kernel _ZL23rocblas_trmm_lTx_kernelILi32ELb1EdPKdS0_dEv13rocblas_fill_17rocblas_diagonal_iiT2_lPT3_llS6_llPT4_lli
		.amdhsa_group_segment_fixed_size 16384
		.amdhsa_private_segment_fixed_size 0
		.amdhsa_kernarg_size 108
		.amdhsa_user_sgpr_count 14
		.amdhsa_user_sgpr_dispatch_ptr 0
		.amdhsa_user_sgpr_queue_ptr 0
		.amdhsa_user_sgpr_kernarg_segment_ptr 1
		.amdhsa_user_sgpr_dispatch_id 0
		.amdhsa_user_sgpr_private_segment_size 0
		.amdhsa_wavefront_size32 1
		.amdhsa_uses_dynamic_stack 0
		.amdhsa_enable_private_segment 0
		.amdhsa_system_sgpr_workgroup_id_x 1
		.amdhsa_system_sgpr_workgroup_id_y 0
		.amdhsa_system_sgpr_workgroup_id_z 1
		.amdhsa_system_sgpr_workgroup_info 0
		.amdhsa_system_vgpr_workitem_id 1
		.amdhsa_next_free_vgpr 18
		.amdhsa_next_free_sgpr 32
		.amdhsa_reserve_vcc 1
		.amdhsa_float_round_mode_32 0
		.amdhsa_float_round_mode_16_64 0
		.amdhsa_float_denorm_mode_32 3
		.amdhsa_float_denorm_mode_16_64 3
		.amdhsa_dx10_clamp 1
		.amdhsa_ieee_mode 1
		.amdhsa_fp16_overflow 0
		.amdhsa_workgroup_processor_mode 1
		.amdhsa_memory_ordered 1
		.amdhsa_forward_progress 0
		.amdhsa_shared_vgpr_count 0
		.amdhsa_exception_fp_ieee_invalid_op 0
		.amdhsa_exception_fp_denorm_src 0
		.amdhsa_exception_fp_ieee_div_zero 0
		.amdhsa_exception_fp_ieee_overflow 0
		.amdhsa_exception_fp_ieee_underflow 0
		.amdhsa_exception_fp_ieee_inexact 0
		.amdhsa_exception_int_div_zero 0
	.end_amdhsa_kernel
	.section	.text._ZL23rocblas_trmm_lTx_kernelILi32ELb1EdPKdS0_dEv13rocblas_fill_17rocblas_diagonal_iiT2_lPT3_llS6_llPT4_lli,"axG",@progbits,_ZL23rocblas_trmm_lTx_kernelILi32ELb1EdPKdS0_dEv13rocblas_fill_17rocblas_diagonal_iiT2_lPT3_llS6_llPT4_lli,comdat
.Lfunc_end64:
	.size	_ZL23rocblas_trmm_lTx_kernelILi32ELb1EdPKdS0_dEv13rocblas_fill_17rocblas_diagonal_iiT2_lPT3_llS6_llPT4_lli, .Lfunc_end64-_ZL23rocblas_trmm_lTx_kernelILi32ELb1EdPKdS0_dEv13rocblas_fill_17rocblas_diagonal_iiT2_lPT3_llS6_llPT4_lli
                                        ; -- End function
	.section	.AMDGPU.csdata,"",@progbits
; Kernel info:
; codeLenInByte = 1584
; NumSgprs: 34
; NumVgprs: 18
; ScratchSize: 0
; MemoryBound: 0
; FloatMode: 240
; IeeeMode: 1
; LDSByteSize: 16384 bytes/workgroup (compile time only)
; SGPRBlocks: 4
; VGPRBlocks: 2
; NumSGPRsForWavesPerEU: 34
; NumVGPRsForWavesPerEU: 18
; Occupancy: 16
; WaveLimiterHint : 0
; COMPUTE_PGM_RSRC2:SCRATCH_EN: 0
; COMPUTE_PGM_RSRC2:USER_SGPR: 14
; COMPUTE_PGM_RSRC2:TRAP_HANDLER: 0
; COMPUTE_PGM_RSRC2:TGID_X_EN: 1
; COMPUTE_PGM_RSRC2:TGID_Y_EN: 0
; COMPUTE_PGM_RSRC2:TGID_Z_EN: 1
; COMPUTE_PGM_RSRC2:TIDIG_COMP_CNT: 1
	.section	.text._ZL23rocblas_trmm_lTx_kernelILi32ELb1EddKddEv13rocblas_fill_17rocblas_diagonal_iiT2_lPT3_llS5_llPT4_lli,"axG",@progbits,_ZL23rocblas_trmm_lTx_kernelILi32ELb1EddKddEv13rocblas_fill_17rocblas_diagonal_iiT2_lPT3_llS5_llPT4_lli,comdat
	.globl	_ZL23rocblas_trmm_lTx_kernelILi32ELb1EddKddEv13rocblas_fill_17rocblas_diagonal_iiT2_lPT3_llS5_llPT4_lli ; -- Begin function _ZL23rocblas_trmm_lTx_kernelILi32ELb1EddKddEv13rocblas_fill_17rocblas_diagonal_iiT2_lPT3_llS5_llPT4_lli
	.p2align	8
	.type	_ZL23rocblas_trmm_lTx_kernelILi32ELb1EddKddEv13rocblas_fill_17rocblas_diagonal_iiT2_lPT3_llS5_llPT4_lli,@function
_ZL23rocblas_trmm_lTx_kernelILi32ELb1EddKddEv13rocblas_fill_17rocblas_diagonal_iiT2_lPT3_llS5_llPT4_lli: ; @_ZL23rocblas_trmm_lTx_kernelILi32ELb1EddKddEv13rocblas_fill_17rocblas_diagonal_iiT2_lPT3_llS5_llPT4_lli
; %bb.0:
	s_load_b64 s[8:9], s[0:1], 0x10
	s_waitcnt lgkmcnt(0)
	v_cmp_eq_f64_e64 s2, s[8:9], 0
	s_delay_alu instid0(VALU_DEP_1)
	s_and_b32 vcc_lo, exec_lo, s2
	s_cbranch_vccnz .LBB65_15
; %bb.1:
	s_clause 0x1
	s_load_b128 s[4:7], s[0:1], 0x0
	s_load_b512 s[16:31], s[0:1], 0x20
	v_bfe_u32 v1, v0, 10, 10
	s_mov_b32 s2, 0
	s_delay_alu instid0(SALU_CYCLE_1) | instskip(SKIP_1) | instid1(VALU_DEP_2)
	s_mov_b32 s3, s2
	v_and_b32_e32 v4, 0x3ff, v0
	v_lshlrev_b32_e32 v2, 5, v1
	v_dual_mov_b32 v6, s3 :: v_dual_mov_b32 v5, s2
	s_delay_alu instid0(VALU_DEP_3) | instskip(NEXT) | instid1(VALU_DEP_3)
	v_lshlrev_b32_e32 v0, 3, v4
	v_add_lshl_u32 v3, v2, v4, 3
	ds_store_2addr_stride64_b64 v3, v[5:6], v[5:6] offset1:16
	s_waitcnt lgkmcnt(0)
	s_barrier
	v_cmp_gt_i32_e64 s2, s6, v1
	v_cmp_gt_i32_e32 vcc_lo, s6, v4
	buffer_gl0_inv
	s_and_b32 s2, s2, vcc_lo
	s_delay_alu instid0(SALU_CYCLE_1)
	s_and_saveexec_b32 s3, s2
	s_cbranch_execz .LBB65_3
; %bb.2:
	v_mad_u64_u32 v[5:6], null, v1, s18, 0
	s_mul_i32 s2, s15, s21
	s_mul_hi_u32 s6, s15, s20
	s_mul_i32 s10, s15, s20
	s_add_i32 s11, s6, s2
	s_delay_alu instid0(SALU_CYCLE_1) | instskip(NEXT) | instid1(VALU_DEP_1)
	s_lshl_b64 s[10:11], s[10:11], 3
	v_mad_u64_u32 v[7:8], null, v1, s19, v[6:7]
	s_add_u32 s2, s16, s10
	s_addc_u32 s6, s17, s11
	s_delay_alu instid0(VALU_DEP_1) | instskip(NEXT) | instid1(VALU_DEP_1)
	v_dual_mov_b32 v6, v7 :: v_dual_lshlrev_b32 v7, 5, v4
	v_lshlrev_b64 v[5:6], 3, v[5:6]
	s_delay_alu instid0(VALU_DEP_2) | instskip(NEXT) | instid1(VALU_DEP_2)
	v_add_lshl_u32 v7, v7, v1, 3
	v_add_co_u32 v5, s2, s2, v5
	s_delay_alu instid0(VALU_DEP_1) | instskip(NEXT) | instid1(VALU_DEP_2)
	v_add_co_ci_u32_e64 v6, s2, s6, v6, s2
	v_add_co_u32 v5, s2, v5, v0
	s_delay_alu instid0(VALU_DEP_1)
	v_add_co_ci_u32_e64 v6, s2, 0, v6, s2
	global_load_b64 v[5:6], v[5:6], off
	s_waitcnt vmcnt(0)
	ds_store_b64 v7, v[5:6]
.LBB65_3:
	s_or_b32 exec_lo, exec_lo, s3
	s_add_i32 s2, s7, -1
	s_delay_alu instid0(SALU_CYCLE_1) | instskip(NEXT) | instid1(SALU_CYCLE_1)
	s_ashr_i32 s3, s2, 31
	s_lshr_b32 s3, s3, 27
	s_delay_alu instid0(SALU_CYCLE_1) | instskip(NEXT) | instid1(SALU_CYCLE_1)
	s_add_i32 s2, s2, s3
	s_and_b32 s3, s2, 0xffffffe0
	s_ashr_i32 s2, s2, 5
	s_sub_i32 s3, s7, s3
	s_cmp_ge_i32 s14, s2
	s_cselect_b32 s2, s3, 32
	s_lshl_b32 s3, s14, 5
	v_cmp_gt_i32_e64 s2, s2, v1
	s_ashr_i32 s6, s3, 31
	s_delay_alu instid0(VALU_DEP_1) | instskip(NEXT) | instid1(SALU_CYCLE_1)
	s_and_b32 s2, vcc_lo, s2
	s_and_saveexec_b32 s7, s2
	s_cbranch_execz .LBB65_5
; %bb.4:
	v_mad_u64_u32 v[5:6], null, v1, s24, 0
	s_mul_i32 s11, s15, s27
	s_mul_hi_u32 s12, s15, s26
	s_mul_i32 s10, s15, s26
	s_add_i32 s11, s12, s11
	s_mul_i32 s13, s3, s25
	s_lshl_b64 s[10:11], s[10:11], 3
	s_delay_alu instid0(VALU_DEP_1)
	v_mad_u64_u32 v[7:8], null, v1, s25, v[6:7]
	s_mul_hi_u32 s12, s3, s24
	s_add_u32 s16, s22, s10
	s_mul_i32 s14, s6, s24
	s_addc_u32 s17, s23, s11
	s_add_i32 s11, s12, s13
	s_mul_i32 s10, s3, s24
	s_delay_alu instid0(VALU_DEP_1) | instskip(SKIP_1) | instid1(SALU_CYCLE_1)
	v_dual_mov_b32 v6, v7 :: v_dual_add_nc_u32 v7, 0x2000, v3
	s_add_i32 s11, s11, s14
	s_lshl_b64 s[10:11], s[10:11], 3
	s_delay_alu instid0(VALU_DEP_1) | instskip(SKIP_2) | instid1(VALU_DEP_1)
	v_lshlrev_b64 v[5:6], 3, v[5:6]
	s_add_u32 s10, s16, s10
	s_addc_u32 s11, s17, s11
	v_add_co_u32 v5, vcc_lo, s10, v5
	s_delay_alu instid0(VALU_DEP_2) | instskip(NEXT) | instid1(VALU_DEP_2)
	v_add_co_ci_u32_e32 v6, vcc_lo, s11, v6, vcc_lo
	v_add_co_u32 v5, vcc_lo, v5, v0
	s_delay_alu instid0(VALU_DEP_2)
	v_add_co_ci_u32_e32 v6, vcc_lo, 0, v6, vcc_lo
	global_load_b64 v[5:6], v[5:6], off
	s_waitcnt vmcnt(0)
	ds_store_b64 v7, v[5:6]
.LBB65_5:
	s_or_b32 exec_lo, exec_lo, s7
	v_cmp_eq_u32_e32 vcc_lo, v1, v4
	s_cmpk_eq_i32 s5, 0x84
	s_cselect_b32 s5, -1, 0
	s_delay_alu instid0(SALU_CYCLE_1) | instskip(NEXT) | instid1(SALU_CYCLE_1)
	s_and_b32 s7, vcc_lo, s5
	s_and_saveexec_b32 s5, s7
	s_cbranch_execz .LBB65_7
; %bb.6:
	v_dual_mov_b32 v5, 0 :: v_dual_mov_b32 v6, 0x3ff00000
	ds_store_b64 v3, v[5:6]
.LBB65_7:
	s_or_b32 exec_lo, exec_lo, s5
	s_cmpk_lg_i32 s4, 0x7a
	s_waitcnt lgkmcnt(0)
	s_barrier
	buffer_gl0_inv
	s_cbranch_scc0 .LBB65_9
; %bb.8:
	v_cmp_lt_u32_e32 vcc_lo, v4, v1
	s_and_b32 s4, vcc_lo, exec_lo
	s_cbranch_execz .LBB65_10
	s_branch .LBB65_11
.LBB65_9:
	s_mov_b32 s4, 0
.LBB65_10:
	v_cmp_gt_u32_e32 vcc_lo, v4, v1
	s_and_not1_b32 s4, s4, exec_lo
	s_and_b32 s5, vcc_lo, exec_lo
	s_delay_alu instid0(SALU_CYCLE_1)
	s_or_b32 s4, s4, s5
.LBB65_11:
	s_delay_alu instid0(SALU_CYCLE_1)
	s_and_saveexec_b32 s5, s4
	s_cbranch_execz .LBB65_13
; %bb.12:
	v_mov_b32_e32 v4, 0
	s_delay_alu instid0(VALU_DEP_1)
	v_mov_b32_e32 v5, v4
	ds_store_b64 v3, v[4:5]
.LBB65_13:
	s_or_b32 exec_lo, exec_lo, s5
	s_waitcnt lgkmcnt(0)
	s_barrier
	buffer_gl0_inv
	s_and_saveexec_b32 s4, s2
	s_cbranch_execz .LBB65_15
; %bb.14:
	v_lshlrev_b32_e32 v16, 3, v2
	v_add_nc_u32_e32 v17, 0x800, v0
	s_load_b64 s[0:1], s[0:1], 0x60
	s_mul_hi_u32 s4, s3, s30
	ds_load_2addr_b64 v[2:5], v0 offset1:32
	ds_load_b128 v[6:9], v16 offset:8192
	ds_load_b128 v[10:13], v16 offset:8208
	s_mul_i32 s6, s6, s30
	s_waitcnt lgkmcnt(0)
	s_mul_i32 s1, s15, s1
	v_fma_f64 v[2:3], v[2:3], v[6:7], 0
	s_mul_hi_u32 s2, s15, s0
	s_mul_i32 s0, s15, s0
	s_add_i32 s1, s2, s1
	s_delay_alu instid0(SALU_CYCLE_1) | instskip(NEXT) | instid1(SALU_CYCLE_1)
	s_lshl_b64 s[0:1], s[0:1], 3
	s_add_u32 s2, s28, s0
	s_mul_i32 s0, s3, s31
	s_addc_u32 s5, s29, s1
	s_add_i32 s0, s4, s0
	s_delay_alu instid0(SALU_CYCLE_1) | instskip(SKIP_1) | instid1(SALU_CYCLE_1)
	s_add_i32 s1, s0, s6
	s_mul_i32 s0, s3, s30
	s_lshl_b64 s[0:1], s[0:1], 3
	s_delay_alu instid0(SALU_CYCLE_1) | instskip(SKIP_1) | instid1(VALU_DEP_1)
	s_add_u32 s0, s2, s0
	s_addc_u32 s1, s5, s1
	v_fma_f64 v[6:7], v[4:5], v[8:9], v[2:3]
	ds_load_2addr_b64 v[2:5], v0 offset0:64 offset1:96
	s_waitcnt lgkmcnt(0)
	v_fma_f64 v[2:3], v[2:3], v[10:11], v[6:7]
	s_delay_alu instid0(VALU_DEP_1)
	v_fma_f64 v[14:15], v[4:5], v[12:13], v[2:3]
	ds_load_2addr_b64 v[2:5], v0 offset0:128 offset1:160
	ds_load_b128 v[6:9], v16 offset:8224
	ds_load_b128 v[10:13], v16 offset:8240
	s_waitcnt lgkmcnt(1)
	v_fma_f64 v[2:3], v[2:3], v[6:7], v[14:15]
	s_delay_alu instid0(VALU_DEP_1) | instskip(SKIP_3) | instid1(VALU_DEP_1)
	v_fma_f64 v[6:7], v[4:5], v[8:9], v[2:3]
	ds_load_2addr_b64 v[2:5], v0 offset0:192 offset1:224
	s_waitcnt lgkmcnt(0)
	v_fma_f64 v[2:3], v[2:3], v[10:11], v[6:7]
	v_fma_f64 v[14:15], v[4:5], v[12:13], v[2:3]
	ds_load_2addr_b64 v[2:5], v17 offset1:32
	ds_load_b128 v[6:9], v16 offset:8256
	ds_load_b128 v[10:13], v16 offset:8272
	s_waitcnt lgkmcnt(1)
	v_fma_f64 v[2:3], v[2:3], v[6:7], v[14:15]
	s_delay_alu instid0(VALU_DEP_1) | instskip(SKIP_3) | instid1(VALU_DEP_1)
	v_fma_f64 v[6:7], v[4:5], v[8:9], v[2:3]
	ds_load_2addr_b64 v[2:5], v17 offset0:64 offset1:96
	s_waitcnt lgkmcnt(0)
	v_fma_f64 v[2:3], v[2:3], v[10:11], v[6:7]
	v_fma_f64 v[14:15], v[4:5], v[12:13], v[2:3]
	ds_load_2addr_b64 v[2:5], v17 offset0:128 offset1:160
	ds_load_b128 v[6:9], v16 offset:8288
	ds_load_b128 v[10:13], v16 offset:8304
	s_waitcnt lgkmcnt(1)
	v_fma_f64 v[2:3], v[2:3], v[6:7], v[14:15]
	s_delay_alu instid0(VALU_DEP_1) | instskip(SKIP_4) | instid1(VALU_DEP_1)
	v_fma_f64 v[6:7], v[4:5], v[8:9], v[2:3]
	ds_load_2addr_b64 v[2:5], v17 offset0:192 offset1:224
	v_add_nc_u32_e32 v17, 0x1000, v0
	s_waitcnt lgkmcnt(0)
	v_fma_f64 v[2:3], v[2:3], v[10:11], v[6:7]
	v_fma_f64 v[14:15], v[4:5], v[12:13], v[2:3]
	ds_load_2addr_b64 v[2:5], v17 offset1:32
	ds_load_b128 v[6:9], v16 offset:8320
	ds_load_b128 v[10:13], v16 offset:8336
	s_waitcnt lgkmcnt(1)
	v_fma_f64 v[2:3], v[2:3], v[6:7], v[14:15]
	s_delay_alu instid0(VALU_DEP_1) | instskip(SKIP_3) | instid1(VALU_DEP_1)
	v_fma_f64 v[6:7], v[4:5], v[8:9], v[2:3]
	ds_load_2addr_b64 v[2:5], v17 offset0:64 offset1:96
	s_waitcnt lgkmcnt(0)
	v_fma_f64 v[2:3], v[2:3], v[10:11], v[6:7]
	v_fma_f64 v[14:15], v[4:5], v[12:13], v[2:3]
	ds_load_2addr_b64 v[2:5], v17 offset0:128 offset1:160
	ds_load_b128 v[6:9], v16 offset:8352
	ds_load_b128 v[10:13], v16 offset:8368
	s_waitcnt lgkmcnt(1)
	v_fma_f64 v[2:3], v[2:3], v[6:7], v[14:15]
	s_delay_alu instid0(VALU_DEP_1) | instskip(SKIP_4) | instid1(VALU_DEP_1)
	v_fma_f64 v[6:7], v[4:5], v[8:9], v[2:3]
	ds_load_2addr_b64 v[2:5], v17 offset0:192 offset1:224
	v_add_nc_u32_e32 v17, 0x1800, v0
	s_waitcnt lgkmcnt(0)
	v_fma_f64 v[2:3], v[2:3], v[10:11], v[6:7]
	v_fma_f64 v[14:15], v[4:5], v[12:13], v[2:3]
	ds_load_2addr_b64 v[2:5], v17 offset1:32
	ds_load_b128 v[6:9], v16 offset:8384
	ds_load_b128 v[10:13], v16 offset:8400
	s_waitcnt lgkmcnt(1)
	v_fma_f64 v[2:3], v[2:3], v[6:7], v[14:15]
	s_delay_alu instid0(VALU_DEP_1) | instskip(SKIP_3) | instid1(VALU_DEP_1)
	v_fma_f64 v[6:7], v[4:5], v[8:9], v[2:3]
	ds_load_2addr_b64 v[2:5], v17 offset0:64 offset1:96
	s_waitcnt lgkmcnt(0)
	v_fma_f64 v[2:3], v[2:3], v[10:11], v[6:7]
	v_fma_f64 v[14:15], v[4:5], v[12:13], v[2:3]
	ds_load_2addr_b64 v[2:5], v17 offset0:128 offset1:160
	ds_load_b128 v[6:9], v16 offset:8416
	ds_load_b128 v[10:13], v16 offset:8432
	s_waitcnt lgkmcnt(1)
	v_fma_f64 v[2:3], v[2:3], v[6:7], v[14:15]
	s_delay_alu instid0(VALU_DEP_1) | instskip(SKIP_3) | instid1(VALU_DEP_1)
	v_fma_f64 v[6:7], v[4:5], v[8:9], v[2:3]
	ds_load_2addr_b64 v[2:5], v17 offset0:192 offset1:224
	s_waitcnt lgkmcnt(0)
	v_fma_f64 v[2:3], v[2:3], v[10:11], v[6:7]
	v_fma_f64 v[2:3], v[4:5], v[12:13], v[2:3]
	v_mad_u64_u32 v[4:5], null, v1, s30, 0
	s_delay_alu instid0(VALU_DEP_1) | instskip(NEXT) | instid1(VALU_DEP_1)
	v_mad_u64_u32 v[6:7], null, v1, s31, v[5:6]
	v_mov_b32_e32 v5, v6
	s_delay_alu instid0(VALU_DEP_1) | instskip(NEXT) | instid1(VALU_DEP_1)
	v_lshlrev_b64 v[4:5], 3, v[4:5]
	v_add_co_u32 v1, vcc_lo, s0, v4
	s_delay_alu instid0(VALU_DEP_2) | instskip(NEXT) | instid1(VALU_DEP_2)
	v_add_co_ci_u32_e32 v4, vcc_lo, s1, v5, vcc_lo
	v_add_co_u32 v0, vcc_lo, v1, v0
	s_delay_alu instid0(VALU_DEP_2)
	v_add_co_ci_u32_e32 v1, vcc_lo, 0, v4, vcc_lo
	v_mul_f64 v[2:3], v[2:3], s[8:9]
	global_store_b64 v[0:1], v[2:3], off
.LBB65_15:
	s_nop 0
	s_sendmsg sendmsg(MSG_DEALLOC_VGPRS)
	s_endpgm
	.section	.rodata,"a",@progbits
	.p2align	6, 0x0
	.amdhsa_kernel _ZL23rocblas_trmm_lTx_kernelILi32ELb1EddKddEv13rocblas_fill_17rocblas_diagonal_iiT2_lPT3_llS5_llPT4_lli
		.amdhsa_group_segment_fixed_size 16384
		.amdhsa_private_segment_fixed_size 0
		.amdhsa_kernarg_size 108
		.amdhsa_user_sgpr_count 14
		.amdhsa_user_sgpr_dispatch_ptr 0
		.amdhsa_user_sgpr_queue_ptr 0
		.amdhsa_user_sgpr_kernarg_segment_ptr 1
		.amdhsa_user_sgpr_dispatch_id 0
		.amdhsa_user_sgpr_private_segment_size 0
		.amdhsa_wavefront_size32 1
		.amdhsa_uses_dynamic_stack 0
		.amdhsa_enable_private_segment 0
		.amdhsa_system_sgpr_workgroup_id_x 1
		.amdhsa_system_sgpr_workgroup_id_y 0
		.amdhsa_system_sgpr_workgroup_id_z 1
		.amdhsa_system_sgpr_workgroup_info 0
		.amdhsa_system_vgpr_workitem_id 1
		.amdhsa_next_free_vgpr 18
		.amdhsa_next_free_sgpr 32
		.amdhsa_reserve_vcc 1
		.amdhsa_float_round_mode_32 0
		.amdhsa_float_round_mode_16_64 0
		.amdhsa_float_denorm_mode_32 3
		.amdhsa_float_denorm_mode_16_64 3
		.amdhsa_dx10_clamp 1
		.amdhsa_ieee_mode 1
		.amdhsa_fp16_overflow 0
		.amdhsa_workgroup_processor_mode 1
		.amdhsa_memory_ordered 1
		.amdhsa_forward_progress 0
		.amdhsa_shared_vgpr_count 0
		.amdhsa_exception_fp_ieee_invalid_op 0
		.amdhsa_exception_fp_denorm_src 0
		.amdhsa_exception_fp_ieee_div_zero 0
		.amdhsa_exception_fp_ieee_overflow 0
		.amdhsa_exception_fp_ieee_underflow 0
		.amdhsa_exception_fp_ieee_inexact 0
		.amdhsa_exception_int_div_zero 0
	.end_amdhsa_kernel
	.section	.text._ZL23rocblas_trmm_lTx_kernelILi32ELb1EddKddEv13rocblas_fill_17rocblas_diagonal_iiT2_lPT3_llS5_llPT4_lli,"axG",@progbits,_ZL23rocblas_trmm_lTx_kernelILi32ELb1EddKddEv13rocblas_fill_17rocblas_diagonal_iiT2_lPT3_llS5_llPT4_lli,comdat
.Lfunc_end65:
	.size	_ZL23rocblas_trmm_lTx_kernelILi32ELb1EddKddEv13rocblas_fill_17rocblas_diagonal_iiT2_lPT3_llS5_llPT4_lli, .Lfunc_end65-_ZL23rocblas_trmm_lTx_kernelILi32ELb1EddKddEv13rocblas_fill_17rocblas_diagonal_iiT2_lPT3_llS5_llPT4_lli
                                        ; -- End function
	.section	.AMDGPU.csdata,"",@progbits
; Kernel info:
; codeLenInByte = 1544
; NumSgprs: 34
; NumVgprs: 18
; ScratchSize: 0
; MemoryBound: 0
; FloatMode: 240
; IeeeMode: 1
; LDSByteSize: 16384 bytes/workgroup (compile time only)
; SGPRBlocks: 4
; VGPRBlocks: 2
; NumSGPRsForWavesPerEU: 34
; NumVGPRsForWavesPerEU: 18
; Occupancy: 16
; WaveLimiterHint : 0
; COMPUTE_PGM_RSRC2:SCRATCH_EN: 0
; COMPUTE_PGM_RSRC2:USER_SGPR: 14
; COMPUTE_PGM_RSRC2:TRAP_HANDLER: 0
; COMPUTE_PGM_RSRC2:TGID_X_EN: 1
; COMPUTE_PGM_RSRC2:TGID_Y_EN: 0
; COMPUTE_PGM_RSRC2:TGID_Z_EN: 1
; COMPUTE_PGM_RSRC2:TIDIG_COMP_CNT: 1
	.section	.text._ZL23rocblas_trmm_rNx_kernelILi32EdPKdS0_dEv13rocblas_fill_17rocblas_diagonal_iiT1_lPT2_llS6_llPT3_lli,"axG",@progbits,_ZL23rocblas_trmm_rNx_kernelILi32EdPKdS0_dEv13rocblas_fill_17rocblas_diagonal_iiT1_lPT2_llS6_llPT3_lli,comdat
	.globl	_ZL23rocblas_trmm_rNx_kernelILi32EdPKdS0_dEv13rocblas_fill_17rocblas_diagonal_iiT1_lPT2_llS6_llPT3_lli ; -- Begin function _ZL23rocblas_trmm_rNx_kernelILi32EdPKdS0_dEv13rocblas_fill_17rocblas_diagonal_iiT1_lPT2_llS6_llPT3_lli
	.p2align	8
	.type	_ZL23rocblas_trmm_rNx_kernelILi32EdPKdS0_dEv13rocblas_fill_17rocblas_diagonal_iiT1_lPT2_llS6_llPT3_lli,@function
_ZL23rocblas_trmm_rNx_kernelILi32EdPKdS0_dEv13rocblas_fill_17rocblas_diagonal_iiT1_lPT2_llS6_llPT3_lli: ; @_ZL23rocblas_trmm_rNx_kernelILi32EdPKdS0_dEv13rocblas_fill_17rocblas_diagonal_iiT1_lPT2_llS6_llPT3_lli
; %bb.0:
	s_load_b512 s[16:31], s[0:1], 0x10
	s_waitcnt lgkmcnt(0)
	s_mul_i32 s2, s15, s19
	s_mul_hi_u32 s3, s15, s18
	s_delay_alu instid0(SALU_CYCLE_1) | instskip(SKIP_1) | instid1(SALU_CYCLE_1)
	s_add_i32 s3, s3, s2
	s_mul_i32 s2, s15, s18
	s_lshl_b64 s[2:3], s[2:3], 3
	s_delay_alu instid0(SALU_CYCLE_1) | instskip(SKIP_4) | instid1(VALU_DEP_1)
	s_add_u32 s2, s16, s2
	s_addc_u32 s3, s17, s3
	s_load_b64 s[8:9], s[2:3], 0x0
	s_waitcnt lgkmcnt(0)
	v_cmp_eq_f64_e64 s2, s[8:9], 0
	s_and_b32 vcc_lo, exec_lo, s2
	s_cbranch_vccnz .LBB66_15
; %bb.1:
	s_load_b128 s[4:7], s[0:1], 0x0
	v_bfe_u32 v1, v0, 10, 10
	s_mov_b32 s10, 0
	s_delay_alu instid0(SALU_CYCLE_1) | instskip(SKIP_1) | instid1(VALU_DEP_2)
	s_mov_b32 s11, s10
	v_dual_mov_b32 v5, s10 :: v_dual_and_b32 v4, 0x3ff, v0
	v_lshlrev_b32_e32 v2, 5, v1
	v_mov_b32_e32 v6, s11
	s_delay_alu instid0(VALU_DEP_3) | instskip(NEXT) | instid1(VALU_DEP_3)
	v_lshlrev_b32_e32 v0, 3, v4
	v_add_lshl_u32 v3, v2, v4, 3
	ds_store_2addr_stride64_b64 v3, v[5:6], v[5:6] offset1:16
	s_waitcnt lgkmcnt(0)
	v_cmp_gt_i32_e32 vcc_lo, s7, v1
	v_cmp_gt_i32_e64 s2, s7, v4
	s_delay_alu instid0(VALU_DEP_1) | instskip(NEXT) | instid1(SALU_CYCLE_1)
	s_and_b32 s2, vcc_lo, s2
	s_and_saveexec_b32 s3, s2
	s_cbranch_execz .LBB66_3
; %bb.2:
	v_mad_u64_u32 v[5:6], null, v1, s22, 0
	s_mul_i32 s2, s15, s25
	s_mul_hi_u32 s7, s15, s24
	s_mul_i32 s10, s15, s24
	s_add_i32 s11, s7, s2
	s_delay_alu instid0(SALU_CYCLE_1) | instskip(NEXT) | instid1(VALU_DEP_1)
	s_lshl_b64 s[10:11], s[10:11], 3
	v_mad_u64_u32 v[7:8], null, v1, s23, v[6:7]
	s_add_u32 s2, s20, s10
	s_addc_u32 s7, s21, s11
	s_delay_alu instid0(VALU_DEP_1) | instskip(NEXT) | instid1(VALU_DEP_1)
	v_mov_b32_e32 v6, v7
	v_lshlrev_b64 v[5:6], 3, v[5:6]
	s_delay_alu instid0(VALU_DEP_1) | instskip(NEXT) | instid1(VALU_DEP_1)
	v_add_co_u32 v5, s2, s2, v5
	v_add_co_ci_u32_e64 v6, s2, s7, v6, s2
	s_delay_alu instid0(VALU_DEP_2) | instskip(NEXT) | instid1(VALU_DEP_1)
	v_add_co_u32 v5, s2, v5, v0
	v_add_co_ci_u32_e64 v6, s2, 0, v6, s2
	global_load_b64 v[5:6], v[5:6], off
	s_waitcnt vmcnt(0)
	ds_store_b64 v3, v[5:6]
.LBB66_3:
	s_or_b32 exec_lo, exec_lo, s3
	s_add_i32 s2, s6, -1
	s_delay_alu instid0(SALU_CYCLE_1) | instskip(NEXT) | instid1(SALU_CYCLE_1)
	s_ashr_i32 s3, s2, 31
	s_lshr_b32 s3, s3, 27
	s_delay_alu instid0(SALU_CYCLE_1) | instskip(NEXT) | instid1(SALU_CYCLE_1)
	s_add_i32 s2, s2, s3
	s_and_b32 s3, s2, 0xffffffe0
	s_ashr_i32 s2, s2, 5
	s_sub_i32 s3, s6, s3
	s_cmp_ge_i32 s14, s2
	s_cselect_b32 s2, s3, 32
	s_lshl_b32 s6, s14, 5
	v_cmp_gt_i32_e64 s2, s2, v4
	s_ashr_i32 s7, s6, 31
	s_delay_alu instid0(VALU_DEP_1) | instskip(NEXT) | instid1(SALU_CYCLE_1)
	s_and_b32 s2, vcc_lo, s2
	s_and_saveexec_b32 s3, s2
	s_cbranch_execz .LBB66_5
; %bb.4:
	v_mad_u64_u32 v[5:6], null, v1, s28, 0
	s_mul_i32 s11, s15, s31
	s_mul_hi_u32 s12, s15, s30
	s_mul_i32 s10, s15, s30
	s_add_i32 s11, s12, s11
	s_delay_alu instid0(SALU_CYCLE_1) | instskip(NEXT) | instid1(VALU_DEP_1)
	s_lshl_b64 s[10:11], s[10:11], 3
	v_mad_u64_u32 v[7:8], null, v1, s29, v[6:7]
	s_add_u32 s12, s26, s10
	s_addc_u32 s13, s27, s11
	s_lshl_b64 s[10:11], s[6:7], 3
	s_delay_alu instid0(SALU_CYCLE_1) | instskip(SKIP_1) | instid1(VALU_DEP_1)
	s_add_u32 s10, s12, s10
	s_addc_u32 s11, s13, s11
	v_dual_mov_b32 v6, v7 :: v_dual_add_nc_u32 v7, 0x2000, v3
	s_delay_alu instid0(VALU_DEP_1) | instskip(NEXT) | instid1(VALU_DEP_1)
	v_lshlrev_b64 v[5:6], 3, v[5:6]
	v_add_co_u32 v5, vcc_lo, s10, v5
	s_delay_alu instid0(VALU_DEP_2) | instskip(NEXT) | instid1(VALU_DEP_2)
	v_add_co_ci_u32_e32 v6, vcc_lo, s11, v6, vcc_lo
	v_add_co_u32 v5, vcc_lo, v5, v0
	s_delay_alu instid0(VALU_DEP_2)
	v_add_co_ci_u32_e32 v6, vcc_lo, 0, v6, vcc_lo
	global_load_b64 v[5:6], v[5:6], off
	s_waitcnt vmcnt(0)
	ds_store_b64 v7, v[5:6]
.LBB66_5:
	s_or_b32 exec_lo, exec_lo, s3
	v_cmp_eq_u32_e32 vcc_lo, v1, v4
	s_cmpk_eq_i32 s5, 0x84
	s_cselect_b32 s3, -1, 0
	s_delay_alu instid0(SALU_CYCLE_1) | instskip(NEXT) | instid1(SALU_CYCLE_1)
	s_and_b32 s5, vcc_lo, s3
	s_and_saveexec_b32 s3, s5
	s_cbranch_execz .LBB66_7
; %bb.6:
	v_dual_mov_b32 v5, 0 :: v_dual_mov_b32 v6, 0x3ff00000
	ds_store_b64 v3, v[5:6]
.LBB66_7:
	s_or_b32 exec_lo, exec_lo, s3
	s_cmpk_lg_i32 s4, 0x79
	s_cbranch_scc0 .LBB66_9
; %bb.8:
	v_cmp_lt_u32_e32 vcc_lo, v4, v1
	s_and_b32 s3, vcc_lo, exec_lo
	s_cbranch_execz .LBB66_10
	s_branch .LBB66_11
.LBB66_9:
	s_mov_b32 s3, 0
.LBB66_10:
	v_cmp_gt_u32_e32 vcc_lo, v4, v1
	s_and_not1_b32 s3, s3, exec_lo
	s_and_b32 s4, vcc_lo, exec_lo
	s_delay_alu instid0(SALU_CYCLE_1)
	s_or_b32 s3, s3, s4
.LBB66_11:
	s_delay_alu instid0(SALU_CYCLE_1)
	s_and_saveexec_b32 s4, s3
	s_cbranch_execz .LBB66_13
; %bb.12:
	v_mov_b32_e32 v4, 0
	s_delay_alu instid0(VALU_DEP_1)
	v_mov_b32_e32 v5, v4
	ds_store_b64 v3, v[4:5]
.LBB66_13:
	s_or_b32 exec_lo, exec_lo, s4
	s_waitcnt lgkmcnt(0)
	s_barrier
	buffer_gl0_inv
	s_and_saveexec_b32 s3, s2
	s_cbranch_execz .LBB66_15
; %bb.14:
	v_add_nc_u32_e32 v16, 0x2000, v0
	v_lshlrev_b32_e32 v17, 3, v2
	ds_load_2addr_b64 v[2:5], v16 offset1:32
	ds_load_b128 v[6:9], v17
	ds_load_b128 v[10:13], v17 offset:16
	s_waitcnt lgkmcnt(1)
	v_fma_f64 v[2:3], v[2:3], v[6:7], 0
	s_delay_alu instid0(VALU_DEP_1) | instskip(SKIP_3) | instid1(VALU_DEP_1)
	v_fma_f64 v[6:7], v[4:5], v[8:9], v[2:3]
	ds_load_2addr_b64 v[2:5], v16 offset0:64 offset1:96
	s_waitcnt lgkmcnt(0)
	v_fma_f64 v[2:3], v[2:3], v[10:11], v[6:7]
	v_fma_f64 v[14:15], v[4:5], v[12:13], v[2:3]
	ds_load_2addr_b64 v[2:5], v16 offset0:128 offset1:160
	ds_load_b128 v[6:9], v17 offset:32
	ds_load_b128 v[10:13], v17 offset:48
	s_waitcnt lgkmcnt(1)
	v_fma_f64 v[2:3], v[2:3], v[6:7], v[14:15]
	s_delay_alu instid0(VALU_DEP_1) | instskip(SKIP_4) | instid1(VALU_DEP_1)
	v_fma_f64 v[6:7], v[4:5], v[8:9], v[2:3]
	ds_load_2addr_b64 v[2:5], v16 offset0:192 offset1:224
	v_add_nc_u32_e32 v16, 0x2800, v0
	s_waitcnt lgkmcnt(0)
	v_fma_f64 v[2:3], v[2:3], v[10:11], v[6:7]
	v_fma_f64 v[14:15], v[4:5], v[12:13], v[2:3]
	ds_load_2addr_b64 v[2:5], v16 offset1:32
	ds_load_b128 v[6:9], v17 offset:64
	ds_load_b128 v[10:13], v17 offset:80
	s_waitcnt lgkmcnt(1)
	v_fma_f64 v[2:3], v[2:3], v[6:7], v[14:15]
	s_delay_alu instid0(VALU_DEP_1) | instskip(SKIP_3) | instid1(VALU_DEP_1)
	v_fma_f64 v[6:7], v[4:5], v[8:9], v[2:3]
	ds_load_2addr_b64 v[2:5], v16 offset0:64 offset1:96
	s_waitcnt lgkmcnt(0)
	v_fma_f64 v[2:3], v[2:3], v[10:11], v[6:7]
	v_fma_f64 v[14:15], v[4:5], v[12:13], v[2:3]
	ds_load_2addr_b64 v[2:5], v16 offset0:128 offset1:160
	ds_load_b128 v[6:9], v17 offset:96
	ds_load_b128 v[10:13], v17 offset:112
	s_waitcnt lgkmcnt(1)
	v_fma_f64 v[2:3], v[2:3], v[6:7], v[14:15]
	s_delay_alu instid0(VALU_DEP_1) | instskip(SKIP_4) | instid1(VALU_DEP_1)
	v_fma_f64 v[6:7], v[4:5], v[8:9], v[2:3]
	ds_load_2addr_b64 v[2:5], v16 offset0:192 offset1:224
	v_add_nc_u32_e32 v16, 0x3000, v0
	s_waitcnt lgkmcnt(0)
	v_fma_f64 v[2:3], v[2:3], v[10:11], v[6:7]
	v_fma_f64 v[14:15], v[4:5], v[12:13], v[2:3]
	ds_load_2addr_b64 v[2:5], v16 offset1:32
	ds_load_b128 v[6:9], v17 offset:128
	ds_load_b128 v[10:13], v17 offset:144
	s_waitcnt lgkmcnt(1)
	v_fma_f64 v[2:3], v[2:3], v[6:7], v[14:15]
	s_delay_alu instid0(VALU_DEP_1) | instskip(SKIP_3) | instid1(VALU_DEP_1)
	v_fma_f64 v[6:7], v[4:5], v[8:9], v[2:3]
	ds_load_2addr_b64 v[2:5], v16 offset0:64 offset1:96
	s_waitcnt lgkmcnt(0)
	v_fma_f64 v[2:3], v[2:3], v[10:11], v[6:7]
	v_fma_f64 v[14:15], v[4:5], v[12:13], v[2:3]
	ds_load_2addr_b64 v[2:5], v16 offset0:128 offset1:160
	ds_load_b128 v[6:9], v17 offset:160
	ds_load_b128 v[10:13], v17 offset:176
	s_waitcnt lgkmcnt(1)
	v_fma_f64 v[2:3], v[2:3], v[6:7], v[14:15]
	s_delay_alu instid0(VALU_DEP_1) | instskip(SKIP_4) | instid1(VALU_DEP_1)
	v_fma_f64 v[6:7], v[4:5], v[8:9], v[2:3]
	ds_load_2addr_b64 v[2:5], v16 offset0:192 offset1:224
	v_add_nc_u32_e32 v16, 0x3800, v0
	s_waitcnt lgkmcnt(0)
	v_fma_f64 v[2:3], v[2:3], v[10:11], v[6:7]
	v_fma_f64 v[14:15], v[4:5], v[12:13], v[2:3]
	ds_load_2addr_b64 v[2:5], v16 offset1:32
	ds_load_b128 v[6:9], v17 offset:192
	ds_load_b128 v[10:13], v17 offset:208
	s_waitcnt lgkmcnt(1)
	v_fma_f64 v[2:3], v[2:3], v[6:7], v[14:15]
	s_delay_alu instid0(VALU_DEP_1) | instskip(SKIP_3) | instid1(VALU_DEP_1)
	v_fma_f64 v[6:7], v[4:5], v[8:9], v[2:3]
	ds_load_2addr_b64 v[2:5], v16 offset0:64 offset1:96
	s_waitcnt lgkmcnt(0)
	v_fma_f64 v[2:3], v[2:3], v[10:11], v[6:7]
	v_fma_f64 v[14:15], v[4:5], v[12:13], v[2:3]
	ds_load_2addr_b64 v[2:5], v16 offset0:128 offset1:160
	ds_load_b128 v[6:9], v17 offset:224
	ds_load_b128 v[10:13], v17 offset:240
	s_waitcnt lgkmcnt(1)
	v_fma_f64 v[2:3], v[2:3], v[6:7], v[14:15]
	s_delay_alu instid0(VALU_DEP_1)
	v_fma_f64 v[6:7], v[4:5], v[8:9], v[2:3]
	ds_load_2addr_b64 v[2:5], v16 offset0:192 offset1:224
	s_clause 0x1
	s_load_b128 s[16:19], s[0:1], 0x50
	s_load_b64 s[0:1], s[0:1], 0x60
	s_waitcnt lgkmcnt(0)
	s_mul_i32 s1, s15, s1
	s_mul_hi_u32 s2, s15, s0
	s_mul_i32 s0, s15, s0
	s_add_i32 s1, s2, s1
	s_delay_alu instid0(SALU_CYCLE_1) | instskip(NEXT) | instid1(SALU_CYCLE_1)
	s_lshl_b64 s[0:1], s[0:1], 3
	s_add_u32 s2, s16, s0
	s_addc_u32 s3, s17, s1
	s_lshl_b64 s[0:1], s[6:7], 3
	s_delay_alu instid0(SALU_CYCLE_1) | instskip(SKIP_2) | instid1(VALU_DEP_1)
	s_add_u32 s0, s2, s0
	s_addc_u32 s1, s3, s1
	v_fma_f64 v[2:3], v[2:3], v[10:11], v[6:7]
	v_fma_f64 v[2:3], v[4:5], v[12:13], v[2:3]
	v_mad_u64_u32 v[4:5], null, v1, s18, 0
	s_delay_alu instid0(VALU_DEP_1) | instskip(NEXT) | instid1(VALU_DEP_1)
	v_mad_u64_u32 v[6:7], null, v1, s19, v[5:6]
	v_mov_b32_e32 v5, v6
	s_delay_alu instid0(VALU_DEP_1) | instskip(NEXT) | instid1(VALU_DEP_1)
	v_lshlrev_b64 v[4:5], 3, v[4:5]
	v_add_co_u32 v1, vcc_lo, s0, v4
	s_delay_alu instid0(VALU_DEP_2) | instskip(NEXT) | instid1(VALU_DEP_2)
	v_add_co_ci_u32_e32 v4, vcc_lo, s1, v5, vcc_lo
	v_add_co_u32 v0, vcc_lo, v1, v0
	s_delay_alu instid0(VALU_DEP_2)
	v_add_co_ci_u32_e32 v1, vcc_lo, 0, v4, vcc_lo
	v_mul_f64 v[2:3], s[8:9], v[2:3]
	global_store_b64 v[0:1], v[2:3], off
.LBB66_15:
	s_nop 0
	s_sendmsg sendmsg(MSG_DEALLOC_VGPRS)
	s_endpgm
	.section	.rodata,"a",@progbits
	.p2align	6, 0x0
	.amdhsa_kernel _ZL23rocblas_trmm_rNx_kernelILi32EdPKdS0_dEv13rocblas_fill_17rocblas_diagonal_iiT1_lPT2_llS6_llPT3_lli
		.amdhsa_group_segment_fixed_size 16384
		.amdhsa_private_segment_fixed_size 0
		.amdhsa_kernarg_size 108
		.amdhsa_user_sgpr_count 14
		.amdhsa_user_sgpr_dispatch_ptr 0
		.amdhsa_user_sgpr_queue_ptr 0
		.amdhsa_user_sgpr_kernarg_segment_ptr 1
		.amdhsa_user_sgpr_dispatch_id 0
		.amdhsa_user_sgpr_private_segment_size 0
		.amdhsa_wavefront_size32 1
		.amdhsa_uses_dynamic_stack 0
		.amdhsa_enable_private_segment 0
		.amdhsa_system_sgpr_workgroup_id_x 1
		.amdhsa_system_sgpr_workgroup_id_y 0
		.amdhsa_system_sgpr_workgroup_id_z 1
		.amdhsa_system_sgpr_workgroup_info 0
		.amdhsa_system_vgpr_workitem_id 1
		.amdhsa_next_free_vgpr 18
		.amdhsa_next_free_sgpr 32
		.amdhsa_reserve_vcc 1
		.amdhsa_float_round_mode_32 0
		.amdhsa_float_round_mode_16_64 0
		.amdhsa_float_denorm_mode_32 3
		.amdhsa_float_denorm_mode_16_64 3
		.amdhsa_dx10_clamp 1
		.amdhsa_ieee_mode 1
		.amdhsa_fp16_overflow 0
		.amdhsa_workgroup_processor_mode 1
		.amdhsa_memory_ordered 1
		.amdhsa_forward_progress 0
		.amdhsa_shared_vgpr_count 0
		.amdhsa_exception_fp_ieee_invalid_op 0
		.amdhsa_exception_fp_denorm_src 0
		.amdhsa_exception_fp_ieee_div_zero 0
		.amdhsa_exception_fp_ieee_overflow 0
		.amdhsa_exception_fp_ieee_underflow 0
		.amdhsa_exception_fp_ieee_inexact 0
		.amdhsa_exception_int_div_zero 0
	.end_amdhsa_kernel
	.section	.text._ZL23rocblas_trmm_rNx_kernelILi32EdPKdS0_dEv13rocblas_fill_17rocblas_diagonal_iiT1_lPT2_llS6_llPT3_lli,"axG",@progbits,_ZL23rocblas_trmm_rNx_kernelILi32EdPKdS0_dEv13rocblas_fill_17rocblas_diagonal_iiT1_lPT2_llS6_llPT3_lli,comdat
.Lfunc_end66:
	.size	_ZL23rocblas_trmm_rNx_kernelILi32EdPKdS0_dEv13rocblas_fill_17rocblas_diagonal_iiT1_lPT2_llS6_llPT3_lli, .Lfunc_end66-_ZL23rocblas_trmm_rNx_kernelILi32EdPKdS0_dEv13rocblas_fill_17rocblas_diagonal_iiT1_lPT2_llS6_llPT3_lli
                                        ; -- End function
	.section	.AMDGPU.csdata,"",@progbits
; Kernel info:
; codeLenInByte = 1500
; NumSgprs: 34
; NumVgprs: 18
; ScratchSize: 0
; MemoryBound: 0
; FloatMode: 240
; IeeeMode: 1
; LDSByteSize: 16384 bytes/workgroup (compile time only)
; SGPRBlocks: 4
; VGPRBlocks: 2
; NumSGPRsForWavesPerEU: 34
; NumVGPRsForWavesPerEU: 18
; Occupancy: 16
; WaveLimiterHint : 0
; COMPUTE_PGM_RSRC2:SCRATCH_EN: 0
; COMPUTE_PGM_RSRC2:USER_SGPR: 14
; COMPUTE_PGM_RSRC2:TRAP_HANDLER: 0
; COMPUTE_PGM_RSRC2:TGID_X_EN: 1
; COMPUTE_PGM_RSRC2:TGID_Y_EN: 0
; COMPUTE_PGM_RSRC2:TGID_Z_EN: 1
; COMPUTE_PGM_RSRC2:TIDIG_COMP_CNT: 1
	.section	.text._ZL23rocblas_trmm_rNx_kernelILi32EddKddEv13rocblas_fill_17rocblas_diagonal_iiT1_lPT2_llS5_llPT3_lli,"axG",@progbits,_ZL23rocblas_trmm_rNx_kernelILi32EddKddEv13rocblas_fill_17rocblas_diagonal_iiT1_lPT2_llS5_llPT3_lli,comdat
	.globl	_ZL23rocblas_trmm_rNx_kernelILi32EddKddEv13rocblas_fill_17rocblas_diagonal_iiT1_lPT2_llS5_llPT3_lli ; -- Begin function _ZL23rocblas_trmm_rNx_kernelILi32EddKddEv13rocblas_fill_17rocblas_diagonal_iiT1_lPT2_llS5_llPT3_lli
	.p2align	8
	.type	_ZL23rocblas_trmm_rNx_kernelILi32EddKddEv13rocblas_fill_17rocblas_diagonal_iiT1_lPT2_llS5_llPT3_lli,@function
_ZL23rocblas_trmm_rNx_kernelILi32EddKddEv13rocblas_fill_17rocblas_diagonal_iiT1_lPT2_llS5_llPT3_lli: ; @_ZL23rocblas_trmm_rNx_kernelILi32EddKddEv13rocblas_fill_17rocblas_diagonal_iiT1_lPT2_llS5_llPT3_lli
; %bb.0:
	s_load_b64 s[8:9], s[0:1], 0x10
	s_waitcnt lgkmcnt(0)
	v_cmp_eq_f64_e64 s2, s[8:9], 0
	s_delay_alu instid0(VALU_DEP_1)
	s_and_b32 vcc_lo, exec_lo, s2
	s_cbranch_vccnz .LBB67_15
; %bb.1:
	s_clause 0x1
	s_load_b128 s[4:7], s[0:1], 0x0
	s_load_b512 s[16:31], s[0:1], 0x20
	v_bfe_u32 v1, v0, 10, 10
	s_mov_b32 s10, 0
	s_delay_alu instid0(SALU_CYCLE_1) | instskip(SKIP_1) | instid1(VALU_DEP_2)
	s_mov_b32 s11, s10
	v_dual_mov_b32 v5, s10 :: v_dual_and_b32 v4, 0x3ff, v0
	v_lshlrev_b32_e32 v2, 5, v1
	v_mov_b32_e32 v6, s11
	s_delay_alu instid0(VALU_DEP_3) | instskip(NEXT) | instid1(VALU_DEP_3)
	v_lshlrev_b32_e32 v0, 3, v4
	v_add_lshl_u32 v3, v2, v4, 3
	ds_store_2addr_stride64_b64 v3, v[5:6], v[5:6] offset1:16
	s_waitcnt lgkmcnt(0)
	v_cmp_gt_i32_e32 vcc_lo, s7, v1
	v_cmp_gt_i32_e64 s2, s7, v4
	s_delay_alu instid0(VALU_DEP_1) | instskip(NEXT) | instid1(SALU_CYCLE_1)
	s_and_b32 s2, vcc_lo, s2
	s_and_saveexec_b32 s3, s2
	s_cbranch_execz .LBB67_3
; %bb.2:
	v_mad_u64_u32 v[5:6], null, v1, s18, 0
	s_mul_i32 s2, s15, s21
	s_mul_hi_u32 s7, s15, s20
	s_mul_i32 s10, s15, s20
	s_add_i32 s11, s7, s2
	s_delay_alu instid0(SALU_CYCLE_1) | instskip(NEXT) | instid1(VALU_DEP_1)
	s_lshl_b64 s[10:11], s[10:11], 3
	v_mad_u64_u32 v[7:8], null, v1, s19, v[6:7]
	s_add_u32 s2, s16, s10
	s_addc_u32 s7, s17, s11
	s_delay_alu instid0(VALU_DEP_1) | instskip(NEXT) | instid1(VALU_DEP_1)
	v_mov_b32_e32 v6, v7
	v_lshlrev_b64 v[5:6], 3, v[5:6]
	s_delay_alu instid0(VALU_DEP_1) | instskip(NEXT) | instid1(VALU_DEP_1)
	v_add_co_u32 v5, s2, s2, v5
	v_add_co_ci_u32_e64 v6, s2, s7, v6, s2
	s_delay_alu instid0(VALU_DEP_2) | instskip(NEXT) | instid1(VALU_DEP_1)
	v_add_co_u32 v5, s2, v5, v0
	v_add_co_ci_u32_e64 v6, s2, 0, v6, s2
	global_load_b64 v[5:6], v[5:6], off
	s_waitcnt vmcnt(0)
	ds_store_b64 v3, v[5:6]
.LBB67_3:
	s_or_b32 exec_lo, exec_lo, s3
	s_add_i32 s2, s6, -1
	s_delay_alu instid0(SALU_CYCLE_1) | instskip(NEXT) | instid1(SALU_CYCLE_1)
	s_ashr_i32 s3, s2, 31
	s_lshr_b32 s3, s3, 27
	s_delay_alu instid0(SALU_CYCLE_1) | instskip(NEXT) | instid1(SALU_CYCLE_1)
	s_add_i32 s2, s2, s3
	s_and_b32 s3, s2, 0xffffffe0
	s_ashr_i32 s2, s2, 5
	s_sub_i32 s3, s6, s3
	s_cmp_ge_i32 s14, s2
	s_cselect_b32 s2, s3, 32
	s_lshl_b32 s6, s14, 5
	v_cmp_gt_i32_e64 s2, s2, v4
	s_ashr_i32 s7, s6, 31
	s_delay_alu instid0(VALU_DEP_1) | instskip(NEXT) | instid1(SALU_CYCLE_1)
	s_and_b32 s2, vcc_lo, s2
	s_and_saveexec_b32 s3, s2
	s_cbranch_execz .LBB67_5
; %bb.4:
	v_mad_u64_u32 v[5:6], null, v1, s24, 0
	s_mul_i32 s11, s15, s27
	s_mul_hi_u32 s12, s15, s26
	s_mul_i32 s10, s15, s26
	s_add_i32 s11, s12, s11
	s_delay_alu instid0(SALU_CYCLE_1) | instskip(NEXT) | instid1(VALU_DEP_1)
	s_lshl_b64 s[10:11], s[10:11], 3
	v_mad_u64_u32 v[7:8], null, v1, s25, v[6:7]
	s_add_u32 s12, s22, s10
	s_addc_u32 s13, s23, s11
	s_lshl_b64 s[10:11], s[6:7], 3
	s_delay_alu instid0(SALU_CYCLE_1) | instskip(SKIP_1) | instid1(VALU_DEP_1)
	s_add_u32 s10, s12, s10
	s_addc_u32 s11, s13, s11
	v_dual_mov_b32 v6, v7 :: v_dual_add_nc_u32 v7, 0x2000, v3
	s_delay_alu instid0(VALU_DEP_1) | instskip(NEXT) | instid1(VALU_DEP_1)
	v_lshlrev_b64 v[5:6], 3, v[5:6]
	v_add_co_u32 v5, vcc_lo, s10, v5
	s_delay_alu instid0(VALU_DEP_2) | instskip(NEXT) | instid1(VALU_DEP_2)
	v_add_co_ci_u32_e32 v6, vcc_lo, s11, v6, vcc_lo
	v_add_co_u32 v5, vcc_lo, v5, v0
	s_delay_alu instid0(VALU_DEP_2)
	v_add_co_ci_u32_e32 v6, vcc_lo, 0, v6, vcc_lo
	global_load_b64 v[5:6], v[5:6], off
	s_waitcnt vmcnt(0)
	ds_store_b64 v7, v[5:6]
.LBB67_5:
	s_or_b32 exec_lo, exec_lo, s3
	v_cmp_eq_u32_e32 vcc_lo, v1, v4
	s_cmpk_eq_i32 s5, 0x84
	s_cselect_b32 s3, -1, 0
	s_delay_alu instid0(SALU_CYCLE_1) | instskip(NEXT) | instid1(SALU_CYCLE_1)
	s_and_b32 s5, vcc_lo, s3
	s_and_saveexec_b32 s3, s5
	s_cbranch_execz .LBB67_7
; %bb.6:
	v_dual_mov_b32 v5, 0 :: v_dual_mov_b32 v6, 0x3ff00000
	ds_store_b64 v3, v[5:6]
.LBB67_7:
	s_or_b32 exec_lo, exec_lo, s3
	s_cmpk_lg_i32 s4, 0x79
	s_cbranch_scc0 .LBB67_9
; %bb.8:
	v_cmp_lt_u32_e32 vcc_lo, v4, v1
	s_and_b32 s3, vcc_lo, exec_lo
	s_cbranch_execz .LBB67_10
	s_branch .LBB67_11
.LBB67_9:
	s_mov_b32 s3, 0
.LBB67_10:
	v_cmp_gt_u32_e32 vcc_lo, v4, v1
	s_and_not1_b32 s3, s3, exec_lo
	s_and_b32 s4, vcc_lo, exec_lo
	s_delay_alu instid0(SALU_CYCLE_1)
	s_or_b32 s3, s3, s4
.LBB67_11:
	s_delay_alu instid0(SALU_CYCLE_1)
	s_and_saveexec_b32 s4, s3
	s_cbranch_execz .LBB67_13
; %bb.12:
	v_mov_b32_e32 v4, 0
	s_delay_alu instid0(VALU_DEP_1)
	v_mov_b32_e32 v5, v4
	ds_store_b64 v3, v[4:5]
.LBB67_13:
	s_or_b32 exec_lo, exec_lo, s4
	s_waitcnt lgkmcnt(0)
	s_barrier
	buffer_gl0_inv
	s_and_saveexec_b32 s3, s2
	s_cbranch_execz .LBB67_15
; %bb.14:
	v_add_nc_u32_e32 v16, 0x2000, v0
	v_lshlrev_b32_e32 v17, 3, v2
	s_load_b64 s[0:1], s[0:1], 0x60
	ds_load_2addr_b64 v[2:5], v16 offset1:32
	ds_load_b128 v[6:9], v17
	ds_load_b128 v[10:13], v17 offset:16
	s_waitcnt lgkmcnt(0)
	s_mul_i32 s1, s15, s1
	s_mul_hi_u32 s2, s15, s0
	v_fma_f64 v[2:3], v[2:3], v[6:7], 0
	s_add_i32 s1, s2, s1
	s_mul_i32 s0, s15, s0
	s_delay_alu instid0(SALU_CYCLE_1) | instskip(NEXT) | instid1(SALU_CYCLE_1)
	s_lshl_b64 s[0:1], s[0:1], 3
	s_add_u32 s2, s28, s0
	s_addc_u32 s3, s29, s1
	s_lshl_b64 s[0:1], s[6:7], 3
	s_delay_alu instid0(SALU_CYCLE_1) | instskip(SKIP_1) | instid1(VALU_DEP_1)
	s_add_u32 s0, s2, s0
	s_addc_u32 s1, s3, s1
	v_fma_f64 v[6:7], v[4:5], v[8:9], v[2:3]
	ds_load_2addr_b64 v[2:5], v16 offset0:64 offset1:96
	s_waitcnt lgkmcnt(0)
	v_fma_f64 v[2:3], v[2:3], v[10:11], v[6:7]
	s_delay_alu instid0(VALU_DEP_1)
	v_fma_f64 v[14:15], v[4:5], v[12:13], v[2:3]
	ds_load_2addr_b64 v[2:5], v16 offset0:128 offset1:160
	ds_load_b128 v[6:9], v17 offset:32
	ds_load_b128 v[10:13], v17 offset:48
	s_waitcnt lgkmcnt(1)
	v_fma_f64 v[2:3], v[2:3], v[6:7], v[14:15]
	s_delay_alu instid0(VALU_DEP_1) | instskip(SKIP_4) | instid1(VALU_DEP_1)
	v_fma_f64 v[6:7], v[4:5], v[8:9], v[2:3]
	ds_load_2addr_b64 v[2:5], v16 offset0:192 offset1:224
	v_add_nc_u32_e32 v16, 0x2800, v0
	s_waitcnt lgkmcnt(0)
	v_fma_f64 v[2:3], v[2:3], v[10:11], v[6:7]
	v_fma_f64 v[14:15], v[4:5], v[12:13], v[2:3]
	ds_load_2addr_b64 v[2:5], v16 offset1:32
	ds_load_b128 v[6:9], v17 offset:64
	ds_load_b128 v[10:13], v17 offset:80
	s_waitcnt lgkmcnt(1)
	v_fma_f64 v[2:3], v[2:3], v[6:7], v[14:15]
	s_delay_alu instid0(VALU_DEP_1) | instskip(SKIP_3) | instid1(VALU_DEP_1)
	v_fma_f64 v[6:7], v[4:5], v[8:9], v[2:3]
	ds_load_2addr_b64 v[2:5], v16 offset0:64 offset1:96
	s_waitcnt lgkmcnt(0)
	v_fma_f64 v[2:3], v[2:3], v[10:11], v[6:7]
	v_fma_f64 v[14:15], v[4:5], v[12:13], v[2:3]
	ds_load_2addr_b64 v[2:5], v16 offset0:128 offset1:160
	ds_load_b128 v[6:9], v17 offset:96
	ds_load_b128 v[10:13], v17 offset:112
	s_waitcnt lgkmcnt(1)
	v_fma_f64 v[2:3], v[2:3], v[6:7], v[14:15]
	s_delay_alu instid0(VALU_DEP_1) | instskip(SKIP_4) | instid1(VALU_DEP_1)
	v_fma_f64 v[6:7], v[4:5], v[8:9], v[2:3]
	ds_load_2addr_b64 v[2:5], v16 offset0:192 offset1:224
	v_add_nc_u32_e32 v16, 0x3000, v0
	s_waitcnt lgkmcnt(0)
	v_fma_f64 v[2:3], v[2:3], v[10:11], v[6:7]
	v_fma_f64 v[14:15], v[4:5], v[12:13], v[2:3]
	ds_load_2addr_b64 v[2:5], v16 offset1:32
	ds_load_b128 v[6:9], v17 offset:128
	ds_load_b128 v[10:13], v17 offset:144
	s_waitcnt lgkmcnt(1)
	v_fma_f64 v[2:3], v[2:3], v[6:7], v[14:15]
	s_delay_alu instid0(VALU_DEP_1) | instskip(SKIP_3) | instid1(VALU_DEP_1)
	v_fma_f64 v[6:7], v[4:5], v[8:9], v[2:3]
	ds_load_2addr_b64 v[2:5], v16 offset0:64 offset1:96
	s_waitcnt lgkmcnt(0)
	v_fma_f64 v[2:3], v[2:3], v[10:11], v[6:7]
	;; [unrolled: 23-line block ×3, first 2 shown]
	v_fma_f64 v[14:15], v[4:5], v[12:13], v[2:3]
	ds_load_2addr_b64 v[2:5], v16 offset0:128 offset1:160
	ds_load_b128 v[6:9], v17 offset:224
	ds_load_b128 v[10:13], v17 offset:240
	s_waitcnt lgkmcnt(1)
	v_fma_f64 v[2:3], v[2:3], v[6:7], v[14:15]
	s_delay_alu instid0(VALU_DEP_1) | instskip(SKIP_3) | instid1(VALU_DEP_1)
	v_fma_f64 v[6:7], v[4:5], v[8:9], v[2:3]
	ds_load_2addr_b64 v[2:5], v16 offset0:192 offset1:224
	s_waitcnt lgkmcnt(0)
	v_fma_f64 v[2:3], v[2:3], v[10:11], v[6:7]
	v_fma_f64 v[2:3], v[4:5], v[12:13], v[2:3]
	v_mad_u64_u32 v[4:5], null, v1, s30, 0
	s_delay_alu instid0(VALU_DEP_1) | instskip(NEXT) | instid1(VALU_DEP_1)
	v_mad_u64_u32 v[6:7], null, v1, s31, v[5:6]
	v_mov_b32_e32 v5, v6
	s_delay_alu instid0(VALU_DEP_1) | instskip(NEXT) | instid1(VALU_DEP_1)
	v_lshlrev_b64 v[4:5], 3, v[4:5]
	v_add_co_u32 v1, vcc_lo, s0, v4
	s_delay_alu instid0(VALU_DEP_2) | instskip(NEXT) | instid1(VALU_DEP_2)
	v_add_co_ci_u32_e32 v4, vcc_lo, s1, v5, vcc_lo
	v_add_co_u32 v0, vcc_lo, v1, v0
	s_delay_alu instid0(VALU_DEP_2)
	v_add_co_ci_u32_e32 v1, vcc_lo, 0, v4, vcc_lo
	v_mul_f64 v[2:3], v[2:3], s[8:9]
	global_store_b64 v[0:1], v[2:3], off
.LBB67_15:
	s_nop 0
	s_sendmsg sendmsg(MSG_DEALLOC_VGPRS)
	s_endpgm
	.section	.rodata,"a",@progbits
	.p2align	6, 0x0
	.amdhsa_kernel _ZL23rocblas_trmm_rNx_kernelILi32EddKddEv13rocblas_fill_17rocblas_diagonal_iiT1_lPT2_llS5_llPT3_lli
		.amdhsa_group_segment_fixed_size 16384
		.amdhsa_private_segment_fixed_size 0
		.amdhsa_kernarg_size 108
		.amdhsa_user_sgpr_count 14
		.amdhsa_user_sgpr_dispatch_ptr 0
		.amdhsa_user_sgpr_queue_ptr 0
		.amdhsa_user_sgpr_kernarg_segment_ptr 1
		.amdhsa_user_sgpr_dispatch_id 0
		.amdhsa_user_sgpr_private_segment_size 0
		.amdhsa_wavefront_size32 1
		.amdhsa_uses_dynamic_stack 0
		.amdhsa_enable_private_segment 0
		.amdhsa_system_sgpr_workgroup_id_x 1
		.amdhsa_system_sgpr_workgroup_id_y 0
		.amdhsa_system_sgpr_workgroup_id_z 1
		.amdhsa_system_sgpr_workgroup_info 0
		.amdhsa_system_vgpr_workitem_id 1
		.amdhsa_next_free_vgpr 18
		.amdhsa_next_free_sgpr 32
		.amdhsa_reserve_vcc 1
		.amdhsa_float_round_mode_32 0
		.amdhsa_float_round_mode_16_64 0
		.amdhsa_float_denorm_mode_32 3
		.amdhsa_float_denorm_mode_16_64 3
		.amdhsa_dx10_clamp 1
		.amdhsa_ieee_mode 1
		.amdhsa_fp16_overflow 0
		.amdhsa_workgroup_processor_mode 1
		.amdhsa_memory_ordered 1
		.amdhsa_forward_progress 0
		.amdhsa_shared_vgpr_count 0
		.amdhsa_exception_fp_ieee_invalid_op 0
		.amdhsa_exception_fp_denorm_src 0
		.amdhsa_exception_fp_ieee_div_zero 0
		.amdhsa_exception_fp_ieee_overflow 0
		.amdhsa_exception_fp_ieee_underflow 0
		.amdhsa_exception_fp_ieee_inexact 0
		.amdhsa_exception_int_div_zero 0
	.end_amdhsa_kernel
	.section	.text._ZL23rocblas_trmm_rNx_kernelILi32EddKddEv13rocblas_fill_17rocblas_diagonal_iiT1_lPT2_llS5_llPT3_lli,"axG",@progbits,_ZL23rocblas_trmm_rNx_kernelILi32EddKddEv13rocblas_fill_17rocblas_diagonal_iiT1_lPT2_llS5_llPT3_lli,comdat
.Lfunc_end67:
	.size	_ZL23rocblas_trmm_rNx_kernelILi32EddKddEv13rocblas_fill_17rocblas_diagonal_iiT1_lPT2_llS5_llPT3_lli, .Lfunc_end67-_ZL23rocblas_trmm_rNx_kernelILi32EddKddEv13rocblas_fill_17rocblas_diagonal_iiT1_lPT2_llS5_llPT3_lli
                                        ; -- End function
	.section	.AMDGPU.csdata,"",@progbits
; Kernel info:
; codeLenInByte = 1456
; NumSgprs: 34
; NumVgprs: 18
; ScratchSize: 0
; MemoryBound: 0
; FloatMode: 240
; IeeeMode: 1
; LDSByteSize: 16384 bytes/workgroup (compile time only)
; SGPRBlocks: 4
; VGPRBlocks: 2
; NumSGPRsForWavesPerEU: 34
; NumVGPRsForWavesPerEU: 18
; Occupancy: 16
; WaveLimiterHint : 0
; COMPUTE_PGM_RSRC2:SCRATCH_EN: 0
; COMPUTE_PGM_RSRC2:USER_SGPR: 14
; COMPUTE_PGM_RSRC2:TRAP_HANDLER: 0
; COMPUTE_PGM_RSRC2:TGID_X_EN: 1
; COMPUTE_PGM_RSRC2:TGID_Y_EN: 0
; COMPUTE_PGM_RSRC2:TGID_Z_EN: 1
; COMPUTE_PGM_RSRC2:TIDIG_COMP_CNT: 1
	.section	.text._ZL23rocblas_trmm_rTx_kernelILi32ELb0EdPKdS0_dEv13rocblas_fill_17rocblas_diagonal_iiT2_lPT3_llS6_llPT4_lli,"axG",@progbits,_ZL23rocblas_trmm_rTx_kernelILi32ELb0EdPKdS0_dEv13rocblas_fill_17rocblas_diagonal_iiT2_lPT3_llS6_llPT4_lli,comdat
	.globl	_ZL23rocblas_trmm_rTx_kernelILi32ELb0EdPKdS0_dEv13rocblas_fill_17rocblas_diagonal_iiT2_lPT3_llS6_llPT4_lli ; -- Begin function _ZL23rocblas_trmm_rTx_kernelILi32ELb0EdPKdS0_dEv13rocblas_fill_17rocblas_diagonal_iiT2_lPT3_llS6_llPT4_lli
	.p2align	8
	.type	_ZL23rocblas_trmm_rTx_kernelILi32ELb0EdPKdS0_dEv13rocblas_fill_17rocblas_diagonal_iiT2_lPT3_llS6_llPT4_lli,@function
_ZL23rocblas_trmm_rTx_kernelILi32ELb0EdPKdS0_dEv13rocblas_fill_17rocblas_diagonal_iiT2_lPT3_llS6_llPT4_lli: ; @_ZL23rocblas_trmm_rTx_kernelILi32ELb0EdPKdS0_dEv13rocblas_fill_17rocblas_diagonal_iiT2_lPT3_llS6_llPT4_lli
; %bb.0:
	s_load_b512 s[16:31], s[0:1], 0x10
	s_waitcnt lgkmcnt(0)
	s_mul_i32 s2, s15, s19
	s_mul_hi_u32 s3, s15, s18
	s_delay_alu instid0(SALU_CYCLE_1) | instskip(SKIP_1) | instid1(SALU_CYCLE_1)
	s_add_i32 s3, s3, s2
	s_mul_i32 s2, s15, s18
	s_lshl_b64 s[2:3], s[2:3], 3
	s_delay_alu instid0(SALU_CYCLE_1) | instskip(SKIP_4) | instid1(VALU_DEP_1)
	s_add_u32 s2, s16, s2
	s_addc_u32 s3, s17, s3
	s_load_b64 s[8:9], s[2:3], 0x0
	s_waitcnt lgkmcnt(0)
	v_cmp_eq_f64_e64 s2, s[8:9], 0
	s_and_b32 vcc_lo, exec_lo, s2
	s_cbranch_vccnz .LBB68_15
; %bb.1:
	s_load_b128 s[4:7], s[0:1], 0x0
	v_bfe_u32 v1, v0, 10, 10
	s_mov_b32 s10, 0
	s_delay_alu instid0(SALU_CYCLE_1) | instskip(SKIP_1) | instid1(VALU_DEP_2)
	s_mov_b32 s11, s10
	v_dual_mov_b32 v4, s10 :: v_dual_and_b32 v3, 0x3ff, v0
	v_dual_mov_b32 v5, s11 :: v_dual_lshlrev_b32 v0, 5, v1
	s_delay_alu instid0(VALU_DEP_1)
	v_add_lshl_u32 v2, v0, v3, 3
	v_lshlrev_b32_e32 v0, 3, v3
	ds_store_2addr_stride64_b64 v2, v[4:5], v[4:5] offset1:16
	s_waitcnt lgkmcnt(0)
	v_cmp_gt_i32_e32 vcc_lo, s7, v1
	v_cmp_gt_i32_e64 s2, s7, v3
	s_delay_alu instid0(VALU_DEP_1) | instskip(NEXT) | instid1(SALU_CYCLE_1)
	s_and_b32 s2, vcc_lo, s2
	s_and_saveexec_b32 s3, s2
	s_cbranch_execz .LBB68_3
; %bb.2:
	v_mad_u64_u32 v[4:5], null, v1, s22, 0
	s_mul_i32 s2, s15, s25
	s_mul_hi_u32 s7, s15, s24
	s_mul_i32 s10, s15, s24
	s_add_i32 s11, s7, s2
	s_delay_alu instid0(SALU_CYCLE_1) | instskip(NEXT) | instid1(VALU_DEP_1)
	s_lshl_b64 s[10:11], s[10:11], 3
	v_mad_u64_u32 v[6:7], null, v1, s23, v[5:6]
	s_add_u32 s2, s20, s10
	s_addc_u32 s7, s21, s11
	s_delay_alu instid0(VALU_DEP_1) | instskip(NEXT) | instid1(VALU_DEP_1)
	v_mov_b32_e32 v5, v6
	v_lshlrev_b64 v[4:5], 3, v[4:5]
	s_delay_alu instid0(VALU_DEP_1) | instskip(NEXT) | instid1(VALU_DEP_1)
	v_add_co_u32 v4, s2, s2, v4
	v_add_co_ci_u32_e64 v5, s2, s7, v5, s2
	s_delay_alu instid0(VALU_DEP_2) | instskip(NEXT) | instid1(VALU_DEP_1)
	v_add_co_u32 v4, s2, v4, v0
	v_add_co_ci_u32_e64 v5, s2, 0, v5, s2
	global_load_b64 v[4:5], v[4:5], off
	s_waitcnt vmcnt(0)
	ds_store_b64 v2, v[4:5]
.LBB68_3:
	s_or_b32 exec_lo, exec_lo, s3
	s_add_i32 s2, s6, -1
	s_delay_alu instid0(SALU_CYCLE_1) | instskip(NEXT) | instid1(SALU_CYCLE_1)
	s_ashr_i32 s3, s2, 31
	s_lshr_b32 s3, s3, 27
	s_delay_alu instid0(SALU_CYCLE_1) | instskip(NEXT) | instid1(SALU_CYCLE_1)
	s_add_i32 s2, s2, s3
	s_and_b32 s3, s2, 0xffffffe0
	s_ashr_i32 s2, s2, 5
	s_sub_i32 s3, s6, s3
	s_cmp_ge_i32 s14, s2
	s_cselect_b32 s2, s3, 32
	s_lshl_b32 s6, s14, 5
	v_cmp_gt_i32_e64 s2, s2, v3
	s_ashr_i32 s7, s6, 31
	s_delay_alu instid0(VALU_DEP_1) | instskip(NEXT) | instid1(SALU_CYCLE_1)
	s_and_b32 s2, vcc_lo, s2
	s_and_saveexec_b32 s3, s2
	s_cbranch_execz .LBB68_5
; %bb.4:
	v_mad_u64_u32 v[4:5], null, v1, s28, 0
	s_mul_i32 s11, s15, s31
	s_mul_hi_u32 s12, s15, s30
	s_mul_i32 s10, s15, s30
	s_add_i32 s11, s12, s11
	s_delay_alu instid0(SALU_CYCLE_1) | instskip(NEXT) | instid1(VALU_DEP_1)
	s_lshl_b64 s[10:11], s[10:11], 3
	v_mad_u64_u32 v[6:7], null, v1, s29, v[5:6]
	s_add_u32 s12, s26, s10
	s_addc_u32 s13, s27, s11
	s_lshl_b64 s[10:11], s[6:7], 3
	s_delay_alu instid0(SALU_CYCLE_1) | instskip(SKIP_1) | instid1(VALU_DEP_1)
	s_add_u32 s10, s12, s10
	s_addc_u32 s11, s13, s11
	v_dual_mov_b32 v5, v6 :: v_dual_add_nc_u32 v6, 0x2000, v2
	s_delay_alu instid0(VALU_DEP_1) | instskip(NEXT) | instid1(VALU_DEP_1)
	v_lshlrev_b64 v[4:5], 3, v[4:5]
	v_add_co_u32 v4, vcc_lo, s10, v4
	s_delay_alu instid0(VALU_DEP_2) | instskip(NEXT) | instid1(VALU_DEP_2)
	v_add_co_ci_u32_e32 v5, vcc_lo, s11, v5, vcc_lo
	v_add_co_u32 v4, vcc_lo, v4, v0
	s_delay_alu instid0(VALU_DEP_2)
	v_add_co_ci_u32_e32 v5, vcc_lo, 0, v5, vcc_lo
	global_load_b64 v[4:5], v[4:5], off
	s_waitcnt vmcnt(0)
	ds_store_b64 v6, v[4:5]
.LBB68_5:
	s_or_b32 exec_lo, exec_lo, s3
	v_cmp_eq_u32_e32 vcc_lo, v1, v3
	s_cmpk_eq_i32 s5, 0x84
	s_cselect_b32 s3, -1, 0
	s_delay_alu instid0(SALU_CYCLE_1) | instskip(NEXT) | instid1(SALU_CYCLE_1)
	s_and_b32 s5, vcc_lo, s3
	s_and_saveexec_b32 s3, s5
	s_cbranch_execz .LBB68_7
; %bb.6:
	v_dual_mov_b32 v4, 0 :: v_dual_mov_b32 v5, 0x3ff00000
	ds_store_b64 v2, v[4:5]
.LBB68_7:
	s_or_b32 exec_lo, exec_lo, s3
	s_cmpk_lg_i32 s4, 0x79
	s_cbranch_scc0 .LBB68_9
; %bb.8:
	v_cmp_lt_u32_e32 vcc_lo, v3, v1
	s_and_b32 s3, vcc_lo, exec_lo
	s_cbranch_execz .LBB68_10
	s_branch .LBB68_11
.LBB68_9:
	s_mov_b32 s3, 0
.LBB68_10:
	v_cmp_gt_u32_e32 vcc_lo, v3, v1
	s_and_not1_b32 s3, s3, exec_lo
	s_and_b32 s4, vcc_lo, exec_lo
	s_delay_alu instid0(SALU_CYCLE_1)
	s_or_b32 s3, s3, s4
.LBB68_11:
	s_delay_alu instid0(SALU_CYCLE_1)
	s_and_saveexec_b32 s4, s3
	s_cbranch_execz .LBB68_13
; %bb.12:
	v_mov_b32_e32 v3, 0
	s_delay_alu instid0(VALU_DEP_1)
	v_mov_b32_e32 v4, v3
	ds_store_b64 v2, v[3:4]
.LBB68_13:
	s_or_b32 exec_lo, exec_lo, s4
	s_waitcnt lgkmcnt(0)
	s_barrier
	buffer_gl0_inv
	s_and_saveexec_b32 s3, s2
	s_cbranch_execz .LBB68_15
; %bb.14:
	v_add_nc_u32_e32 v12, 0x2000, v0
	v_lshlrev_b32_e32 v13, 3, v1
	ds_load_2addr_b64 v[2:5], v12 offset1:32
	ds_load_2addr_b64 v[6:9], v13 offset1:32
	v_add_nc_u32_e32 v14, 0x800, v13
	s_waitcnt lgkmcnt(0)
	v_fma_f64 v[2:3], v[2:3], v[6:7], 0
	s_delay_alu instid0(VALU_DEP_1) | instskip(SKIP_4) | instid1(VALU_DEP_1)
	v_fma_f64 v[10:11], v[4:5], v[8:9], v[2:3]
	ds_load_2addr_b64 v[2:5], v12 offset0:64 offset1:96
	ds_load_2addr_b64 v[6:9], v13 offset0:64 offset1:96
	s_waitcnt lgkmcnt(0)
	v_fma_f64 v[2:3], v[2:3], v[6:7], v[10:11]
	v_fma_f64 v[10:11], v[4:5], v[8:9], v[2:3]
	ds_load_2addr_b64 v[2:5], v12 offset0:128 offset1:160
	ds_load_2addr_b64 v[6:9], v13 offset0:128 offset1:160
	s_waitcnt lgkmcnt(0)
	v_fma_f64 v[2:3], v[2:3], v[6:7], v[10:11]
	s_delay_alu instid0(VALU_DEP_1)
	v_fma_f64 v[10:11], v[4:5], v[8:9], v[2:3]
	ds_load_2addr_b64 v[2:5], v12 offset0:192 offset1:224
	ds_load_2addr_b64 v[6:9], v13 offset0:192 offset1:224
	v_add_nc_u32_e32 v12, 0x2800, v0
	s_waitcnt lgkmcnt(0)
	v_fma_f64 v[2:3], v[2:3], v[6:7], v[10:11]
	s_delay_alu instid0(VALU_DEP_1) | instskip(SKIP_4) | instid1(VALU_DEP_1)
	v_fma_f64 v[10:11], v[4:5], v[8:9], v[2:3]
	ds_load_2addr_b64 v[2:5], v12 offset1:32
	ds_load_2addr_b64 v[6:9], v14 offset1:32
	s_waitcnt lgkmcnt(0)
	v_fma_f64 v[2:3], v[2:3], v[6:7], v[10:11]
	v_fma_f64 v[10:11], v[4:5], v[8:9], v[2:3]
	ds_load_2addr_b64 v[2:5], v12 offset0:64 offset1:96
	ds_load_2addr_b64 v[6:9], v14 offset0:64 offset1:96
	s_waitcnt lgkmcnt(0)
	v_fma_f64 v[2:3], v[2:3], v[6:7], v[10:11]
	s_delay_alu instid0(VALU_DEP_1) | instskip(SKIP_4) | instid1(VALU_DEP_1)
	v_fma_f64 v[10:11], v[4:5], v[8:9], v[2:3]
	ds_load_2addr_b64 v[2:5], v12 offset0:128 offset1:160
	ds_load_2addr_b64 v[6:9], v14 offset0:128 offset1:160
	s_waitcnt lgkmcnt(0)
	v_fma_f64 v[2:3], v[2:3], v[6:7], v[10:11]
	v_fma_f64 v[10:11], v[4:5], v[8:9], v[2:3]
	ds_load_2addr_b64 v[2:5], v12 offset0:192 offset1:224
	ds_load_2addr_b64 v[6:9], v14 offset0:192 offset1:224
	v_add_nc_u32_e32 v12, 0x3000, v0
	v_add_nc_u32_e32 v14, 0x1000, v13
	;; [unrolled: 1-line block ×3, first 2 shown]
	s_waitcnt lgkmcnt(0)
	v_fma_f64 v[2:3], v[2:3], v[6:7], v[10:11]
	s_delay_alu instid0(VALU_DEP_1) | instskip(SKIP_4) | instid1(VALU_DEP_1)
	v_fma_f64 v[10:11], v[4:5], v[8:9], v[2:3]
	ds_load_2addr_b64 v[2:5], v12 offset1:32
	ds_load_2addr_b64 v[6:9], v14 offset1:32
	s_waitcnt lgkmcnt(0)
	v_fma_f64 v[2:3], v[2:3], v[6:7], v[10:11]
	v_fma_f64 v[10:11], v[4:5], v[8:9], v[2:3]
	ds_load_2addr_b64 v[2:5], v12 offset0:64 offset1:96
	ds_load_2addr_b64 v[6:9], v14 offset0:64 offset1:96
	s_waitcnt lgkmcnt(0)
	v_fma_f64 v[2:3], v[2:3], v[6:7], v[10:11]
	s_delay_alu instid0(VALU_DEP_1) | instskip(SKIP_4) | instid1(VALU_DEP_1)
	v_fma_f64 v[10:11], v[4:5], v[8:9], v[2:3]
	ds_load_2addr_b64 v[2:5], v12 offset0:128 offset1:160
	ds_load_2addr_b64 v[6:9], v14 offset0:128 offset1:160
	s_waitcnt lgkmcnt(0)
	v_fma_f64 v[2:3], v[2:3], v[6:7], v[10:11]
	v_fma_f64 v[10:11], v[4:5], v[8:9], v[2:3]
	ds_load_2addr_b64 v[2:5], v12 offset0:192 offset1:224
	ds_load_2addr_b64 v[6:9], v14 offset0:192 offset1:224
	v_add_nc_u32_e32 v12, 0x3800, v0
	s_waitcnt lgkmcnt(0)
	v_fma_f64 v[2:3], v[2:3], v[6:7], v[10:11]
	s_delay_alu instid0(VALU_DEP_1) | instskip(SKIP_4) | instid1(VALU_DEP_1)
	v_fma_f64 v[10:11], v[4:5], v[8:9], v[2:3]
	ds_load_2addr_b64 v[2:5], v12 offset1:32
	ds_load_2addr_b64 v[6:9], v13 offset1:32
	s_waitcnt lgkmcnt(0)
	v_fma_f64 v[2:3], v[2:3], v[6:7], v[10:11]
	v_fma_f64 v[10:11], v[4:5], v[8:9], v[2:3]
	ds_load_2addr_b64 v[2:5], v12 offset0:64 offset1:96
	ds_load_2addr_b64 v[6:9], v13 offset0:64 offset1:96
	s_waitcnt lgkmcnt(0)
	v_fma_f64 v[2:3], v[2:3], v[6:7], v[10:11]
	s_delay_alu instid0(VALU_DEP_1) | instskip(SKIP_4) | instid1(VALU_DEP_1)
	v_fma_f64 v[10:11], v[4:5], v[8:9], v[2:3]
	ds_load_2addr_b64 v[2:5], v12 offset0:128 offset1:160
	ds_load_2addr_b64 v[6:9], v13 offset0:128 offset1:160
	s_waitcnt lgkmcnt(0)
	v_fma_f64 v[2:3], v[2:3], v[6:7], v[10:11]
	v_fma_f64 v[10:11], v[4:5], v[8:9], v[2:3]
	ds_load_2addr_b64 v[2:5], v12 offset0:192 offset1:224
	ds_load_2addr_b64 v[6:9], v13 offset0:192 offset1:224
	s_clause 0x1
	s_load_b128 s[16:19], s[0:1], 0x50
	s_load_b64 s[0:1], s[0:1], 0x60
	s_waitcnt lgkmcnt(0)
	s_mul_i32 s1, s15, s1
	s_mul_hi_u32 s2, s15, s0
	s_mul_i32 s0, s15, s0
	s_add_i32 s1, s2, s1
	s_delay_alu instid0(SALU_CYCLE_1) | instskip(NEXT) | instid1(SALU_CYCLE_1)
	s_lshl_b64 s[0:1], s[0:1], 3
	s_add_u32 s2, s16, s0
	s_addc_u32 s3, s17, s1
	s_lshl_b64 s[0:1], s[6:7], 3
	s_delay_alu instid0(SALU_CYCLE_1) | instskip(SKIP_2) | instid1(VALU_DEP_1)
	s_add_u32 s0, s2, s0
	s_addc_u32 s1, s3, s1
	v_fma_f64 v[2:3], v[2:3], v[6:7], v[10:11]
	v_fma_f64 v[2:3], v[4:5], v[8:9], v[2:3]
	v_mad_u64_u32 v[4:5], null, v1, s18, 0
	s_delay_alu instid0(VALU_DEP_1) | instskip(NEXT) | instid1(VALU_DEP_1)
	v_mad_u64_u32 v[6:7], null, v1, s19, v[5:6]
	v_mov_b32_e32 v5, v6
	s_delay_alu instid0(VALU_DEP_1) | instskip(NEXT) | instid1(VALU_DEP_1)
	v_lshlrev_b64 v[4:5], 3, v[4:5]
	v_add_co_u32 v1, vcc_lo, s0, v4
	s_delay_alu instid0(VALU_DEP_2) | instskip(NEXT) | instid1(VALU_DEP_2)
	v_add_co_ci_u32_e32 v4, vcc_lo, s1, v5, vcc_lo
	v_add_co_u32 v0, vcc_lo, v1, v0
	s_delay_alu instid0(VALU_DEP_2)
	v_add_co_ci_u32_e32 v1, vcc_lo, 0, v4, vcc_lo
	v_mul_f64 v[2:3], s[8:9], v[2:3]
	global_store_b64 v[0:1], v[2:3], off
.LBB68_15:
	s_nop 0
	s_sendmsg sendmsg(MSG_DEALLOC_VGPRS)
	s_endpgm
	.section	.rodata,"a",@progbits
	.p2align	6, 0x0
	.amdhsa_kernel _ZL23rocblas_trmm_rTx_kernelILi32ELb0EdPKdS0_dEv13rocblas_fill_17rocblas_diagonal_iiT2_lPT3_llS6_llPT4_lli
		.amdhsa_group_segment_fixed_size 16384
		.amdhsa_private_segment_fixed_size 0
		.amdhsa_kernarg_size 108
		.amdhsa_user_sgpr_count 14
		.amdhsa_user_sgpr_dispatch_ptr 0
		.amdhsa_user_sgpr_queue_ptr 0
		.amdhsa_user_sgpr_kernarg_segment_ptr 1
		.amdhsa_user_sgpr_dispatch_id 0
		.amdhsa_user_sgpr_private_segment_size 0
		.amdhsa_wavefront_size32 1
		.amdhsa_uses_dynamic_stack 0
		.amdhsa_enable_private_segment 0
		.amdhsa_system_sgpr_workgroup_id_x 1
		.amdhsa_system_sgpr_workgroup_id_y 0
		.amdhsa_system_sgpr_workgroup_id_z 1
		.amdhsa_system_sgpr_workgroup_info 0
		.amdhsa_system_vgpr_workitem_id 1
		.amdhsa_next_free_vgpr 15
		.amdhsa_next_free_sgpr 32
		.amdhsa_reserve_vcc 1
		.amdhsa_float_round_mode_32 0
		.amdhsa_float_round_mode_16_64 0
		.amdhsa_float_denorm_mode_32 3
		.amdhsa_float_denorm_mode_16_64 3
		.amdhsa_dx10_clamp 1
		.amdhsa_ieee_mode 1
		.amdhsa_fp16_overflow 0
		.amdhsa_workgroup_processor_mode 1
		.amdhsa_memory_ordered 1
		.amdhsa_forward_progress 0
		.amdhsa_shared_vgpr_count 0
		.amdhsa_exception_fp_ieee_invalid_op 0
		.amdhsa_exception_fp_denorm_src 0
		.amdhsa_exception_fp_ieee_div_zero 0
		.amdhsa_exception_fp_ieee_overflow 0
		.amdhsa_exception_fp_ieee_underflow 0
		.amdhsa_exception_fp_ieee_inexact 0
		.amdhsa_exception_int_div_zero 0
	.end_amdhsa_kernel
	.section	.text._ZL23rocblas_trmm_rTx_kernelILi32ELb0EdPKdS0_dEv13rocblas_fill_17rocblas_diagonal_iiT2_lPT3_llS6_llPT4_lli,"axG",@progbits,_ZL23rocblas_trmm_rTx_kernelILi32ELb0EdPKdS0_dEv13rocblas_fill_17rocblas_diagonal_iiT2_lPT3_llS6_llPT4_lli,comdat
.Lfunc_end68:
	.size	_ZL23rocblas_trmm_rTx_kernelILi32ELb0EdPKdS0_dEv13rocblas_fill_17rocblas_diagonal_iiT2_lPT3_llS6_llPT4_lli, .Lfunc_end68-_ZL23rocblas_trmm_rTx_kernelILi32ELb0EdPKdS0_dEv13rocblas_fill_17rocblas_diagonal_iiT2_lPT3_llS6_llPT4_lli
                                        ; -- End function
	.section	.AMDGPU.csdata,"",@progbits
; Kernel info:
; codeLenInByte = 1524
; NumSgprs: 34
; NumVgprs: 15
; ScratchSize: 0
; MemoryBound: 0
; FloatMode: 240
; IeeeMode: 1
; LDSByteSize: 16384 bytes/workgroup (compile time only)
; SGPRBlocks: 4
; VGPRBlocks: 1
; NumSGPRsForWavesPerEU: 34
; NumVGPRsForWavesPerEU: 15
; Occupancy: 16
; WaveLimiterHint : 0
; COMPUTE_PGM_RSRC2:SCRATCH_EN: 0
; COMPUTE_PGM_RSRC2:USER_SGPR: 14
; COMPUTE_PGM_RSRC2:TRAP_HANDLER: 0
; COMPUTE_PGM_RSRC2:TGID_X_EN: 1
; COMPUTE_PGM_RSRC2:TGID_Y_EN: 0
; COMPUTE_PGM_RSRC2:TGID_Z_EN: 1
; COMPUTE_PGM_RSRC2:TIDIG_COMP_CNT: 1
	.section	.text._ZL23rocblas_trmm_rTx_kernelILi32ELb0EddKddEv13rocblas_fill_17rocblas_diagonal_iiT2_lPT3_llS5_llPT4_lli,"axG",@progbits,_ZL23rocblas_trmm_rTx_kernelILi32ELb0EddKddEv13rocblas_fill_17rocblas_diagonal_iiT2_lPT3_llS5_llPT4_lli,comdat
	.globl	_ZL23rocblas_trmm_rTx_kernelILi32ELb0EddKddEv13rocblas_fill_17rocblas_diagonal_iiT2_lPT3_llS5_llPT4_lli ; -- Begin function _ZL23rocblas_trmm_rTx_kernelILi32ELb0EddKddEv13rocblas_fill_17rocblas_diagonal_iiT2_lPT3_llS5_llPT4_lli
	.p2align	8
	.type	_ZL23rocblas_trmm_rTx_kernelILi32ELb0EddKddEv13rocblas_fill_17rocblas_diagonal_iiT2_lPT3_llS5_llPT4_lli,@function
_ZL23rocblas_trmm_rTx_kernelILi32ELb0EddKddEv13rocblas_fill_17rocblas_diagonal_iiT2_lPT3_llS5_llPT4_lli: ; @_ZL23rocblas_trmm_rTx_kernelILi32ELb0EddKddEv13rocblas_fill_17rocblas_diagonal_iiT2_lPT3_llS5_llPT4_lli
; %bb.0:
	s_load_b64 s[8:9], s[0:1], 0x10
	s_waitcnt lgkmcnt(0)
	v_cmp_eq_f64_e64 s2, s[8:9], 0
	s_delay_alu instid0(VALU_DEP_1)
	s_and_b32 vcc_lo, exec_lo, s2
	s_cbranch_vccnz .LBB69_15
; %bb.1:
	s_clause 0x1
	s_load_b128 s[4:7], s[0:1], 0x0
	s_load_b512 s[16:31], s[0:1], 0x20
	v_bfe_u32 v1, v0, 10, 10
	s_mov_b32 s10, 0
	s_delay_alu instid0(SALU_CYCLE_1) | instskip(SKIP_1) | instid1(VALU_DEP_2)
	s_mov_b32 s11, s10
	v_dual_mov_b32 v4, s10 :: v_dual_and_b32 v3, 0x3ff, v0
	v_dual_mov_b32 v5, s11 :: v_dual_lshlrev_b32 v0, 5, v1
	s_delay_alu instid0(VALU_DEP_1)
	v_add_lshl_u32 v2, v0, v3, 3
	v_lshlrev_b32_e32 v0, 3, v3
	ds_store_2addr_stride64_b64 v2, v[4:5], v[4:5] offset1:16
	s_waitcnt lgkmcnt(0)
	v_cmp_gt_i32_e32 vcc_lo, s7, v1
	v_cmp_gt_i32_e64 s2, s7, v3
	s_delay_alu instid0(VALU_DEP_1) | instskip(NEXT) | instid1(SALU_CYCLE_1)
	s_and_b32 s2, vcc_lo, s2
	s_and_saveexec_b32 s3, s2
	s_cbranch_execz .LBB69_3
; %bb.2:
	v_mad_u64_u32 v[4:5], null, v1, s18, 0
	s_mul_i32 s2, s15, s21
	s_mul_hi_u32 s7, s15, s20
	s_mul_i32 s10, s15, s20
	s_add_i32 s11, s7, s2
	s_delay_alu instid0(SALU_CYCLE_1) | instskip(NEXT) | instid1(VALU_DEP_1)
	s_lshl_b64 s[10:11], s[10:11], 3
	v_mad_u64_u32 v[6:7], null, v1, s19, v[5:6]
	s_add_u32 s2, s16, s10
	s_addc_u32 s7, s17, s11
	s_delay_alu instid0(VALU_DEP_1) | instskip(NEXT) | instid1(VALU_DEP_1)
	v_mov_b32_e32 v5, v6
	v_lshlrev_b64 v[4:5], 3, v[4:5]
	s_delay_alu instid0(VALU_DEP_1) | instskip(NEXT) | instid1(VALU_DEP_1)
	v_add_co_u32 v4, s2, s2, v4
	v_add_co_ci_u32_e64 v5, s2, s7, v5, s2
	s_delay_alu instid0(VALU_DEP_2) | instskip(NEXT) | instid1(VALU_DEP_1)
	v_add_co_u32 v4, s2, v4, v0
	v_add_co_ci_u32_e64 v5, s2, 0, v5, s2
	global_load_b64 v[4:5], v[4:5], off
	s_waitcnt vmcnt(0)
	ds_store_b64 v2, v[4:5]
.LBB69_3:
	s_or_b32 exec_lo, exec_lo, s3
	s_add_i32 s2, s6, -1
	s_delay_alu instid0(SALU_CYCLE_1) | instskip(NEXT) | instid1(SALU_CYCLE_1)
	s_ashr_i32 s3, s2, 31
	s_lshr_b32 s3, s3, 27
	s_delay_alu instid0(SALU_CYCLE_1) | instskip(NEXT) | instid1(SALU_CYCLE_1)
	s_add_i32 s2, s2, s3
	s_and_b32 s3, s2, 0xffffffe0
	s_ashr_i32 s2, s2, 5
	s_sub_i32 s3, s6, s3
	s_cmp_ge_i32 s14, s2
	s_cselect_b32 s2, s3, 32
	s_lshl_b32 s6, s14, 5
	v_cmp_gt_i32_e64 s2, s2, v3
	s_ashr_i32 s7, s6, 31
	s_delay_alu instid0(VALU_DEP_1) | instskip(NEXT) | instid1(SALU_CYCLE_1)
	s_and_b32 s2, vcc_lo, s2
	s_and_saveexec_b32 s3, s2
	s_cbranch_execz .LBB69_5
; %bb.4:
	v_mad_u64_u32 v[4:5], null, v1, s24, 0
	s_mul_i32 s11, s15, s27
	s_mul_hi_u32 s12, s15, s26
	s_mul_i32 s10, s15, s26
	s_add_i32 s11, s12, s11
	s_delay_alu instid0(SALU_CYCLE_1) | instskip(NEXT) | instid1(VALU_DEP_1)
	s_lshl_b64 s[10:11], s[10:11], 3
	v_mad_u64_u32 v[6:7], null, v1, s25, v[5:6]
	s_add_u32 s12, s22, s10
	s_addc_u32 s13, s23, s11
	s_lshl_b64 s[10:11], s[6:7], 3
	s_delay_alu instid0(SALU_CYCLE_1) | instskip(SKIP_1) | instid1(VALU_DEP_1)
	s_add_u32 s10, s12, s10
	s_addc_u32 s11, s13, s11
	v_dual_mov_b32 v5, v6 :: v_dual_add_nc_u32 v6, 0x2000, v2
	s_delay_alu instid0(VALU_DEP_1) | instskip(NEXT) | instid1(VALU_DEP_1)
	v_lshlrev_b64 v[4:5], 3, v[4:5]
	v_add_co_u32 v4, vcc_lo, s10, v4
	s_delay_alu instid0(VALU_DEP_2) | instskip(NEXT) | instid1(VALU_DEP_2)
	v_add_co_ci_u32_e32 v5, vcc_lo, s11, v5, vcc_lo
	v_add_co_u32 v4, vcc_lo, v4, v0
	s_delay_alu instid0(VALU_DEP_2)
	v_add_co_ci_u32_e32 v5, vcc_lo, 0, v5, vcc_lo
	global_load_b64 v[4:5], v[4:5], off
	s_waitcnt vmcnt(0)
	ds_store_b64 v6, v[4:5]
.LBB69_5:
	s_or_b32 exec_lo, exec_lo, s3
	v_cmp_eq_u32_e32 vcc_lo, v1, v3
	s_cmpk_eq_i32 s5, 0x84
	s_cselect_b32 s3, -1, 0
	s_delay_alu instid0(SALU_CYCLE_1) | instskip(NEXT) | instid1(SALU_CYCLE_1)
	s_and_b32 s5, vcc_lo, s3
	s_and_saveexec_b32 s3, s5
	s_cbranch_execz .LBB69_7
; %bb.6:
	v_dual_mov_b32 v4, 0 :: v_dual_mov_b32 v5, 0x3ff00000
	ds_store_b64 v2, v[4:5]
.LBB69_7:
	s_or_b32 exec_lo, exec_lo, s3
	s_cmpk_lg_i32 s4, 0x79
	s_cbranch_scc0 .LBB69_9
; %bb.8:
	v_cmp_lt_u32_e32 vcc_lo, v3, v1
	s_and_b32 s3, vcc_lo, exec_lo
	s_cbranch_execz .LBB69_10
	s_branch .LBB69_11
.LBB69_9:
	s_mov_b32 s3, 0
.LBB69_10:
	v_cmp_gt_u32_e32 vcc_lo, v3, v1
	s_and_not1_b32 s3, s3, exec_lo
	s_and_b32 s4, vcc_lo, exec_lo
	s_delay_alu instid0(SALU_CYCLE_1)
	s_or_b32 s3, s3, s4
.LBB69_11:
	s_delay_alu instid0(SALU_CYCLE_1)
	s_and_saveexec_b32 s4, s3
	s_cbranch_execz .LBB69_13
; %bb.12:
	v_mov_b32_e32 v3, 0
	s_delay_alu instid0(VALU_DEP_1)
	v_mov_b32_e32 v4, v3
	ds_store_b64 v2, v[3:4]
.LBB69_13:
	s_or_b32 exec_lo, exec_lo, s4
	s_waitcnt lgkmcnt(0)
	s_barrier
	buffer_gl0_inv
	s_and_saveexec_b32 s3, s2
	s_cbranch_execz .LBB69_15
; %bb.14:
	v_add_nc_u32_e32 v12, 0x2000, v0
	v_lshlrev_b32_e32 v13, 3, v1
	s_load_b64 s[0:1], s[0:1], 0x60
	ds_load_2addr_b64 v[2:5], v12 offset1:32
	ds_load_2addr_b64 v[6:9], v13 offset1:32
	v_add_nc_u32_e32 v14, 0x800, v13
	s_waitcnt lgkmcnt(0)
	s_mul_i32 s1, s15, s1
	s_mul_hi_u32 s2, s15, s0
	s_mul_i32 s0, s15, s0
	v_fma_f64 v[2:3], v[2:3], v[6:7], 0
	s_add_i32 s1, s2, s1
	s_delay_alu instid0(SALU_CYCLE_1) | instskip(NEXT) | instid1(SALU_CYCLE_1)
	s_lshl_b64 s[0:1], s[0:1], 3
	s_add_u32 s2, s28, s0
	s_addc_u32 s3, s29, s1
	s_lshl_b64 s[0:1], s[6:7], 3
	s_delay_alu instid0(SALU_CYCLE_1) | instskip(SKIP_1) | instid1(VALU_DEP_1)
	s_add_u32 s0, s2, s0
	s_addc_u32 s1, s3, s1
	v_fma_f64 v[10:11], v[4:5], v[8:9], v[2:3]
	ds_load_2addr_b64 v[2:5], v12 offset0:64 offset1:96
	ds_load_2addr_b64 v[6:9], v13 offset0:64 offset1:96
	s_waitcnt lgkmcnt(0)
	v_fma_f64 v[2:3], v[2:3], v[6:7], v[10:11]
	s_delay_alu instid0(VALU_DEP_1) | instskip(SKIP_4) | instid1(VALU_DEP_1)
	v_fma_f64 v[10:11], v[4:5], v[8:9], v[2:3]
	ds_load_2addr_b64 v[2:5], v12 offset0:128 offset1:160
	ds_load_2addr_b64 v[6:9], v13 offset0:128 offset1:160
	s_waitcnt lgkmcnt(0)
	v_fma_f64 v[2:3], v[2:3], v[6:7], v[10:11]
	v_fma_f64 v[10:11], v[4:5], v[8:9], v[2:3]
	ds_load_2addr_b64 v[2:5], v12 offset0:192 offset1:224
	ds_load_2addr_b64 v[6:9], v13 offset0:192 offset1:224
	v_add_nc_u32_e32 v12, 0x2800, v0
	s_waitcnt lgkmcnt(0)
	v_fma_f64 v[2:3], v[2:3], v[6:7], v[10:11]
	s_delay_alu instid0(VALU_DEP_1) | instskip(SKIP_4) | instid1(VALU_DEP_1)
	v_fma_f64 v[10:11], v[4:5], v[8:9], v[2:3]
	ds_load_2addr_b64 v[2:5], v12 offset1:32
	ds_load_2addr_b64 v[6:9], v14 offset1:32
	s_waitcnt lgkmcnt(0)
	v_fma_f64 v[2:3], v[2:3], v[6:7], v[10:11]
	v_fma_f64 v[10:11], v[4:5], v[8:9], v[2:3]
	ds_load_2addr_b64 v[2:5], v12 offset0:64 offset1:96
	ds_load_2addr_b64 v[6:9], v14 offset0:64 offset1:96
	s_waitcnt lgkmcnt(0)
	v_fma_f64 v[2:3], v[2:3], v[6:7], v[10:11]
	s_delay_alu instid0(VALU_DEP_1) | instskip(SKIP_4) | instid1(VALU_DEP_1)
	v_fma_f64 v[10:11], v[4:5], v[8:9], v[2:3]
	ds_load_2addr_b64 v[2:5], v12 offset0:128 offset1:160
	ds_load_2addr_b64 v[6:9], v14 offset0:128 offset1:160
	s_waitcnt lgkmcnt(0)
	v_fma_f64 v[2:3], v[2:3], v[6:7], v[10:11]
	v_fma_f64 v[10:11], v[4:5], v[8:9], v[2:3]
	ds_load_2addr_b64 v[2:5], v12 offset0:192 offset1:224
	ds_load_2addr_b64 v[6:9], v14 offset0:192 offset1:224
	v_add_nc_u32_e32 v12, 0x3000, v0
	v_add_nc_u32_e32 v14, 0x1000, v13
	;; [unrolled: 1-line block ×3, first 2 shown]
	s_waitcnt lgkmcnt(0)
	v_fma_f64 v[2:3], v[2:3], v[6:7], v[10:11]
	s_delay_alu instid0(VALU_DEP_1) | instskip(SKIP_4) | instid1(VALU_DEP_1)
	v_fma_f64 v[10:11], v[4:5], v[8:9], v[2:3]
	ds_load_2addr_b64 v[2:5], v12 offset1:32
	ds_load_2addr_b64 v[6:9], v14 offset1:32
	s_waitcnt lgkmcnt(0)
	v_fma_f64 v[2:3], v[2:3], v[6:7], v[10:11]
	v_fma_f64 v[10:11], v[4:5], v[8:9], v[2:3]
	ds_load_2addr_b64 v[2:5], v12 offset0:64 offset1:96
	ds_load_2addr_b64 v[6:9], v14 offset0:64 offset1:96
	s_waitcnt lgkmcnt(0)
	v_fma_f64 v[2:3], v[2:3], v[6:7], v[10:11]
	s_delay_alu instid0(VALU_DEP_1) | instskip(SKIP_4) | instid1(VALU_DEP_1)
	v_fma_f64 v[10:11], v[4:5], v[8:9], v[2:3]
	ds_load_2addr_b64 v[2:5], v12 offset0:128 offset1:160
	ds_load_2addr_b64 v[6:9], v14 offset0:128 offset1:160
	s_waitcnt lgkmcnt(0)
	v_fma_f64 v[2:3], v[2:3], v[6:7], v[10:11]
	v_fma_f64 v[10:11], v[4:5], v[8:9], v[2:3]
	ds_load_2addr_b64 v[2:5], v12 offset0:192 offset1:224
	ds_load_2addr_b64 v[6:9], v14 offset0:192 offset1:224
	v_add_nc_u32_e32 v12, 0x3800, v0
	s_waitcnt lgkmcnt(0)
	v_fma_f64 v[2:3], v[2:3], v[6:7], v[10:11]
	s_delay_alu instid0(VALU_DEP_1) | instskip(SKIP_4) | instid1(VALU_DEP_1)
	v_fma_f64 v[10:11], v[4:5], v[8:9], v[2:3]
	ds_load_2addr_b64 v[2:5], v12 offset1:32
	ds_load_2addr_b64 v[6:9], v13 offset1:32
	s_waitcnt lgkmcnt(0)
	v_fma_f64 v[2:3], v[2:3], v[6:7], v[10:11]
	v_fma_f64 v[10:11], v[4:5], v[8:9], v[2:3]
	ds_load_2addr_b64 v[2:5], v12 offset0:64 offset1:96
	ds_load_2addr_b64 v[6:9], v13 offset0:64 offset1:96
	s_waitcnt lgkmcnt(0)
	v_fma_f64 v[2:3], v[2:3], v[6:7], v[10:11]
	s_delay_alu instid0(VALU_DEP_1) | instskip(SKIP_4) | instid1(VALU_DEP_1)
	v_fma_f64 v[10:11], v[4:5], v[8:9], v[2:3]
	ds_load_2addr_b64 v[2:5], v12 offset0:128 offset1:160
	ds_load_2addr_b64 v[6:9], v13 offset0:128 offset1:160
	s_waitcnt lgkmcnt(0)
	v_fma_f64 v[2:3], v[2:3], v[6:7], v[10:11]
	v_fma_f64 v[10:11], v[4:5], v[8:9], v[2:3]
	ds_load_2addr_b64 v[2:5], v12 offset0:192 offset1:224
	ds_load_2addr_b64 v[6:9], v13 offset0:192 offset1:224
	s_waitcnt lgkmcnt(0)
	v_fma_f64 v[2:3], v[2:3], v[6:7], v[10:11]
	s_delay_alu instid0(VALU_DEP_1) | instskip(SKIP_1) | instid1(VALU_DEP_1)
	v_fma_f64 v[2:3], v[4:5], v[8:9], v[2:3]
	v_mad_u64_u32 v[4:5], null, v1, s30, 0
	v_mad_u64_u32 v[6:7], null, v1, s31, v[5:6]
	s_delay_alu instid0(VALU_DEP_1) | instskip(NEXT) | instid1(VALU_DEP_1)
	v_mov_b32_e32 v5, v6
	v_lshlrev_b64 v[4:5], 3, v[4:5]
	s_delay_alu instid0(VALU_DEP_1) | instskip(NEXT) | instid1(VALU_DEP_2)
	v_add_co_u32 v1, vcc_lo, s0, v4
	v_add_co_ci_u32_e32 v4, vcc_lo, s1, v5, vcc_lo
	s_delay_alu instid0(VALU_DEP_2) | instskip(NEXT) | instid1(VALU_DEP_2)
	v_add_co_u32 v0, vcc_lo, v1, v0
	v_add_co_ci_u32_e32 v1, vcc_lo, 0, v4, vcc_lo
	v_mul_f64 v[2:3], v[2:3], s[8:9]
	global_store_b64 v[0:1], v[2:3], off
.LBB69_15:
	s_nop 0
	s_sendmsg sendmsg(MSG_DEALLOC_VGPRS)
	s_endpgm
	.section	.rodata,"a",@progbits
	.p2align	6, 0x0
	.amdhsa_kernel _ZL23rocblas_trmm_rTx_kernelILi32ELb0EddKddEv13rocblas_fill_17rocblas_diagonal_iiT2_lPT3_llS5_llPT4_lli
		.amdhsa_group_segment_fixed_size 16384
		.amdhsa_private_segment_fixed_size 0
		.amdhsa_kernarg_size 108
		.amdhsa_user_sgpr_count 14
		.amdhsa_user_sgpr_dispatch_ptr 0
		.amdhsa_user_sgpr_queue_ptr 0
		.amdhsa_user_sgpr_kernarg_segment_ptr 1
		.amdhsa_user_sgpr_dispatch_id 0
		.amdhsa_user_sgpr_private_segment_size 0
		.amdhsa_wavefront_size32 1
		.amdhsa_uses_dynamic_stack 0
		.amdhsa_enable_private_segment 0
		.amdhsa_system_sgpr_workgroup_id_x 1
		.amdhsa_system_sgpr_workgroup_id_y 0
		.amdhsa_system_sgpr_workgroup_id_z 1
		.amdhsa_system_sgpr_workgroup_info 0
		.amdhsa_system_vgpr_workitem_id 1
		.amdhsa_next_free_vgpr 15
		.amdhsa_next_free_sgpr 32
		.amdhsa_reserve_vcc 1
		.amdhsa_float_round_mode_32 0
		.amdhsa_float_round_mode_16_64 0
		.amdhsa_float_denorm_mode_32 3
		.amdhsa_float_denorm_mode_16_64 3
		.amdhsa_dx10_clamp 1
		.amdhsa_ieee_mode 1
		.amdhsa_fp16_overflow 0
		.amdhsa_workgroup_processor_mode 1
		.amdhsa_memory_ordered 1
		.amdhsa_forward_progress 0
		.amdhsa_shared_vgpr_count 0
		.amdhsa_exception_fp_ieee_invalid_op 0
		.amdhsa_exception_fp_denorm_src 0
		.amdhsa_exception_fp_ieee_div_zero 0
		.amdhsa_exception_fp_ieee_overflow 0
		.amdhsa_exception_fp_ieee_underflow 0
		.amdhsa_exception_fp_ieee_inexact 0
		.amdhsa_exception_int_div_zero 0
	.end_amdhsa_kernel
	.section	.text._ZL23rocblas_trmm_rTx_kernelILi32ELb0EddKddEv13rocblas_fill_17rocblas_diagonal_iiT2_lPT3_llS5_llPT4_lli,"axG",@progbits,_ZL23rocblas_trmm_rTx_kernelILi32ELb0EddKddEv13rocblas_fill_17rocblas_diagonal_iiT2_lPT3_llS5_llPT4_lli,comdat
.Lfunc_end69:
	.size	_ZL23rocblas_trmm_rTx_kernelILi32ELb0EddKddEv13rocblas_fill_17rocblas_diagonal_iiT2_lPT3_llS5_llPT4_lli, .Lfunc_end69-_ZL23rocblas_trmm_rTx_kernelILi32ELb0EddKddEv13rocblas_fill_17rocblas_diagonal_iiT2_lPT3_llS5_llPT4_lli
                                        ; -- End function
	.section	.AMDGPU.csdata,"",@progbits
; Kernel info:
; codeLenInByte = 1476
; NumSgprs: 34
; NumVgprs: 15
; ScratchSize: 0
; MemoryBound: 0
; FloatMode: 240
; IeeeMode: 1
; LDSByteSize: 16384 bytes/workgroup (compile time only)
; SGPRBlocks: 4
; VGPRBlocks: 1
; NumSGPRsForWavesPerEU: 34
; NumVGPRsForWavesPerEU: 15
; Occupancy: 16
; WaveLimiterHint : 0
; COMPUTE_PGM_RSRC2:SCRATCH_EN: 0
; COMPUTE_PGM_RSRC2:USER_SGPR: 14
; COMPUTE_PGM_RSRC2:TRAP_HANDLER: 0
; COMPUTE_PGM_RSRC2:TGID_X_EN: 1
; COMPUTE_PGM_RSRC2:TGID_Y_EN: 0
; COMPUTE_PGM_RSRC2:TGID_Z_EN: 1
; COMPUTE_PGM_RSRC2:TIDIG_COMP_CNT: 1
	.section	.text._ZL23rocblas_trmm_rTx_kernelILi32ELb1EdPKdS0_dEv13rocblas_fill_17rocblas_diagonal_iiT2_lPT3_llS6_llPT4_lli,"axG",@progbits,_ZL23rocblas_trmm_rTx_kernelILi32ELb1EdPKdS0_dEv13rocblas_fill_17rocblas_diagonal_iiT2_lPT3_llS6_llPT4_lli,comdat
	.globl	_ZL23rocblas_trmm_rTx_kernelILi32ELb1EdPKdS0_dEv13rocblas_fill_17rocblas_diagonal_iiT2_lPT3_llS6_llPT4_lli ; -- Begin function _ZL23rocblas_trmm_rTx_kernelILi32ELb1EdPKdS0_dEv13rocblas_fill_17rocblas_diagonal_iiT2_lPT3_llS6_llPT4_lli
	.p2align	8
	.type	_ZL23rocblas_trmm_rTx_kernelILi32ELb1EdPKdS0_dEv13rocblas_fill_17rocblas_diagonal_iiT2_lPT3_llS6_llPT4_lli,@function
_ZL23rocblas_trmm_rTx_kernelILi32ELb1EdPKdS0_dEv13rocblas_fill_17rocblas_diagonal_iiT2_lPT3_llS6_llPT4_lli: ; @_ZL23rocblas_trmm_rTx_kernelILi32ELb1EdPKdS0_dEv13rocblas_fill_17rocblas_diagonal_iiT2_lPT3_llS6_llPT4_lli
; %bb.0:
	s_load_b512 s[16:31], s[0:1], 0x10
	s_waitcnt lgkmcnt(0)
	s_mul_i32 s2, s15, s19
	s_mul_hi_u32 s3, s15, s18
	s_delay_alu instid0(SALU_CYCLE_1) | instskip(SKIP_1) | instid1(SALU_CYCLE_1)
	s_add_i32 s3, s3, s2
	s_mul_i32 s2, s15, s18
	s_lshl_b64 s[2:3], s[2:3], 3
	s_delay_alu instid0(SALU_CYCLE_1) | instskip(SKIP_4) | instid1(VALU_DEP_1)
	s_add_u32 s2, s16, s2
	s_addc_u32 s3, s17, s3
	s_load_b64 s[8:9], s[2:3], 0x0
	s_waitcnt lgkmcnt(0)
	v_cmp_eq_f64_e64 s2, s[8:9], 0
	s_and_b32 vcc_lo, exec_lo, s2
	s_cbranch_vccnz .LBB70_15
; %bb.1:
	s_load_b128 s[4:7], s[0:1], 0x0
	v_bfe_u32 v1, v0, 10, 10
	s_mov_b32 s10, 0
	s_delay_alu instid0(SALU_CYCLE_1) | instskip(SKIP_1) | instid1(VALU_DEP_2)
	s_mov_b32 s11, s10
	v_dual_mov_b32 v4, s10 :: v_dual_and_b32 v3, 0x3ff, v0
	v_dual_mov_b32 v5, s11 :: v_dual_lshlrev_b32 v0, 5, v1
	s_delay_alu instid0(VALU_DEP_1)
	v_add_lshl_u32 v2, v0, v3, 3
	v_lshlrev_b32_e32 v0, 3, v3
	ds_store_2addr_stride64_b64 v2, v[4:5], v[4:5] offset1:16
	s_waitcnt lgkmcnt(0)
	v_cmp_gt_i32_e32 vcc_lo, s7, v1
	v_cmp_gt_i32_e64 s2, s7, v3
	s_delay_alu instid0(VALU_DEP_1) | instskip(NEXT) | instid1(SALU_CYCLE_1)
	s_and_b32 s2, vcc_lo, s2
	s_and_saveexec_b32 s3, s2
	s_cbranch_execz .LBB70_3
; %bb.2:
	v_mad_u64_u32 v[4:5], null, v1, s22, 0
	s_mul_i32 s2, s15, s25
	s_mul_hi_u32 s7, s15, s24
	s_mul_i32 s10, s15, s24
	s_add_i32 s11, s7, s2
	s_delay_alu instid0(SALU_CYCLE_1) | instskip(NEXT) | instid1(VALU_DEP_1)
	s_lshl_b64 s[10:11], s[10:11], 3
	v_mad_u64_u32 v[6:7], null, v1, s23, v[5:6]
	s_add_u32 s2, s20, s10
	s_addc_u32 s7, s21, s11
	s_delay_alu instid0(VALU_DEP_1) | instskip(NEXT) | instid1(VALU_DEP_1)
	v_mov_b32_e32 v5, v6
	v_lshlrev_b64 v[4:5], 3, v[4:5]
	s_delay_alu instid0(VALU_DEP_1) | instskip(NEXT) | instid1(VALU_DEP_1)
	v_add_co_u32 v4, s2, s2, v4
	v_add_co_ci_u32_e64 v5, s2, s7, v5, s2
	s_delay_alu instid0(VALU_DEP_2) | instskip(NEXT) | instid1(VALU_DEP_1)
	v_add_co_u32 v4, s2, v4, v0
	v_add_co_ci_u32_e64 v5, s2, 0, v5, s2
	global_load_b64 v[4:5], v[4:5], off
	s_waitcnt vmcnt(0)
	ds_store_b64 v2, v[4:5]
.LBB70_3:
	s_or_b32 exec_lo, exec_lo, s3
	s_add_i32 s2, s6, -1
	s_delay_alu instid0(SALU_CYCLE_1) | instskip(NEXT) | instid1(SALU_CYCLE_1)
	s_ashr_i32 s3, s2, 31
	s_lshr_b32 s3, s3, 27
	s_delay_alu instid0(SALU_CYCLE_1) | instskip(NEXT) | instid1(SALU_CYCLE_1)
	s_add_i32 s2, s2, s3
	s_and_b32 s3, s2, 0xffffffe0
	s_ashr_i32 s2, s2, 5
	s_sub_i32 s3, s6, s3
	s_cmp_ge_i32 s14, s2
	s_cselect_b32 s2, s3, 32
	s_lshl_b32 s6, s14, 5
	v_cmp_gt_i32_e64 s2, s2, v3
	s_ashr_i32 s7, s6, 31
	s_delay_alu instid0(VALU_DEP_1) | instskip(NEXT) | instid1(SALU_CYCLE_1)
	s_and_b32 s2, vcc_lo, s2
	s_and_saveexec_b32 s3, s2
	s_cbranch_execz .LBB70_5
; %bb.4:
	v_mad_u64_u32 v[4:5], null, v1, s28, 0
	s_mul_i32 s11, s15, s31
	s_mul_hi_u32 s12, s15, s30
	s_mul_i32 s10, s15, s30
	s_add_i32 s11, s12, s11
	s_delay_alu instid0(SALU_CYCLE_1) | instskip(NEXT) | instid1(VALU_DEP_1)
	s_lshl_b64 s[10:11], s[10:11], 3
	v_mad_u64_u32 v[6:7], null, v1, s29, v[5:6]
	s_add_u32 s12, s26, s10
	s_addc_u32 s13, s27, s11
	s_lshl_b64 s[10:11], s[6:7], 3
	s_delay_alu instid0(SALU_CYCLE_1) | instskip(SKIP_1) | instid1(VALU_DEP_1)
	s_add_u32 s10, s12, s10
	s_addc_u32 s11, s13, s11
	v_dual_mov_b32 v5, v6 :: v_dual_add_nc_u32 v6, 0x2000, v2
	s_delay_alu instid0(VALU_DEP_1) | instskip(NEXT) | instid1(VALU_DEP_1)
	v_lshlrev_b64 v[4:5], 3, v[4:5]
	v_add_co_u32 v4, vcc_lo, s10, v4
	s_delay_alu instid0(VALU_DEP_2) | instskip(NEXT) | instid1(VALU_DEP_2)
	v_add_co_ci_u32_e32 v5, vcc_lo, s11, v5, vcc_lo
	v_add_co_u32 v4, vcc_lo, v4, v0
	s_delay_alu instid0(VALU_DEP_2)
	v_add_co_ci_u32_e32 v5, vcc_lo, 0, v5, vcc_lo
	global_load_b64 v[4:5], v[4:5], off
	s_waitcnt vmcnt(0)
	ds_store_b64 v6, v[4:5]
.LBB70_5:
	s_or_b32 exec_lo, exec_lo, s3
	v_cmp_eq_u32_e32 vcc_lo, v1, v3
	s_cmpk_eq_i32 s5, 0x84
	s_cselect_b32 s3, -1, 0
	s_delay_alu instid0(SALU_CYCLE_1) | instskip(NEXT) | instid1(SALU_CYCLE_1)
	s_and_b32 s5, vcc_lo, s3
	s_and_saveexec_b32 s3, s5
	s_cbranch_execz .LBB70_7
; %bb.6:
	v_dual_mov_b32 v4, 0 :: v_dual_mov_b32 v5, 0x3ff00000
	ds_store_b64 v2, v[4:5]
.LBB70_7:
	s_or_b32 exec_lo, exec_lo, s3
	s_cmpk_lg_i32 s4, 0x79
	s_cbranch_scc0 .LBB70_9
; %bb.8:
	v_cmp_lt_u32_e32 vcc_lo, v3, v1
	s_and_b32 s3, vcc_lo, exec_lo
	s_cbranch_execz .LBB70_10
	s_branch .LBB70_11
.LBB70_9:
	s_mov_b32 s3, 0
.LBB70_10:
	v_cmp_gt_u32_e32 vcc_lo, v3, v1
	s_and_not1_b32 s3, s3, exec_lo
	s_and_b32 s4, vcc_lo, exec_lo
	s_delay_alu instid0(SALU_CYCLE_1)
	s_or_b32 s3, s3, s4
.LBB70_11:
	s_delay_alu instid0(SALU_CYCLE_1)
	s_and_saveexec_b32 s4, s3
	s_cbranch_execz .LBB70_13
; %bb.12:
	v_mov_b32_e32 v3, 0
	s_delay_alu instid0(VALU_DEP_1)
	v_mov_b32_e32 v4, v3
	ds_store_b64 v2, v[3:4]
.LBB70_13:
	s_or_b32 exec_lo, exec_lo, s4
	s_waitcnt lgkmcnt(0)
	s_barrier
	buffer_gl0_inv
	s_and_saveexec_b32 s3, s2
	s_cbranch_execz .LBB70_15
; %bb.14:
	v_add_nc_u32_e32 v12, 0x2000, v0
	v_lshlrev_b32_e32 v13, 3, v1
	ds_load_2addr_b64 v[2:5], v12 offset1:32
	ds_load_2addr_b64 v[6:9], v13 offset1:32
	v_add_nc_u32_e32 v14, 0x800, v13
	s_waitcnt lgkmcnt(0)
	v_fma_f64 v[2:3], v[2:3], v[6:7], 0
	s_delay_alu instid0(VALU_DEP_1) | instskip(SKIP_4) | instid1(VALU_DEP_1)
	v_fma_f64 v[10:11], v[4:5], v[8:9], v[2:3]
	ds_load_2addr_b64 v[2:5], v12 offset0:64 offset1:96
	ds_load_2addr_b64 v[6:9], v13 offset0:64 offset1:96
	s_waitcnt lgkmcnt(0)
	v_fma_f64 v[2:3], v[2:3], v[6:7], v[10:11]
	v_fma_f64 v[10:11], v[4:5], v[8:9], v[2:3]
	ds_load_2addr_b64 v[2:5], v12 offset0:128 offset1:160
	ds_load_2addr_b64 v[6:9], v13 offset0:128 offset1:160
	s_waitcnt lgkmcnt(0)
	v_fma_f64 v[2:3], v[2:3], v[6:7], v[10:11]
	s_delay_alu instid0(VALU_DEP_1)
	v_fma_f64 v[10:11], v[4:5], v[8:9], v[2:3]
	ds_load_2addr_b64 v[2:5], v12 offset0:192 offset1:224
	ds_load_2addr_b64 v[6:9], v13 offset0:192 offset1:224
	v_add_nc_u32_e32 v12, 0x2800, v0
	s_waitcnt lgkmcnt(0)
	v_fma_f64 v[2:3], v[2:3], v[6:7], v[10:11]
	s_delay_alu instid0(VALU_DEP_1) | instskip(SKIP_4) | instid1(VALU_DEP_1)
	v_fma_f64 v[10:11], v[4:5], v[8:9], v[2:3]
	ds_load_2addr_b64 v[2:5], v12 offset1:32
	ds_load_2addr_b64 v[6:9], v14 offset1:32
	s_waitcnt lgkmcnt(0)
	v_fma_f64 v[2:3], v[2:3], v[6:7], v[10:11]
	v_fma_f64 v[10:11], v[4:5], v[8:9], v[2:3]
	ds_load_2addr_b64 v[2:5], v12 offset0:64 offset1:96
	ds_load_2addr_b64 v[6:9], v14 offset0:64 offset1:96
	s_waitcnt lgkmcnt(0)
	v_fma_f64 v[2:3], v[2:3], v[6:7], v[10:11]
	s_delay_alu instid0(VALU_DEP_1) | instskip(SKIP_4) | instid1(VALU_DEP_1)
	v_fma_f64 v[10:11], v[4:5], v[8:9], v[2:3]
	ds_load_2addr_b64 v[2:5], v12 offset0:128 offset1:160
	ds_load_2addr_b64 v[6:9], v14 offset0:128 offset1:160
	s_waitcnt lgkmcnt(0)
	v_fma_f64 v[2:3], v[2:3], v[6:7], v[10:11]
	v_fma_f64 v[10:11], v[4:5], v[8:9], v[2:3]
	ds_load_2addr_b64 v[2:5], v12 offset0:192 offset1:224
	ds_load_2addr_b64 v[6:9], v14 offset0:192 offset1:224
	v_add_nc_u32_e32 v12, 0x3000, v0
	v_add_nc_u32_e32 v14, 0x1000, v13
	;; [unrolled: 1-line block ×3, first 2 shown]
	s_waitcnt lgkmcnt(0)
	v_fma_f64 v[2:3], v[2:3], v[6:7], v[10:11]
	s_delay_alu instid0(VALU_DEP_1) | instskip(SKIP_4) | instid1(VALU_DEP_1)
	v_fma_f64 v[10:11], v[4:5], v[8:9], v[2:3]
	ds_load_2addr_b64 v[2:5], v12 offset1:32
	ds_load_2addr_b64 v[6:9], v14 offset1:32
	s_waitcnt lgkmcnt(0)
	v_fma_f64 v[2:3], v[2:3], v[6:7], v[10:11]
	v_fma_f64 v[10:11], v[4:5], v[8:9], v[2:3]
	ds_load_2addr_b64 v[2:5], v12 offset0:64 offset1:96
	ds_load_2addr_b64 v[6:9], v14 offset0:64 offset1:96
	s_waitcnt lgkmcnt(0)
	v_fma_f64 v[2:3], v[2:3], v[6:7], v[10:11]
	s_delay_alu instid0(VALU_DEP_1) | instskip(SKIP_4) | instid1(VALU_DEP_1)
	v_fma_f64 v[10:11], v[4:5], v[8:9], v[2:3]
	ds_load_2addr_b64 v[2:5], v12 offset0:128 offset1:160
	ds_load_2addr_b64 v[6:9], v14 offset0:128 offset1:160
	s_waitcnt lgkmcnt(0)
	v_fma_f64 v[2:3], v[2:3], v[6:7], v[10:11]
	v_fma_f64 v[10:11], v[4:5], v[8:9], v[2:3]
	ds_load_2addr_b64 v[2:5], v12 offset0:192 offset1:224
	ds_load_2addr_b64 v[6:9], v14 offset0:192 offset1:224
	v_add_nc_u32_e32 v12, 0x3800, v0
	s_waitcnt lgkmcnt(0)
	v_fma_f64 v[2:3], v[2:3], v[6:7], v[10:11]
	s_delay_alu instid0(VALU_DEP_1) | instskip(SKIP_4) | instid1(VALU_DEP_1)
	v_fma_f64 v[10:11], v[4:5], v[8:9], v[2:3]
	ds_load_2addr_b64 v[2:5], v12 offset1:32
	ds_load_2addr_b64 v[6:9], v13 offset1:32
	s_waitcnt lgkmcnt(0)
	v_fma_f64 v[2:3], v[2:3], v[6:7], v[10:11]
	v_fma_f64 v[10:11], v[4:5], v[8:9], v[2:3]
	ds_load_2addr_b64 v[2:5], v12 offset0:64 offset1:96
	ds_load_2addr_b64 v[6:9], v13 offset0:64 offset1:96
	s_waitcnt lgkmcnt(0)
	v_fma_f64 v[2:3], v[2:3], v[6:7], v[10:11]
	s_delay_alu instid0(VALU_DEP_1) | instskip(SKIP_4) | instid1(VALU_DEP_1)
	v_fma_f64 v[10:11], v[4:5], v[8:9], v[2:3]
	ds_load_2addr_b64 v[2:5], v12 offset0:128 offset1:160
	ds_load_2addr_b64 v[6:9], v13 offset0:128 offset1:160
	s_waitcnt lgkmcnt(0)
	v_fma_f64 v[2:3], v[2:3], v[6:7], v[10:11]
	v_fma_f64 v[10:11], v[4:5], v[8:9], v[2:3]
	ds_load_2addr_b64 v[2:5], v12 offset0:192 offset1:224
	ds_load_2addr_b64 v[6:9], v13 offset0:192 offset1:224
	s_clause 0x1
	s_load_b128 s[16:19], s[0:1], 0x50
	s_load_b64 s[0:1], s[0:1], 0x60
	s_waitcnt lgkmcnt(0)
	s_mul_i32 s1, s15, s1
	s_mul_hi_u32 s2, s15, s0
	s_mul_i32 s0, s15, s0
	s_add_i32 s1, s2, s1
	s_delay_alu instid0(SALU_CYCLE_1) | instskip(NEXT) | instid1(SALU_CYCLE_1)
	s_lshl_b64 s[0:1], s[0:1], 3
	s_add_u32 s2, s16, s0
	s_addc_u32 s3, s17, s1
	s_lshl_b64 s[0:1], s[6:7], 3
	s_delay_alu instid0(SALU_CYCLE_1) | instskip(SKIP_2) | instid1(VALU_DEP_1)
	s_add_u32 s0, s2, s0
	s_addc_u32 s1, s3, s1
	v_fma_f64 v[2:3], v[2:3], v[6:7], v[10:11]
	v_fma_f64 v[2:3], v[4:5], v[8:9], v[2:3]
	v_mad_u64_u32 v[4:5], null, v1, s18, 0
	s_delay_alu instid0(VALU_DEP_1) | instskip(NEXT) | instid1(VALU_DEP_1)
	v_mad_u64_u32 v[6:7], null, v1, s19, v[5:6]
	v_mov_b32_e32 v5, v6
	s_delay_alu instid0(VALU_DEP_1) | instskip(NEXT) | instid1(VALU_DEP_1)
	v_lshlrev_b64 v[4:5], 3, v[4:5]
	v_add_co_u32 v1, vcc_lo, s0, v4
	s_delay_alu instid0(VALU_DEP_2) | instskip(NEXT) | instid1(VALU_DEP_2)
	v_add_co_ci_u32_e32 v4, vcc_lo, s1, v5, vcc_lo
	v_add_co_u32 v0, vcc_lo, v1, v0
	s_delay_alu instid0(VALU_DEP_2)
	v_add_co_ci_u32_e32 v1, vcc_lo, 0, v4, vcc_lo
	v_mul_f64 v[2:3], s[8:9], v[2:3]
	global_store_b64 v[0:1], v[2:3], off
.LBB70_15:
	s_nop 0
	s_sendmsg sendmsg(MSG_DEALLOC_VGPRS)
	s_endpgm
	.section	.rodata,"a",@progbits
	.p2align	6, 0x0
	.amdhsa_kernel _ZL23rocblas_trmm_rTx_kernelILi32ELb1EdPKdS0_dEv13rocblas_fill_17rocblas_diagonal_iiT2_lPT3_llS6_llPT4_lli
		.amdhsa_group_segment_fixed_size 16384
		.amdhsa_private_segment_fixed_size 0
		.amdhsa_kernarg_size 108
		.amdhsa_user_sgpr_count 14
		.amdhsa_user_sgpr_dispatch_ptr 0
		.amdhsa_user_sgpr_queue_ptr 0
		.amdhsa_user_sgpr_kernarg_segment_ptr 1
		.amdhsa_user_sgpr_dispatch_id 0
		.amdhsa_user_sgpr_private_segment_size 0
		.amdhsa_wavefront_size32 1
		.amdhsa_uses_dynamic_stack 0
		.amdhsa_enable_private_segment 0
		.amdhsa_system_sgpr_workgroup_id_x 1
		.amdhsa_system_sgpr_workgroup_id_y 0
		.amdhsa_system_sgpr_workgroup_id_z 1
		.amdhsa_system_sgpr_workgroup_info 0
		.amdhsa_system_vgpr_workitem_id 1
		.amdhsa_next_free_vgpr 15
		.amdhsa_next_free_sgpr 32
		.amdhsa_reserve_vcc 1
		.amdhsa_float_round_mode_32 0
		.amdhsa_float_round_mode_16_64 0
		.amdhsa_float_denorm_mode_32 3
		.amdhsa_float_denorm_mode_16_64 3
		.amdhsa_dx10_clamp 1
		.amdhsa_ieee_mode 1
		.amdhsa_fp16_overflow 0
		.amdhsa_workgroup_processor_mode 1
		.amdhsa_memory_ordered 1
		.amdhsa_forward_progress 0
		.amdhsa_shared_vgpr_count 0
		.amdhsa_exception_fp_ieee_invalid_op 0
		.amdhsa_exception_fp_denorm_src 0
		.amdhsa_exception_fp_ieee_div_zero 0
		.amdhsa_exception_fp_ieee_overflow 0
		.amdhsa_exception_fp_ieee_underflow 0
		.amdhsa_exception_fp_ieee_inexact 0
		.amdhsa_exception_int_div_zero 0
	.end_amdhsa_kernel
	.section	.text._ZL23rocblas_trmm_rTx_kernelILi32ELb1EdPKdS0_dEv13rocblas_fill_17rocblas_diagonal_iiT2_lPT3_llS6_llPT4_lli,"axG",@progbits,_ZL23rocblas_trmm_rTx_kernelILi32ELb1EdPKdS0_dEv13rocblas_fill_17rocblas_diagonal_iiT2_lPT3_llS6_llPT4_lli,comdat
.Lfunc_end70:
	.size	_ZL23rocblas_trmm_rTx_kernelILi32ELb1EdPKdS0_dEv13rocblas_fill_17rocblas_diagonal_iiT2_lPT3_llS6_llPT4_lli, .Lfunc_end70-_ZL23rocblas_trmm_rTx_kernelILi32ELb1EdPKdS0_dEv13rocblas_fill_17rocblas_diagonal_iiT2_lPT3_llS6_llPT4_lli
                                        ; -- End function
	.section	.AMDGPU.csdata,"",@progbits
; Kernel info:
; codeLenInByte = 1524
; NumSgprs: 34
; NumVgprs: 15
; ScratchSize: 0
; MemoryBound: 0
; FloatMode: 240
; IeeeMode: 1
; LDSByteSize: 16384 bytes/workgroup (compile time only)
; SGPRBlocks: 4
; VGPRBlocks: 1
; NumSGPRsForWavesPerEU: 34
; NumVGPRsForWavesPerEU: 15
; Occupancy: 16
; WaveLimiterHint : 0
; COMPUTE_PGM_RSRC2:SCRATCH_EN: 0
; COMPUTE_PGM_RSRC2:USER_SGPR: 14
; COMPUTE_PGM_RSRC2:TRAP_HANDLER: 0
; COMPUTE_PGM_RSRC2:TGID_X_EN: 1
; COMPUTE_PGM_RSRC2:TGID_Y_EN: 0
; COMPUTE_PGM_RSRC2:TGID_Z_EN: 1
; COMPUTE_PGM_RSRC2:TIDIG_COMP_CNT: 1
	.section	.text._ZL23rocblas_trmm_rTx_kernelILi32ELb1EddKddEv13rocblas_fill_17rocblas_diagonal_iiT2_lPT3_llS5_llPT4_lli,"axG",@progbits,_ZL23rocblas_trmm_rTx_kernelILi32ELb1EddKddEv13rocblas_fill_17rocblas_diagonal_iiT2_lPT3_llS5_llPT4_lli,comdat
	.globl	_ZL23rocblas_trmm_rTx_kernelILi32ELb1EddKddEv13rocblas_fill_17rocblas_diagonal_iiT2_lPT3_llS5_llPT4_lli ; -- Begin function _ZL23rocblas_trmm_rTx_kernelILi32ELb1EddKddEv13rocblas_fill_17rocblas_diagonal_iiT2_lPT3_llS5_llPT4_lli
	.p2align	8
	.type	_ZL23rocblas_trmm_rTx_kernelILi32ELb1EddKddEv13rocblas_fill_17rocblas_diagonal_iiT2_lPT3_llS5_llPT4_lli,@function
_ZL23rocblas_trmm_rTx_kernelILi32ELb1EddKddEv13rocblas_fill_17rocblas_diagonal_iiT2_lPT3_llS5_llPT4_lli: ; @_ZL23rocblas_trmm_rTx_kernelILi32ELb1EddKddEv13rocblas_fill_17rocblas_diagonal_iiT2_lPT3_llS5_llPT4_lli
; %bb.0:
	s_load_b64 s[8:9], s[0:1], 0x10
	s_waitcnt lgkmcnt(0)
	v_cmp_eq_f64_e64 s2, s[8:9], 0
	s_delay_alu instid0(VALU_DEP_1)
	s_and_b32 vcc_lo, exec_lo, s2
	s_cbranch_vccnz .LBB71_15
; %bb.1:
	s_clause 0x1
	s_load_b128 s[4:7], s[0:1], 0x0
	s_load_b512 s[16:31], s[0:1], 0x20
	v_bfe_u32 v1, v0, 10, 10
	s_mov_b32 s10, 0
	s_delay_alu instid0(SALU_CYCLE_1) | instskip(SKIP_1) | instid1(VALU_DEP_2)
	s_mov_b32 s11, s10
	v_dual_mov_b32 v4, s10 :: v_dual_and_b32 v3, 0x3ff, v0
	v_dual_mov_b32 v5, s11 :: v_dual_lshlrev_b32 v0, 5, v1
	s_delay_alu instid0(VALU_DEP_1)
	v_add_lshl_u32 v2, v0, v3, 3
	v_lshlrev_b32_e32 v0, 3, v3
	ds_store_2addr_stride64_b64 v2, v[4:5], v[4:5] offset1:16
	s_waitcnt lgkmcnt(0)
	v_cmp_gt_i32_e32 vcc_lo, s7, v1
	v_cmp_gt_i32_e64 s2, s7, v3
	s_delay_alu instid0(VALU_DEP_1) | instskip(NEXT) | instid1(SALU_CYCLE_1)
	s_and_b32 s2, vcc_lo, s2
	s_and_saveexec_b32 s3, s2
	s_cbranch_execz .LBB71_3
; %bb.2:
	v_mad_u64_u32 v[4:5], null, v1, s18, 0
	s_mul_i32 s2, s15, s21
	s_mul_hi_u32 s7, s15, s20
	s_mul_i32 s10, s15, s20
	s_add_i32 s11, s7, s2
	s_delay_alu instid0(SALU_CYCLE_1) | instskip(NEXT) | instid1(VALU_DEP_1)
	s_lshl_b64 s[10:11], s[10:11], 3
	v_mad_u64_u32 v[6:7], null, v1, s19, v[5:6]
	s_add_u32 s2, s16, s10
	s_addc_u32 s7, s17, s11
	s_delay_alu instid0(VALU_DEP_1) | instskip(NEXT) | instid1(VALU_DEP_1)
	v_mov_b32_e32 v5, v6
	v_lshlrev_b64 v[4:5], 3, v[4:5]
	s_delay_alu instid0(VALU_DEP_1) | instskip(NEXT) | instid1(VALU_DEP_1)
	v_add_co_u32 v4, s2, s2, v4
	v_add_co_ci_u32_e64 v5, s2, s7, v5, s2
	s_delay_alu instid0(VALU_DEP_2) | instskip(NEXT) | instid1(VALU_DEP_1)
	v_add_co_u32 v4, s2, v4, v0
	v_add_co_ci_u32_e64 v5, s2, 0, v5, s2
	global_load_b64 v[4:5], v[4:5], off
	s_waitcnt vmcnt(0)
	ds_store_b64 v2, v[4:5]
.LBB71_3:
	s_or_b32 exec_lo, exec_lo, s3
	s_add_i32 s2, s6, -1
	s_delay_alu instid0(SALU_CYCLE_1) | instskip(NEXT) | instid1(SALU_CYCLE_1)
	s_ashr_i32 s3, s2, 31
	s_lshr_b32 s3, s3, 27
	s_delay_alu instid0(SALU_CYCLE_1) | instskip(NEXT) | instid1(SALU_CYCLE_1)
	s_add_i32 s2, s2, s3
	s_and_b32 s3, s2, 0xffffffe0
	s_ashr_i32 s2, s2, 5
	s_sub_i32 s3, s6, s3
	s_cmp_ge_i32 s14, s2
	s_cselect_b32 s2, s3, 32
	s_lshl_b32 s6, s14, 5
	v_cmp_gt_i32_e64 s2, s2, v3
	s_ashr_i32 s7, s6, 31
	s_delay_alu instid0(VALU_DEP_1) | instskip(NEXT) | instid1(SALU_CYCLE_1)
	s_and_b32 s2, vcc_lo, s2
	s_and_saveexec_b32 s3, s2
	s_cbranch_execz .LBB71_5
; %bb.4:
	v_mad_u64_u32 v[4:5], null, v1, s24, 0
	s_mul_i32 s11, s15, s27
	s_mul_hi_u32 s12, s15, s26
	s_mul_i32 s10, s15, s26
	s_add_i32 s11, s12, s11
	s_delay_alu instid0(SALU_CYCLE_1) | instskip(NEXT) | instid1(VALU_DEP_1)
	s_lshl_b64 s[10:11], s[10:11], 3
	v_mad_u64_u32 v[6:7], null, v1, s25, v[5:6]
	s_add_u32 s12, s22, s10
	s_addc_u32 s13, s23, s11
	s_lshl_b64 s[10:11], s[6:7], 3
	s_delay_alu instid0(SALU_CYCLE_1) | instskip(SKIP_1) | instid1(VALU_DEP_1)
	s_add_u32 s10, s12, s10
	s_addc_u32 s11, s13, s11
	v_dual_mov_b32 v5, v6 :: v_dual_add_nc_u32 v6, 0x2000, v2
	s_delay_alu instid0(VALU_DEP_1) | instskip(NEXT) | instid1(VALU_DEP_1)
	v_lshlrev_b64 v[4:5], 3, v[4:5]
	v_add_co_u32 v4, vcc_lo, s10, v4
	s_delay_alu instid0(VALU_DEP_2) | instskip(NEXT) | instid1(VALU_DEP_2)
	v_add_co_ci_u32_e32 v5, vcc_lo, s11, v5, vcc_lo
	v_add_co_u32 v4, vcc_lo, v4, v0
	s_delay_alu instid0(VALU_DEP_2)
	v_add_co_ci_u32_e32 v5, vcc_lo, 0, v5, vcc_lo
	global_load_b64 v[4:5], v[4:5], off
	s_waitcnt vmcnt(0)
	ds_store_b64 v6, v[4:5]
.LBB71_5:
	s_or_b32 exec_lo, exec_lo, s3
	v_cmp_eq_u32_e32 vcc_lo, v1, v3
	s_cmpk_eq_i32 s5, 0x84
	s_cselect_b32 s3, -1, 0
	s_delay_alu instid0(SALU_CYCLE_1) | instskip(NEXT) | instid1(SALU_CYCLE_1)
	s_and_b32 s5, vcc_lo, s3
	s_and_saveexec_b32 s3, s5
	s_cbranch_execz .LBB71_7
; %bb.6:
	v_dual_mov_b32 v4, 0 :: v_dual_mov_b32 v5, 0x3ff00000
	ds_store_b64 v2, v[4:5]
.LBB71_7:
	s_or_b32 exec_lo, exec_lo, s3
	s_cmpk_lg_i32 s4, 0x79
	s_cbranch_scc0 .LBB71_9
; %bb.8:
	v_cmp_lt_u32_e32 vcc_lo, v3, v1
	s_and_b32 s3, vcc_lo, exec_lo
	s_cbranch_execz .LBB71_10
	s_branch .LBB71_11
.LBB71_9:
	s_mov_b32 s3, 0
.LBB71_10:
	v_cmp_gt_u32_e32 vcc_lo, v3, v1
	s_and_not1_b32 s3, s3, exec_lo
	s_and_b32 s4, vcc_lo, exec_lo
	s_delay_alu instid0(SALU_CYCLE_1)
	s_or_b32 s3, s3, s4
.LBB71_11:
	s_delay_alu instid0(SALU_CYCLE_1)
	s_and_saveexec_b32 s4, s3
	s_cbranch_execz .LBB71_13
; %bb.12:
	v_mov_b32_e32 v3, 0
	s_delay_alu instid0(VALU_DEP_1)
	v_mov_b32_e32 v4, v3
	ds_store_b64 v2, v[3:4]
.LBB71_13:
	s_or_b32 exec_lo, exec_lo, s4
	s_waitcnt lgkmcnt(0)
	s_barrier
	buffer_gl0_inv
	s_and_saveexec_b32 s3, s2
	s_cbranch_execz .LBB71_15
; %bb.14:
	v_add_nc_u32_e32 v12, 0x2000, v0
	v_lshlrev_b32_e32 v13, 3, v1
	s_load_b64 s[0:1], s[0:1], 0x60
	ds_load_2addr_b64 v[2:5], v12 offset1:32
	ds_load_2addr_b64 v[6:9], v13 offset1:32
	v_add_nc_u32_e32 v14, 0x800, v13
	s_waitcnt lgkmcnt(0)
	s_mul_i32 s1, s15, s1
	s_mul_hi_u32 s2, s15, s0
	s_mul_i32 s0, s15, s0
	v_fma_f64 v[2:3], v[2:3], v[6:7], 0
	s_add_i32 s1, s2, s1
	s_delay_alu instid0(SALU_CYCLE_1) | instskip(NEXT) | instid1(SALU_CYCLE_1)
	s_lshl_b64 s[0:1], s[0:1], 3
	s_add_u32 s2, s28, s0
	s_addc_u32 s3, s29, s1
	s_lshl_b64 s[0:1], s[6:7], 3
	s_delay_alu instid0(SALU_CYCLE_1) | instskip(SKIP_1) | instid1(VALU_DEP_1)
	s_add_u32 s0, s2, s0
	s_addc_u32 s1, s3, s1
	v_fma_f64 v[10:11], v[4:5], v[8:9], v[2:3]
	ds_load_2addr_b64 v[2:5], v12 offset0:64 offset1:96
	ds_load_2addr_b64 v[6:9], v13 offset0:64 offset1:96
	s_waitcnt lgkmcnt(0)
	v_fma_f64 v[2:3], v[2:3], v[6:7], v[10:11]
	s_delay_alu instid0(VALU_DEP_1) | instskip(SKIP_4) | instid1(VALU_DEP_1)
	v_fma_f64 v[10:11], v[4:5], v[8:9], v[2:3]
	ds_load_2addr_b64 v[2:5], v12 offset0:128 offset1:160
	ds_load_2addr_b64 v[6:9], v13 offset0:128 offset1:160
	s_waitcnt lgkmcnt(0)
	v_fma_f64 v[2:3], v[2:3], v[6:7], v[10:11]
	v_fma_f64 v[10:11], v[4:5], v[8:9], v[2:3]
	ds_load_2addr_b64 v[2:5], v12 offset0:192 offset1:224
	ds_load_2addr_b64 v[6:9], v13 offset0:192 offset1:224
	v_add_nc_u32_e32 v12, 0x2800, v0
	s_waitcnt lgkmcnt(0)
	v_fma_f64 v[2:3], v[2:3], v[6:7], v[10:11]
	s_delay_alu instid0(VALU_DEP_1) | instskip(SKIP_4) | instid1(VALU_DEP_1)
	v_fma_f64 v[10:11], v[4:5], v[8:9], v[2:3]
	ds_load_2addr_b64 v[2:5], v12 offset1:32
	ds_load_2addr_b64 v[6:9], v14 offset1:32
	s_waitcnt lgkmcnt(0)
	v_fma_f64 v[2:3], v[2:3], v[6:7], v[10:11]
	v_fma_f64 v[10:11], v[4:5], v[8:9], v[2:3]
	ds_load_2addr_b64 v[2:5], v12 offset0:64 offset1:96
	ds_load_2addr_b64 v[6:9], v14 offset0:64 offset1:96
	s_waitcnt lgkmcnt(0)
	v_fma_f64 v[2:3], v[2:3], v[6:7], v[10:11]
	s_delay_alu instid0(VALU_DEP_1) | instskip(SKIP_4) | instid1(VALU_DEP_1)
	v_fma_f64 v[10:11], v[4:5], v[8:9], v[2:3]
	ds_load_2addr_b64 v[2:5], v12 offset0:128 offset1:160
	ds_load_2addr_b64 v[6:9], v14 offset0:128 offset1:160
	s_waitcnt lgkmcnt(0)
	v_fma_f64 v[2:3], v[2:3], v[6:7], v[10:11]
	v_fma_f64 v[10:11], v[4:5], v[8:9], v[2:3]
	ds_load_2addr_b64 v[2:5], v12 offset0:192 offset1:224
	ds_load_2addr_b64 v[6:9], v14 offset0:192 offset1:224
	v_add_nc_u32_e32 v12, 0x3000, v0
	v_add_nc_u32_e32 v14, 0x1000, v13
	;; [unrolled: 1-line block ×3, first 2 shown]
	s_waitcnt lgkmcnt(0)
	v_fma_f64 v[2:3], v[2:3], v[6:7], v[10:11]
	s_delay_alu instid0(VALU_DEP_1) | instskip(SKIP_4) | instid1(VALU_DEP_1)
	v_fma_f64 v[10:11], v[4:5], v[8:9], v[2:3]
	ds_load_2addr_b64 v[2:5], v12 offset1:32
	ds_load_2addr_b64 v[6:9], v14 offset1:32
	s_waitcnt lgkmcnt(0)
	v_fma_f64 v[2:3], v[2:3], v[6:7], v[10:11]
	v_fma_f64 v[10:11], v[4:5], v[8:9], v[2:3]
	ds_load_2addr_b64 v[2:5], v12 offset0:64 offset1:96
	ds_load_2addr_b64 v[6:9], v14 offset0:64 offset1:96
	s_waitcnt lgkmcnt(0)
	v_fma_f64 v[2:3], v[2:3], v[6:7], v[10:11]
	s_delay_alu instid0(VALU_DEP_1) | instskip(SKIP_4) | instid1(VALU_DEP_1)
	v_fma_f64 v[10:11], v[4:5], v[8:9], v[2:3]
	ds_load_2addr_b64 v[2:5], v12 offset0:128 offset1:160
	ds_load_2addr_b64 v[6:9], v14 offset0:128 offset1:160
	s_waitcnt lgkmcnt(0)
	v_fma_f64 v[2:3], v[2:3], v[6:7], v[10:11]
	v_fma_f64 v[10:11], v[4:5], v[8:9], v[2:3]
	ds_load_2addr_b64 v[2:5], v12 offset0:192 offset1:224
	ds_load_2addr_b64 v[6:9], v14 offset0:192 offset1:224
	v_add_nc_u32_e32 v12, 0x3800, v0
	s_waitcnt lgkmcnt(0)
	v_fma_f64 v[2:3], v[2:3], v[6:7], v[10:11]
	s_delay_alu instid0(VALU_DEP_1) | instskip(SKIP_4) | instid1(VALU_DEP_1)
	v_fma_f64 v[10:11], v[4:5], v[8:9], v[2:3]
	ds_load_2addr_b64 v[2:5], v12 offset1:32
	ds_load_2addr_b64 v[6:9], v13 offset1:32
	s_waitcnt lgkmcnt(0)
	v_fma_f64 v[2:3], v[2:3], v[6:7], v[10:11]
	v_fma_f64 v[10:11], v[4:5], v[8:9], v[2:3]
	ds_load_2addr_b64 v[2:5], v12 offset0:64 offset1:96
	ds_load_2addr_b64 v[6:9], v13 offset0:64 offset1:96
	s_waitcnt lgkmcnt(0)
	v_fma_f64 v[2:3], v[2:3], v[6:7], v[10:11]
	s_delay_alu instid0(VALU_DEP_1) | instskip(SKIP_4) | instid1(VALU_DEP_1)
	v_fma_f64 v[10:11], v[4:5], v[8:9], v[2:3]
	ds_load_2addr_b64 v[2:5], v12 offset0:128 offset1:160
	ds_load_2addr_b64 v[6:9], v13 offset0:128 offset1:160
	s_waitcnt lgkmcnt(0)
	v_fma_f64 v[2:3], v[2:3], v[6:7], v[10:11]
	v_fma_f64 v[10:11], v[4:5], v[8:9], v[2:3]
	ds_load_2addr_b64 v[2:5], v12 offset0:192 offset1:224
	ds_load_2addr_b64 v[6:9], v13 offset0:192 offset1:224
	s_waitcnt lgkmcnt(0)
	v_fma_f64 v[2:3], v[2:3], v[6:7], v[10:11]
	s_delay_alu instid0(VALU_DEP_1) | instskip(SKIP_1) | instid1(VALU_DEP_1)
	v_fma_f64 v[2:3], v[4:5], v[8:9], v[2:3]
	v_mad_u64_u32 v[4:5], null, v1, s30, 0
	v_mad_u64_u32 v[6:7], null, v1, s31, v[5:6]
	s_delay_alu instid0(VALU_DEP_1) | instskip(NEXT) | instid1(VALU_DEP_1)
	v_mov_b32_e32 v5, v6
	v_lshlrev_b64 v[4:5], 3, v[4:5]
	s_delay_alu instid0(VALU_DEP_1) | instskip(NEXT) | instid1(VALU_DEP_2)
	v_add_co_u32 v1, vcc_lo, s0, v4
	v_add_co_ci_u32_e32 v4, vcc_lo, s1, v5, vcc_lo
	s_delay_alu instid0(VALU_DEP_2) | instskip(NEXT) | instid1(VALU_DEP_2)
	v_add_co_u32 v0, vcc_lo, v1, v0
	v_add_co_ci_u32_e32 v1, vcc_lo, 0, v4, vcc_lo
	v_mul_f64 v[2:3], v[2:3], s[8:9]
	global_store_b64 v[0:1], v[2:3], off
.LBB71_15:
	s_nop 0
	s_sendmsg sendmsg(MSG_DEALLOC_VGPRS)
	s_endpgm
	.section	.rodata,"a",@progbits
	.p2align	6, 0x0
	.amdhsa_kernel _ZL23rocblas_trmm_rTx_kernelILi32ELb1EddKddEv13rocblas_fill_17rocblas_diagonal_iiT2_lPT3_llS5_llPT4_lli
		.amdhsa_group_segment_fixed_size 16384
		.amdhsa_private_segment_fixed_size 0
		.amdhsa_kernarg_size 108
		.amdhsa_user_sgpr_count 14
		.amdhsa_user_sgpr_dispatch_ptr 0
		.amdhsa_user_sgpr_queue_ptr 0
		.amdhsa_user_sgpr_kernarg_segment_ptr 1
		.amdhsa_user_sgpr_dispatch_id 0
		.amdhsa_user_sgpr_private_segment_size 0
		.amdhsa_wavefront_size32 1
		.amdhsa_uses_dynamic_stack 0
		.amdhsa_enable_private_segment 0
		.amdhsa_system_sgpr_workgroup_id_x 1
		.amdhsa_system_sgpr_workgroup_id_y 0
		.amdhsa_system_sgpr_workgroup_id_z 1
		.amdhsa_system_sgpr_workgroup_info 0
		.amdhsa_system_vgpr_workitem_id 1
		.amdhsa_next_free_vgpr 15
		.amdhsa_next_free_sgpr 32
		.amdhsa_reserve_vcc 1
		.amdhsa_float_round_mode_32 0
		.amdhsa_float_round_mode_16_64 0
		.amdhsa_float_denorm_mode_32 3
		.amdhsa_float_denorm_mode_16_64 3
		.amdhsa_dx10_clamp 1
		.amdhsa_ieee_mode 1
		.amdhsa_fp16_overflow 0
		.amdhsa_workgroup_processor_mode 1
		.amdhsa_memory_ordered 1
		.amdhsa_forward_progress 0
		.amdhsa_shared_vgpr_count 0
		.amdhsa_exception_fp_ieee_invalid_op 0
		.amdhsa_exception_fp_denorm_src 0
		.amdhsa_exception_fp_ieee_div_zero 0
		.amdhsa_exception_fp_ieee_overflow 0
		.amdhsa_exception_fp_ieee_underflow 0
		.amdhsa_exception_fp_ieee_inexact 0
		.amdhsa_exception_int_div_zero 0
	.end_amdhsa_kernel
	.section	.text._ZL23rocblas_trmm_rTx_kernelILi32ELb1EddKddEv13rocblas_fill_17rocblas_diagonal_iiT2_lPT3_llS5_llPT4_lli,"axG",@progbits,_ZL23rocblas_trmm_rTx_kernelILi32ELb1EddKddEv13rocblas_fill_17rocblas_diagonal_iiT2_lPT3_llS5_llPT4_lli,comdat
.Lfunc_end71:
	.size	_ZL23rocblas_trmm_rTx_kernelILi32ELb1EddKddEv13rocblas_fill_17rocblas_diagonal_iiT2_lPT3_llS5_llPT4_lli, .Lfunc_end71-_ZL23rocblas_trmm_rTx_kernelILi32ELb1EddKddEv13rocblas_fill_17rocblas_diagonal_iiT2_lPT3_llS5_llPT4_lli
                                        ; -- End function
	.section	.AMDGPU.csdata,"",@progbits
; Kernel info:
; codeLenInByte = 1476
; NumSgprs: 34
; NumVgprs: 15
; ScratchSize: 0
; MemoryBound: 0
; FloatMode: 240
; IeeeMode: 1
; LDSByteSize: 16384 bytes/workgroup (compile time only)
; SGPRBlocks: 4
; VGPRBlocks: 1
; NumSGPRsForWavesPerEU: 34
; NumVGPRsForWavesPerEU: 15
; Occupancy: 16
; WaveLimiterHint : 0
; COMPUTE_PGM_RSRC2:SCRATCH_EN: 0
; COMPUTE_PGM_RSRC2:USER_SGPR: 14
; COMPUTE_PGM_RSRC2:TRAP_HANDLER: 0
; COMPUTE_PGM_RSRC2:TGID_X_EN: 1
; COMPUTE_PGM_RSRC2:TGID_Y_EN: 0
; COMPUTE_PGM_RSRC2:TGID_Z_EN: 1
; COMPUTE_PGM_RSRC2:TIDIG_COMP_CNT: 1
	.section	.text._ZL30rocblas_trmm_outofplace_kernelI19rocblas_complex_numIfELi32ELi2ELb1ELb0ELb0ELb0EPKS1_S2_S1_Ev17rocblas_diagonal_iiT6_lPT7_lllS7_lllPT8_llli,"axG",@progbits,_ZL30rocblas_trmm_outofplace_kernelI19rocblas_complex_numIfELi32ELi2ELb1ELb0ELb0ELb0EPKS1_S2_S1_Ev17rocblas_diagonal_iiT6_lPT7_lllS7_lllPT8_llli,comdat
	.globl	_ZL30rocblas_trmm_outofplace_kernelI19rocblas_complex_numIfELi32ELi2ELb1ELb0ELb0ELb0EPKS1_S2_S1_Ev17rocblas_diagonal_iiT6_lPT7_lllS7_lllPT8_llli ; -- Begin function _ZL30rocblas_trmm_outofplace_kernelI19rocblas_complex_numIfELi32ELi2ELb1ELb0ELb0ELb0EPKS1_S2_S1_Ev17rocblas_diagonal_iiT6_lPT7_lllS7_lllPT8_llli
	.p2align	8
	.type	_ZL30rocblas_trmm_outofplace_kernelI19rocblas_complex_numIfELi32ELi2ELb1ELb0ELb0ELb0EPKS1_S2_S1_Ev17rocblas_diagonal_iiT6_lPT7_lllS7_lllPT8_llli,@function
_ZL30rocblas_trmm_outofplace_kernelI19rocblas_complex_numIfELi32ELi2ELb1ELb0ELb0ELb0EPKS1_S2_S1_Ev17rocblas_diagonal_iiT6_lPT7_lllS7_lllPT8_llli: ; @_ZL30rocblas_trmm_outofplace_kernelI19rocblas_complex_numIfELi32ELi2ELb1ELb0ELb0ELb0EPKS1_S2_S1_Ev17rocblas_diagonal_iiT6_lPT7_lllS7_lllPT8_llli
; %bb.0:
	s_load_b512 s[16:31], s[0:1], 0x10
	s_waitcnt lgkmcnt(0)
	s_mul_i32 s2, s15, s19
	s_mul_hi_u32 s3, s15, s18
	s_delay_alu instid0(SALU_CYCLE_1) | instskip(SKIP_1) | instid1(SALU_CYCLE_1)
	s_add_i32 s3, s3, s2
	s_mul_i32 s2, s15, s18
	s_lshl_b64 s[2:3], s[2:3], 3
	s_delay_alu instid0(SALU_CYCLE_1) | instskip(SKIP_4) | instid1(SALU_CYCLE_1)
	s_add_u32 s2, s16, s2
	s_addc_u32 s3, s17, s3
	s_load_b64 s[34:35], s[2:3], 0x0
	s_waitcnt lgkmcnt(0)
	s_or_b32 s2, s34, s35
	s_bitset0_b32 s2, 31
	s_delay_alu instid0(SALU_CYCLE_1)
	s_cmp_eq_u32 s2, 0
	s_cbranch_scc1 .LBB72_63
; %bb.1:
	s_load_b128 s[8:11], s[0:1], 0x0
	s_waitcnt lgkmcnt(0)
	s_add_i32 s2, s10, -1
	s_delay_alu instid0(SALU_CYCLE_1) | instskip(NEXT) | instid1(SALU_CYCLE_1)
	s_ashr_i32 s3, s2, 31
	s_lshr_b32 s3, s3, 27
	s_delay_alu instid0(SALU_CYCLE_1) | instskip(NEXT) | instid1(SALU_CYCLE_1)
	s_add_i32 s2, s2, s3
	s_ashr_i32 s11, s2, 5
	s_delay_alu instid0(SALU_CYCLE_1)
	s_cmp_gt_i32 s14, s11
	s_cbranch_scc1 .LBB72_63
; %bb.2:
	v_bfe_u32 v36, v0, 10, 10
	s_clause 0x1
	s_load_b128 s[16:19], s[0:1], 0x70
	s_load_b256 s[36:43], s[0:1], 0x50
	s_mul_i32 s3, s15, s27
	s_mul_hi_u32 s4, s15, s26
	s_mul_i32 s2, s15, s26
	v_mad_u64_u32 v[1:2], null, v36, s24, 0
	s_add_i32 s3, s4, s3
	s_load_b32 s33, s[0:1], 0x8c
	s_lshl_b64 s[4:5], s[2:3], 3
	v_lshl_add_u32 v24, s14, 5, v36
	s_add_u32 s2, s20, s4
	s_addc_u32 s3, s21, s5
	s_delay_alu instid0(VALU_DEP_2)
	v_mad_u64_u32 v[3:4], null, v36, s25, v[2:3]
	s_lshl_b64 s[6:7], s[22:23], 3
	v_and_b32_e32 v37, 0x3ff, v0
	s_add_u32 s2, s2, s6
	s_addc_u32 s3, s3, s7
	v_mov_b32_e32 v7, 0
	s_waitcnt lgkmcnt(0)
	s_mul_i32 s1, s15, s19
	v_mov_b32_e32 v2, v3
	s_mul_hi_u32 s12, s15, s18
	s_mul_i32 s0, s15, s18
	s_add_i32 s1, s12, s1
	s_mul_i32 s26, s38, s15
	s_lshl_b64 s[0:1], s[0:1], 3
	v_lshlrev_b64 v[0:1], 3, v[1:2]
	s_add_u32 s12, s40, s0
	s_addc_u32 s18, s41, s1
	s_lshl_b64 s[0:1], s[42:43], 3
	v_lshl_add_u32 v3, v36, 3, 0x80
	s_add_u32 s40, s12, s0
	s_addc_u32 s41, s18, s1
	s_lshl_b32 s42, s13, 5
	s_cmp_gt_i32 s13, -1
	v_add_nc_u32_e32 v4, s42, v37
	s_cselect_b32 s43, -1, 0
	s_cmpk_eq_i32 s8, 0x84
	v_add_co_u32 v8, vcc_lo, s2, v0
	v_add_co_ci_u32_e32 v9, vcc_lo, s3, v1, vcc_lo
	s_cselect_b32 s44, -1, 0
	s_ashr_i32 s13, s9, 31
	s_ashr_i32 s45, s10, 31
	s_lshl_b64 s[18:19], s[24:25], 8
	s_mul_i32 s2, s39, s15
	s_mul_hi_u32 s3, s38, s15
	s_add_u32 s22, s9, -16
	s_addc_u32 s23, s13, -1
	v_add_nc_u32_e32 v12, 16, v4
	s_add_i32 s27, s3, s2
	s_lshl_b64 s[30:31], s[30:31], 3
	s_lshl_b64 s[26:27], s[26:27], 3
	s_mov_b32 s12, s9
	s_add_u32 s8, s26, s30
	v_cmp_le_i32_e64 s0, s9, v4
	v_cmp_gt_i32_e64 s2, s9, v4
	v_cmp_gt_i32_e64 s3, s9, v12
	s_addc_u32 s9, s27, s31
	s_add_u32 s8, s28, s8
	s_addc_u32 s15, s29, s9
	s_lshl_b64 s[26:27], s[36:37], 3
	s_lshl_b32 s9, s33, 5
	s_add_u32 s6, s20, s6
	s_addc_u32 s7, s21, s7
	s_add_u32 s4, s6, s4
	s_addc_u32 s5, s7, s5
	v_ashrrev_i32_e32 v5, 31, v4
	v_mad_u64_u32 v[14:15], null, s24, v3, s[4:5]
	v_lshlrev_b32_e32 v0, 8, v36
	v_lshlrev_b32_e32 v38, 3, v37
	v_add_co_u32 v10, vcc_lo, v4, 16
	v_add_co_ci_u32_e32 v11, vcc_lo, 0, v5, vcc_lo
	s_delay_alu instid0(VALU_DEP_4) | instskip(NEXT) | instid1(VALU_DEP_4)
	v_add_nc_u32_e32 v39, 0x2000, v0
	v_add_nc_u32_e32 v40, v38, v0
	v_mov_b32_e32 v0, v15
	v_sub_co_u32 v16, vcc_lo, v4, v36
	v_subrev_co_ci_u32_e32 v17, vcc_lo, 0, v5, vcc_lo
	s_delay_alu instid0(VALU_DEP_3) | instskip(NEXT) | instid1(VALU_DEP_3)
	v_mad_u64_u32 v[1:2], null, s25, v3, v[0:1]
	v_add_co_u32 v18, vcc_lo, v16, 16
	v_add_co_u32 v6, s4, s8, v38
	s_delay_alu instid0(VALU_DEP_4)
	v_add_co_ci_u32_e32 v19, vcc_lo, 0, v17, vcc_lo
	v_add_co_ci_u32_e64 v15, null, s15, 0, s4
	v_add_co_u32 v20, vcc_lo, v16, -16
	v_add_co_ci_u32_e32 v21, vcc_lo, -1, v17, vcc_lo
	v_add_co_u32 v22, vcc_lo, 0x80, v6
	v_cmp_le_i64_e64 s1, s[12:13], v[10:11]
	v_lshlrev_b64 v[26:27], 3, v[4:5]
	v_dual_mov_b32 v6, 1.0 :: v_dual_add_nc_u32 v41, v39, v38
	v_ashrrev_i32_e32 v13, 31, v12
	v_add_co_ci_u32_e32 v23, vcc_lo, 0, v15, vcc_lo
	v_mov_b32_e32 v15, v1
	s_branch .LBB72_4
.LBB72_3:                               ;   in Loop: Header=BB72_4 Depth=1
	s_or_b32 exec_lo, exec_lo, s4
	v_add_nc_u32_e32 v24, s9, v24
	s_add_i32 s14, s33, s14
	s_delay_alu instid0(SALU_CYCLE_1)
	s_cmp_le_i32 s14, s11
	s_cbranch_scc0 .LBB72_63
.LBB72_4:                               ; =>This Loop Header: Depth=1
                                        ;     Child Loop BB72_7 Depth 2
	v_lshl_add_u32 v42, s14, 5, v36
	v_mov_b32_e32 v49, v7
	v_mov_b32_e32 v50, v7
	;; [unrolled: 1-line block ×4, first 2 shown]
	v_ashrrev_i32_e32 v43, 31, v42
	v_mov_b32_e32 v45, v7
	v_mov_b32_e32 v46, v7
	v_mov_b32_e32 v44, v7
	v_mov_b32_e32 v25, v7
	s_and_not1_b32 vcc_lo, exec_lo, s43
	s_cbranch_vccnz .LBB72_55
; %bb.5:                                ;   in Loop: Header=BB72_4 Depth=1
	v_ashrrev_i32_e32 v25, 31, v24
	v_mad_u64_u32 v[28:29], null, s26, v24, v[22:23]
	v_mul_lo_u32 v2, s27, v24
	v_mov_b32_e32 v33, v15
	s_delay_alu instid0(VALU_DEP_4)
	v_lshlrev_b64 v[0:1], 3, v[24:25]
	v_mul_lo_u32 v44, s26, v25
	v_mov_b32_e32 v35, v9
	v_dual_mov_b32 v25, 0 :: v_dual_mov_b32 v32, v14
	v_mov_b32_e32 v34, v8
	v_add_co_u32 v3, vcc_lo, 0x80, v0
	v_add_co_ci_u32_e32 v30, vcc_lo, 0, v1, vcc_lo
	v_sub_co_u32 v0, vcc_lo, s10, v42
	s_delay_alu instid0(VALU_DEP_3) | instskip(NEXT) | instid1(VALU_DEP_3)
	v_mul_lo_u32 v46, s37, v3
	v_mul_lo_u32 v45, s36, v30
	v_mad_u64_u32 v[30:31], null, s36, v3, v[22:23]
	v_sub_co_ci_u32_e32 v1, vcc_lo, s45, v43, vcc_lo
	v_add3_u32 v29, v2, v29, v44
	v_mov_b32_e32 v44, 0
	v_dual_mov_b32 v48, 0 :: v_dual_mov_b32 v47, 0
	s_delay_alu instid0(VALU_DEP_4)
	v_cmp_lt_i64_e32 vcc_lo, 0, v[0:1]
	v_cmp_lt_i64_e64 s4, 16, v[0:1]
	v_add3_u32 v31, v46, v31, v45
	v_dual_mov_b32 v46, 0 :: v_dual_mov_b32 v45, 0
	v_dual_mov_b32 v50, 0 :: v_dual_mov_b32 v49, 0
	s_mov_b64 s[20:21], 0
	s_branch .LBB72_7
.LBB72_6:                               ;   in Loop: Header=BB72_7 Depth=2
	s_or_b32 exec_lo, exec_lo, s5
	s_waitcnt lgkmcnt(0)
	s_waitcnt_vscnt null, 0x0
	s_barrier
	buffer_gl0_inv
	ds_load_2addr_b64 v[51:54], v38 offset1:16
	ds_load_b128 v[55:58], v39
	ds_load_b128 v[59:62], v39 offset:4096
	ds_load_b128 v[63:66], v39 offset:16
	;; [unrolled: 1-line block ×4, first 2 shown]
	ds_load_2addr_b64 v[71:74], v38 offset0:32 offset1:48
	ds_load_b128 v[75:78], v39 offset:4112
	v_add_co_u32 v28, s5, 0x100, v28
	s_delay_alu instid0(VALU_DEP_1) | instskip(SKIP_1) | instid1(VALU_DEP_1)
	v_add_co_ci_u32_e64 v29, s5, 0, v29, s5
	v_add_co_u32 v34, s5, v34, s18
	v_add_co_ci_u32_e64 v35, s5, s19, v35, s5
	v_add_co_u32 v32, s5, v32, s18
	s_delay_alu instid0(VALU_DEP_1)
	v_add_co_ci_u32_e64 v33, s5, s19, v33, s5
	v_add_co_u32 v30, s5, 0x100, v30
	s_waitcnt lgkmcnt(6)
	v_dual_mul_f32 v79, v56, v52 :: v_dual_mul_f32 v82, v55, v54
	v_dual_mul_f32 v80, v55, v52 :: v_dual_mul_f32 v81, v56, v54
	s_waitcnt lgkmcnt(5)
	v_mul_f32_e32 v83, v60, v52
	s_delay_alu instid0(VALU_DEP_3)
	v_fma_f32 v79, v55, v51, -v79
	v_mul_f32_e32 v52, v59, v52
	v_fmac_f32_e32 v80, v56, v51
	v_fma_f32 v55, v55, v53, -v81
	v_mul_f32_e32 v84, v60, v54
	v_mul_f32_e32 v54, v59, v54
	v_fmac_f32_e32 v82, v56, v53
	v_fma_f32 v56, v59, v51, -v83
	v_add_f32_e32 v49, v49, v79
	s_delay_alu instid0(VALU_DEP_4)
	v_dual_add_f32 v55, v47, v55 :: v_dual_fmac_f32 v54, v60, v53
	v_fmac_f32_e32 v52, v60, v51
	v_fma_f32 v51, v59, v53, -v84
	s_waitcnt lgkmcnt(1)
	v_mul_f32_e32 v59, v58, v72
	v_mul_f32_e32 v53, v57, v72
	v_dual_add_f32 v25, v25, v54 :: v_dual_add_f32 v50, v50, v80
	v_add_f32_e32 v51, v44, v51
	s_delay_alu instid0(VALU_DEP_3)
	v_dual_add_f32 v48, v48, v82 :: v_dual_fmac_f32 v53, v58, v71
	v_add_f32_e32 v56, v45, v56
	v_fma_f32 v59, v57, v71, -v59
	v_add_f32_e32 v52, v46, v52
	ds_load_2addr_b64 v[44:47], v38 offset0:64 offset1:80
	v_mul_f32_e32 v60, v58, v74
	v_mul_f32_e32 v54, v57, v74
	v_add_f32_e32 v59, v49, v59
	v_dual_add_f32 v53, v50, v53 :: v_dual_mul_f32 v50, v61, v72
	s_delay_alu instid0(VALU_DEP_4) | instskip(SKIP_3) | instid1(VALU_DEP_3)
	v_fma_f32 v49, v57, v73, -v60
	v_mul_f32_e32 v57, v62, v72
	s_add_u32 s20, s20, 32
	v_add_co_ci_u32_e64 v31, s5, 0, v31, s5
	v_add_f32_e32 v55, v55, v49
	s_delay_alu instid0(VALU_DEP_3) | instskip(SKIP_3) | instid1(VALU_DEP_2)
	v_fma_f32 v49, v61, v71, -v57
	v_mul_f32_e32 v57, v62, v74
	s_addc_u32 s21, s21, 0
	s_sub_i32 s6, s20, 32
	v_add_f32_e32 v56, v56, v49
	s_cmp_ge_i32 s6, s42
	s_waitcnt lgkmcnt(0)
	v_mul_f32_e32 v49, v64, v45
	v_fmac_f32_e32 v54, v58, v73
	v_mul_f32_e32 v58, v61, v74
	s_delay_alu instid0(VALU_DEP_2) | instskip(SKIP_2) | instid1(VALU_DEP_4)
	v_add_f32_e32 v54, v48, v54
	v_fma_f32 v48, v61, v73, -v57
	v_mul_f32_e32 v57, v63, v45
	v_fmac_f32_e32 v58, v62, v73
	v_fmac_f32_e32 v50, v62, v71
	v_fma_f32 v61, v63, v44, -v49
	v_add_f32_e32 v60, v51, v48
	v_fmac_f32_e32 v57, v64, v44
	v_add_f32_e32 v25, v25, v58
	v_add_f32_e32 v52, v52, v50
	ds_load_2addr_b64 v[48:51], v38 offset0:96 offset1:112
	v_mul_f32_e32 v62, v64, v47
	v_add_f32_e32 v58, v59, v61
	v_mul_f32_e32 v59, v63, v47
	v_add_f32_e32 v53, v53, v57
	v_mul_f32_e32 v57, v76, v45
	v_mul_f32_e32 v45, v75, v45
	v_fma_f32 v61, v63, v46, -v62
	v_dual_fmac_f32 v59, v64, v46 :: v_dual_mul_f32 v62, v75, v47
	s_delay_alu instid0(VALU_DEP_4) | instskip(NEXT) | instid1(VALU_DEP_4)
	v_fma_f32 v57, v75, v44, -v57
	v_fmac_f32_e32 v45, v76, v44
	s_delay_alu instid0(VALU_DEP_4) | instskip(SKIP_3) | instid1(VALU_DEP_3)
	v_add_f32_e32 v55, v55, v61
	v_mul_f32_e32 v61, v76, v47
	v_dual_fmac_f32 v62, v76, v46 :: v_dual_add_f32 v59, v54, v59
	v_add_f32_e32 v56, v56, v57
	v_fma_f32 v44, v75, v46, -v61
	s_delay_alu instid0(VALU_DEP_3) | instskip(SKIP_4) | instid1(VALU_DEP_3)
	v_add_f32_e32 v25, v25, v62
	s_waitcnt lgkmcnt(0)
	v_dual_mul_f32 v61, v66, v51 :: v_dual_mul_f32 v54, v65, v49
	v_add_f32_e32 v57, v52, v45
	v_mul_f32_e32 v52, v66, v49
	v_fma_f32 v61, v65, v50, -v61
	v_mul_f32_e32 v62, v65, v51
	s_delay_alu instid0(VALU_DEP_3) | instskip(SKIP_1) | instid1(VALU_DEP_4)
	v_fma_f32 v52, v65, v48, -v52
	v_mul_f32_e32 v65, v78, v51
	v_dual_add_f32 v61, v55, v61 :: v_dual_fmac_f32 v54, v66, v48
	v_add_f32_e32 v60, v60, v44
	ds_load_2addr_b64 v[44:47], v38 offset0:128 offset1:144
	v_add_f32_e32 v58, v58, v52
	v_mul_f32_e32 v52, v78, v49
	v_dual_fmac_f32 v62, v66, v50 :: v_dual_mul_f32 v49, v77, v49
	v_add_f32_e32 v63, v53, v54
	s_delay_alu instid0(VALU_DEP_2)
	v_dual_add_f32 v62, v59, v62 :: v_dual_fmac_f32 v49, v78, v48
	v_mul_f32_e32 v59, v77, v51
	v_fma_f32 v64, v77, v48, -v52
	ds_load_b128 v[52:55], v39 offset:4128
	v_fma_f32 v48, v77, v50, -v65
	v_add_f32_e32 v65, v57, v49
	v_dual_fmac_f32 v59, v78, v50 :: v_dual_add_f32 v64, v56, v64
	s_delay_alu instid0(VALU_DEP_3)
	v_add_f32_e32 v60, v60, v48
	s_waitcnt lgkmcnt(1)
	v_mul_f32_e32 v51, v68, v45
	v_dual_mul_f32 v66, v67, v45 :: v_dual_mul_f32 v57, v68, v47
	v_add_f32_e32 v25, v25, v59
	v_mul_f32_e32 v72, v67, v47
	s_delay_alu instid0(VALU_DEP_4) | instskip(NEXT) | instid1(VALU_DEP_4)
	v_fma_f32 v56, v67, v44, -v51
	v_fmac_f32_e32 v66, v68, v44
	ds_load_2addr_b64 v[48:51], v38 offset0:160 offset1:176
	v_fma_f32 v67, v67, v46, -v57
	v_dual_fmac_f32 v72, v68, v46 :: v_dual_add_f32 v71, v58, v56
	ds_load_b128 v[56:59], v39 offset:4144
	s_waitcnt lgkmcnt(2)
	v_mul_f32_e32 v73, v53, v45
	v_dual_add_f32 v63, v63, v66 :: v_dual_add_f32 v62, v62, v72
	v_mul_f32_e32 v68, v52, v47
	s_delay_alu instid0(VALU_DEP_3) | instskip(SKIP_1) | instid1(VALU_DEP_2)
	v_fma_f32 v66, v52, v44, -v73
	v_add_f32_e32 v61, v61, v67
	v_dual_mul_f32 v67, v53, v47 :: v_dual_add_f32 v64, v64, v66
	s_waitcnt lgkmcnt(1)
	v_mul_f32_e32 v47, v70, v49
	v_dual_mul_f32 v45, v52, v45 :: v_dual_fmac_f32 v68, v53, v46
	s_delay_alu instid0(VALU_DEP_1) | instskip(SKIP_1) | instid1(VALU_DEP_2)
	v_dual_mul_f32 v66, v70, v51 :: v_dual_fmac_f32 v45, v53, v44
	v_mul_f32_e32 v53, v69, v49
	v_fma_f32 v66, v69, v50, -v66
	v_fma_f32 v44, v52, v46, -v67
	s_delay_alu instid0(VALU_DEP_2) | instskip(NEXT) | instid1(VALU_DEP_4)
	v_dual_add_f32 v61, v61, v66 :: v_dual_mul_f32 v66, v55, v51
	v_dual_add_f32 v52, v65, v45 :: v_dual_fmac_f32 v53, v70, v48
	s_delay_alu instid0(VALU_DEP_3)
	v_add_f32_e32 v60, v60, v44
	v_fma_f32 v65, v69, v48, -v47
	ds_load_2addr_b64 v[44:47], v38 offset0:192 offset1:208
	v_add_f32_e32 v53, v63, v53
	v_mul_f32_e32 v63, v55, v49
	v_mul_f32_e32 v49, v54, v49
	s_delay_alu instid0(VALU_DEP_2) | instskip(NEXT) | instid1(VALU_DEP_2)
	v_fma_f32 v63, v54, v48, -v63
	v_fmac_f32_e32 v49, v55, v48
	v_mul_f32_e32 v67, v69, v51
	v_fma_f32 v48, v54, v50, -v66
	v_add_f32_e32 v65, v71, v65
	s_delay_alu instid0(VALU_DEP_3) | instskip(NEXT) | instid1(VALU_DEP_1)
	v_dual_add_f32 v52, v52, v49 :: v_dual_fmac_f32 v67, v70, v50
	v_dual_add_f32 v25, v25, v68 :: v_dual_add_f32 v62, v62, v67
	v_mul_f32_e32 v67, v54, v51
	s_waitcnt lgkmcnt(0)
	v_mul_f32_e32 v66, v0, v47
	v_add_f32_e32 v54, v64, v63
	s_delay_alu instid0(VALU_DEP_3) | instskip(NEXT) | instid1(VALU_DEP_3)
	v_dual_mul_f32 v64, v1, v47 :: v_dual_fmac_f32 v67, v55, v50
	v_dual_add_f32 v55, v60, v48 :: v_dual_fmac_f32 v66, v1, v46
	ds_load_2addr_b64 v[48:51], v38 offset0:224 offset1:240
	v_mul_f32_e32 v63, v1, v45
	v_mul_f32_e32 v60, v0, v45
	v_add_f32_e32 v62, v62, v66
	s_delay_alu instid0(VALU_DEP_3) | instskip(SKIP_3) | instid1(VALU_DEP_3)
	v_fma_f32 v63, v0, v44, -v63
	v_fma_f32 v0, v0, v46, -v64
	v_mul_f32_e32 v64, v57, v45
	v_fmac_f32_e32 v60, v1, v44
	v_add_f32_e32 v61, v61, v0
	s_delay_alu instid0(VALU_DEP_3) | instskip(SKIP_1) | instid1(VALU_DEP_4)
	v_fma_f32 v0, v56, v44, -v64
	v_mul_f32_e32 v64, v56, v47
	v_dual_mul_f32 v1, v56, v45 :: v_dual_add_f32 v60, v53, v60
	s_delay_alu instid0(VALU_DEP_2) | instskip(SKIP_2) | instid1(VALU_DEP_1)
	v_fmac_f32_e32 v64, v57, v46
	s_waitcnt lgkmcnt(0)
	v_dual_mul_f32 v66, v2, v49 :: v_dual_add_f32 v25, v25, v67
	v_dual_mul_f32 v45, v57, v47 :: v_dual_fmac_f32 v66, v3, v48
	v_fmac_f32_e32 v1, v57, v44
	s_delay_alu instid0(VALU_DEP_2)
	v_fma_f32 v44, v56, v46, -v45
	v_add_f32_e32 v63, v65, v63
	v_dual_add_f32 v65, v54, v0 :: v_dual_add_nc_u32 v0, 0x800, v38
	v_dual_add_f32 v25, v25, v64 :: v_dual_mul_f32 v64, v2, v51
	v_mul_f32_e32 v45, v3, v49
	v_add_f32_e32 v56, v55, v44
	v_add_f32_e32 v68, v60, v66
	v_dual_add_f32 v1, v52, v1 :: v_dual_mul_f32 v66, v59, v51
	s_delay_alu instid0(VALU_DEP_4)
	v_fma_f32 v57, v2, v48, -v45
	ds_load_2addr_b64 v[44:47], v0 offset1:16
	ds_load_b128 v[52:55], v39 offset:64
	v_fmac_f32_e32 v64, v3, v50
	v_mul_f32_e32 v67, v3, v51
	v_mul_f32_e32 v3, v58, v49
	v_add_f32_e32 v57, v63, v57
	v_mul_f32_e32 v63, v59, v49
	v_add_f32_e32 v69, v62, v64
	s_delay_alu instid0(VALU_DEP_2) | instskip(NEXT) | instid1(VALU_DEP_1)
	v_fma_f32 v49, v58, v48, -v63
	v_add_f32_e32 v70, v65, v49
	v_fma_f32 v2, v2, v50, -v67
	s_waitcnt lgkmcnt(0)
	v_mul_f32_e32 v49, v53, v45
	s_delay_alu instid0(VALU_DEP_2)
	v_add_f32_e32 v2, v61, v2
	ds_load_b128 v[60:63], v39 offset:4160
	v_fmac_f32_e32 v3, v59, v48
	v_fma_f32 v48, v58, v50, -v66
	v_mul_f32_e32 v58, v58, v51
	v_mul_f32_e32 v73, v52, v47
	ds_load_b128 v[64:67], v39 offset:80
	v_dual_add_f32 v1, v1, v3 :: v_dual_fmac_f32 v58, v59, v50
	v_fmac_f32_e32 v73, v53, v46
	v_add_f32_e32 v71, v56, v48
	v_fma_f32 v56, v52, v44, -v49
	ds_load_2addr_b64 v[48:51], v0 offset0:32 offset1:48
	v_mul_f32_e32 v3, v52, v45
	v_mul_f32_e32 v59, v53, v47
	v_add_f32_e32 v25, v25, v58
	s_delay_alu instid0(VALU_DEP_3) | instskip(NEXT) | instid1(VALU_DEP_3)
	v_fmac_f32_e32 v3, v53, v44
	v_fma_f32 v52, v52, v46, -v59
	s_waitcnt lgkmcnt(2)
	s_delay_alu instid0(VALU_DEP_2) | instskip(NEXT) | instid1(VALU_DEP_2)
	v_dual_add_f32 v3, v68, v3 :: v_dual_mul_f32 v68, v61, v45
	v_dual_mul_f32 v45, v60, v45 :: v_dual_add_f32 v2, v2, v52
	v_mul_f32_e32 v52, v61, v47
	v_add_f32_e32 v72, v57, v56
	s_delay_alu instid0(VALU_DEP_4) | instskip(SKIP_3) | instid1(VALU_DEP_4)
	v_fma_f32 v53, v60, v44, -v68
	v_dual_add_f32 v68, v69, v73 :: v_dual_mul_f32 v69, v60, v47
	v_fmac_f32_e32 v45, v61, v44
	v_fma_f32 v44, v60, v46, -v52
	v_add_f32_e32 v52, v70, v53
	s_waitcnt lgkmcnt(0)
	v_mul_f32_e32 v47, v55, v49
	v_dual_fmac_f32 v69, v61, v46 :: v_dual_mul_f32 v70, v55, v51
	v_dual_mul_f32 v60, v54, v49 :: v_dual_add_f32 v53, v71, v44
	s_delay_alu instid0(VALU_DEP_3) | instskip(NEXT) | instid1(VALU_DEP_3)
	v_fma_f32 v61, v54, v48, -v47
	v_add_f32_e32 v25, v25, v69
	v_mul_f32_e32 v69, v54, v51
	v_fma_f32 v54, v54, v50, -v70
	v_mul_f32_e32 v70, v63, v49
	v_fmac_f32_e32 v60, v55, v48
	ds_load_b128 v[56:59], v39 offset:4176
	v_add_f32_e32 v2, v2, v54
	v_fma_f32 v54, v62, v48, -v70
	v_dual_add_f32 v3, v3, v60 :: v_dual_mul_f32 v60, v62, v51
	s_delay_alu instid0(VALU_DEP_2) | instskip(SKIP_3) | instid1(VALU_DEP_2)
	v_dual_add_f32 v52, v52, v54 :: v_dual_add_f32 v1, v1, v45
	ds_load_2addr_b64 v[44:47], v0 offset0:64 offset1:80
	v_mul_f32_e32 v49, v62, v49
	v_dual_add_f32 v61, v72, v61 :: v_dual_fmac_f32 v60, v63, v50
	v_fmac_f32_e32 v49, v63, v48
	s_delay_alu instid0(VALU_DEP_2) | instskip(NEXT) | instid1(VALU_DEP_1)
	v_dual_mul_f32 v48, v63, v51 :: v_dual_add_f32 v25, v25, v60
	v_fma_f32 v54, v62, v50, -v48
	s_delay_alu instid0(VALU_DEP_1) | instskip(SKIP_3) | instid1(VALU_DEP_2)
	v_add_f32_e32 v53, v53, v54
	s_waitcnt lgkmcnt(0)
	v_mul_f32_e32 v62, v65, v45
	v_mul_f32_e32 v63, v64, v45
	v_fma_f32 v54, v64, v44, -v62
	v_mul_f32_e32 v62, v65, v47
	s_delay_alu instid0(VALU_DEP_3) | instskip(NEXT) | instid1(VALU_DEP_3)
	v_fmac_f32_e32 v63, v65, v44
	v_add_f32_e32 v60, v61, v54
	v_fmac_f32_e32 v69, v55, v50
	s_delay_alu instid0(VALU_DEP_4) | instskip(SKIP_2) | instid1(VALU_DEP_4)
	v_fma_f32 v54, v64, v46, -v62
	v_mul_f32_e32 v61, v57, v45
	v_mul_f32_e32 v45, v56, v45
	v_add_f32_e32 v55, v68, v69
	v_mul_f32_e32 v68, v64, v47
	v_add_f32_e32 v2, v2, v54
	v_mul_f32_e32 v54, v57, v47
	v_fmac_f32_e32 v45, v57, v44
	s_delay_alu instid0(VALU_DEP_4) | instskip(NEXT) | instid1(VALU_DEP_1)
	v_fmac_f32_e32 v68, v65, v46
	v_add_f32_e32 v62, v55, v68
	v_fma_f32 v55, v56, v44, -v61
	v_mul_f32_e32 v61, v56, v47
	v_fma_f32 v44, v56, v46, -v54
	s_delay_alu instid0(VALU_DEP_3)
	v_dual_add_f32 v56, v52, v55 :: v_dual_add_f32 v1, v1, v49
	ds_load_2addr_b64 v[48:51], v0 offset0:96 offset1:112
	v_fmac_f32_e32 v61, v57, v46
	s_waitcnt lgkmcnt(0)
	v_mul_f32_e32 v47, v67, v49
	v_dual_mul_f32 v65, v67, v51 :: v_dual_mul_f32 v64, v66, v49
	v_add_f32_e32 v3, v3, v63
	s_delay_alu instid0(VALU_DEP_3) | instskip(NEXT) | instid1(VALU_DEP_3)
	v_fma_f32 v63, v66, v48, -v47
	v_fma_f32 v65, v66, v50, -v65
	s_delay_alu instid0(VALU_DEP_4) | instskip(NEXT) | instid1(VALU_DEP_3)
	v_fmac_f32_e32 v64, v67, v48
	v_add_f32_e32 v68, v60, v63
	v_mul_f32_e32 v60, v59, v49
	s_delay_alu instid0(VALU_DEP_4)
	v_add_f32_e32 v2, v2, v65
	v_mul_f32_e32 v49, v58, v49
	v_mul_f32_e32 v65, v59, v51
	v_add_f32_e32 v57, v53, v44
	v_add_f32_e32 v3, v3, v64
	v_fma_f32 v64, v58, v48, -v60
	v_fmac_f32_e32 v49, v59, v48
	v_fma_f32 v48, v58, v50, -v65
	s_delay_alu instid0(VALU_DEP_3) | instskip(NEXT) | instid1(VALU_DEP_2)
	v_add_f32_e32 v70, v56, v64
	v_dual_mul_f32 v56, v58, v51 :: v_dual_add_f32 v71, v57, v48
	v_add_f32_e32 v1, v1, v45
	ds_load_2addr_b64 v[44:47], v0 offset0:128 offset1:144
	ds_load_b128 v[52:55], v39 offset:96
	v_add_f32_e32 v25, v25, v61
	v_dual_mul_f32 v61, v66, v51 :: v_dual_fmac_f32 v56, v59, v50
	s_delay_alu instid0(VALU_DEP_1)
	v_fmac_f32_e32 v61, v67, v50
	ds_load_b128 v[64:67], v39 offset:112
	v_add_f32_e32 v69, v62, v61
	ds_load_b128 v[60:63], v39 offset:4192
	s_waitcnt lgkmcnt(2)
	v_mul_f32_e32 v51, v53, v45
	v_mul_f32_e32 v72, v52, v45
	;; [unrolled: 1-line block ×4, first 2 shown]
	s_delay_alu instid0(VALU_DEP_4) | instskip(NEXT) | instid1(VALU_DEP_4)
	v_fma_f32 v57, v52, v44, -v51
	v_fmac_f32_e32 v72, v53, v44
	s_delay_alu instid0(VALU_DEP_4) | instskip(NEXT) | instid1(VALU_DEP_3)
	v_fma_f32 v52, v52, v46, -v58
	v_dual_fmac_f32 v73, v53, v46 :: v_dual_add_f32 v68, v68, v57
	s_delay_alu instid0(VALU_DEP_3) | instskip(NEXT) | instid1(VALU_DEP_3)
	v_add_f32_e32 v3, v3, v72
	v_add_f32_e32 v2, v2, v52
	s_waitcnt lgkmcnt(0)
	v_mul_f32_e32 v74, v61, v45
	v_mul_f32_e32 v45, v60, v45
	v_mul_f32_e32 v53, v61, v47
	v_mul_f32_e32 v72, v60, v47
	s_delay_alu instid0(VALU_DEP_4) | instskip(NEXT) | instid1(VALU_DEP_4)
	v_fma_f32 v52, v60, v44, -v74
	v_fmac_f32_e32 v45, v61, v44
	s_delay_alu instid0(VALU_DEP_4) | instskip(NEXT) | instid1(VALU_DEP_4)
	v_fma_f32 v44, v60, v46, -v53
	v_fmac_f32_e32 v72, v61, v46
	s_delay_alu instid0(VALU_DEP_4) | instskip(NEXT) | instid1(VALU_DEP_3)
	v_add_f32_e32 v52, v70, v52
	v_dual_add_f32 v60, v71, v44 :: v_dual_add_f32 v1, v1, v49
	ds_load_2addr_b64 v[48:51], v0 offset0:160 offset1:176
	v_add_f32_e32 v1, v1, v45
	s_waitcnt lgkmcnt(0)
	v_mul_f32_e32 v47, v55, v49
	v_mul_f32_e32 v70, v55, v51
	s_delay_alu instid0(VALU_DEP_2) | instskip(SKIP_2) | instid1(VALU_DEP_1)
	v_fma_f32 v61, v54, v48, -v47
	ds_load_2addr_b64 v[44:47], v0 offset0:192 offset1:208
	v_dual_add_f32 v61, v68, v61 :: v_dual_mul_f32 v68, v54, v51
	v_dual_fmac_f32 v68, v55, v50 :: v_dual_add_f32 v25, v25, v56
	ds_load_b128 v[56:59], v39 offset:4208
	v_mul_f32_e32 v53, v54, v49
	v_fma_f32 v54, v54, v50, -v70
	s_delay_alu instid0(VALU_DEP_1) | instskip(SKIP_1) | instid1(VALU_DEP_2)
	v_dual_fmac_f32 v53, v55, v48 :: v_dual_add_f32 v2, v2, v54
	v_mul_f32_e32 v54, v63, v51
	v_add_f32_e32 v3, v3, v53
	v_mul_f32_e32 v53, v63, v49
	v_mul_f32_e32 v49, v62, v49
	s_delay_alu instid0(VALU_DEP_2) | instskip(NEXT) | instid1(VALU_DEP_2)
	v_fma_f32 v53, v62, v48, -v53
	v_fmac_f32_e32 v49, v63, v48
	v_fma_f32 v48, v62, v50, -v54
	s_delay_alu instid0(VALU_DEP_3) | instskip(NEXT) | instid1(VALU_DEP_2)
	v_add_f32_e32 v52, v52, v53
	v_dual_add_f32 v1, v1, v49 :: v_dual_add_f32 v54, v60, v48
	v_add_f32_e32 v69, v69, v73
	s_waitcnt lgkmcnt(1)
	v_mul_f32_e32 v53, v65, v45
	s_delay_alu instid0(VALU_DEP_2) | instskip(SKIP_2) | instid1(VALU_DEP_3)
	v_dual_mul_f32 v60, v64, v45 :: v_dual_add_f32 v55, v69, v68
	v_mul_f32_e32 v68, v62, v51
	v_mul_f32_e32 v62, v64, v47
	v_fmac_f32_e32 v60, v65, v44
	s_delay_alu instid0(VALU_DEP_3) | instskip(SKIP_4) | instid1(VALU_DEP_3)
	v_fmac_f32_e32 v68, v63, v50
	ds_load_2addr_b64 v[48:51], v0 offset0:224 offset1:240
	v_fma_f32 v0, v64, v44, -v53
	v_mul_f32_e32 v53, v65, v47
	v_dual_fmac_f32 v62, v65, v46 :: v_dual_add_f32 v3, v3, v60
	v_add_f32_e32 v61, v61, v0
	s_delay_alu instid0(VALU_DEP_3)
	v_fma_f32 v0, v64, v46, -v53
	s_waitcnt lgkmcnt(1)
	v_mul_f32_e32 v53, v57, v45
	v_dual_mul_f32 v45, v56, v45 :: v_dual_add_f32 v60, v55, v62
	v_mul_f32_e32 v62, v56, v47
	v_add_f32_e32 v2, v2, v0
	s_delay_alu instid0(VALU_DEP_4)
	v_fma_f32 v0, v56, v44, -v53
	v_mul_f32_e32 v53, v57, v47
	v_fmac_f32_e32 v45, v57, v44
	v_add_f32_e32 v25, v25, v72
	v_fmac_f32_e32 v62, v57, v46
	v_add_f32_e32 v64, v52, v0
	v_fma_f32 v44, v56, v46, -v53
	s_waitcnt lgkmcnt(0)
	v_dual_mul_f32 v47, v67, v49 :: v_dual_add_nc_u32 v0, 0x1000, v38
	v_add_f32_e32 v1, v1, v45
	v_mul_f32_e32 v63, v66, v49
	v_add_f32_e32 v56, v54, v44
	s_delay_alu instid0(VALU_DEP_4)
	v_fma_f32 v57, v66, v48, -v47
	ds_load_2addr_b64 v[44:47], v0 offset1:16
	ds_load_b128 v[52:55], v39 offset:128
	v_add_f32_e32 v25, v25, v68
	v_mul_f32_e32 v65, v67, v51
	v_fmac_f32_e32 v63, v67, v48
	v_add_f32_e32 v57, v61, v57
	s_delay_alu instid0(VALU_DEP_4) | instskip(NEXT) | instid1(VALU_DEP_4)
	v_dual_add_f32 v25, v25, v62 :: v_dual_mul_f32 v62, v66, v51
	v_fma_f32 v61, v66, v50, -v65
	v_mul_f32_e32 v65, v59, v49
	v_dual_mul_f32 v49, v58, v49 :: v_dual_mul_f32 v66, v59, v51
	s_delay_alu instid0(VALU_DEP_4) | instskip(NEXT) | instid1(VALU_DEP_4)
	v_fmac_f32_e32 v62, v67, v50
	v_dual_add_f32 v3, v3, v63 :: v_dual_add_f32 v2, v2, v61
	s_delay_alu instid0(VALU_DEP_4) | instskip(NEXT) | instid1(VALU_DEP_3)
	v_fma_f32 v65, v58, v48, -v65
	v_dual_fmac_f32 v49, v59, v48 :: v_dual_add_f32 v68, v60, v62
	ds_load_b128 v[60:63], v39 offset:4224
	v_fma_f32 v48, v58, v50, -v66
	s_waitcnt lgkmcnt(1)
	v_dual_mul_f32 v58, v58, v51 :: v_dual_mul_f32 v51, v53, v45
	v_add_f32_e32 v69, v64, v65
	ds_load_b128 v[64:67], v39 offset:144
	v_dual_add_f32 v1, v1, v49 :: v_dual_fmac_f32 v58, v59, v50
	v_add_f32_e32 v71, v56, v48
	v_fma_f32 v56, v52, v44, -v51
	ds_load_2addr_b64 v[48:51], v0 offset0:32 offset1:48
	v_dual_mul_f32 v70, v52, v45 :: v_dual_mul_f32 v59, v53, v47
	v_mul_f32_e32 v73, v52, v47
	v_add_f32_e32 v25, v25, v58
	s_delay_alu instid0(VALU_DEP_3) | instskip(NEXT) | instid1(VALU_DEP_4)
	v_fmac_f32_e32 v70, v53, v44
	v_fma_f32 v52, v52, v46, -v59
	s_delay_alu instid0(VALU_DEP_4) | instskip(SKIP_1) | instid1(VALU_DEP_3)
	v_fmac_f32_e32 v73, v53, v46
	s_waitcnt lgkmcnt(2)
	v_dual_add_f32 v3, v3, v70 :: v_dual_mul_f32 v70, v61, v45
	s_delay_alu instid0(VALU_DEP_3) | instskip(SKIP_2) | instid1(VALU_DEP_4)
	v_dual_mul_f32 v45, v60, v45 :: v_dual_add_f32 v2, v2, v52
	v_mul_f32_e32 v52, v61, v47
	v_add_f32_e32 v68, v68, v73
	v_fma_f32 v53, v60, v44, -v70
	s_delay_alu instid0(VALU_DEP_4) | instskip(NEXT) | instid1(VALU_DEP_4)
	v_dual_fmac_f32 v45, v61, v44 :: v_dual_mul_f32 v70, v60, v47
	v_fma_f32 v44, v60, v46, -v52
	s_waitcnt lgkmcnt(0)
	v_mul_f32_e32 v47, v55, v49
	v_add_f32_e32 v52, v69, v53
	v_add_f32_e32 v1, v1, v45
	v_dual_fmac_f32 v70, v61, v46 :: v_dual_add_f32 v53, v71, v44
	v_mul_f32_e32 v60, v54, v49
	v_fma_f32 v61, v54, v48, -v47
	ds_load_2addr_b64 v[44:47], v0 offset0:64 offset1:80
	v_mul_f32_e32 v69, v55, v51
	v_dual_add_f32 v25, v25, v70 :: v_dual_fmac_f32 v60, v55, v48
	v_mul_f32_e32 v70, v54, v51
	s_delay_alu instid0(VALU_DEP_3) | instskip(SKIP_3) | instid1(VALU_DEP_4)
	v_fma_f32 v54, v54, v50, -v69
	v_mul_f32_e32 v69, v63, v49
	v_mul_f32_e32 v49, v62, v49
	v_dual_add_f32 v3, v3, v60 :: v_dual_mul_f32 v60, v62, v51
	v_add_f32_e32 v2, v2, v54
	s_delay_alu instid0(VALU_DEP_4) | instskip(NEXT) | instid1(VALU_DEP_4)
	v_fma_f32 v54, v62, v48, -v69
	v_fmac_f32_e32 v49, v63, v48
	v_mul_f32_e32 v48, v63, v51
	v_fmac_f32_e32 v60, v63, v50
	v_add_f32_e32 v72, v57, v56
	ds_load_b128 v[56:59], v39 offset:4240
	v_fmac_f32_e32 v70, v55, v50
	v_dual_add_f32 v52, v52, v54 :: v_dual_add_f32 v1, v1, v49
	v_fma_f32 v54, v62, v50, -v48
	s_waitcnt lgkmcnt(1)
	v_mul_f32_e32 v62, v65, v45
	ds_load_2addr_b64 v[48:51], v0 offset0:96 offset1:112
	v_add_f32_e32 v61, v72, v61
	v_add_f32_e32 v55, v68, v70
	;; [unrolled: 1-line block ×3, first 2 shown]
	v_fma_f32 v54, v64, v44, -v62
	v_mul_f32_e32 v62, v65, v47
	v_dual_mul_f32 v68, v64, v47 :: v_dual_add_f32 v25, v25, v60
	s_delay_alu instid0(VALU_DEP_3) | instskip(NEXT) | instid1(VALU_DEP_3)
	v_dual_mul_f32 v63, v64, v45 :: v_dual_add_f32 v60, v61, v54
	v_fma_f32 v54, v64, v46, -v62
	s_delay_alu instid0(VALU_DEP_3) | instskip(NEXT) | instid1(VALU_DEP_3)
	v_fmac_f32_e32 v68, v65, v46
	v_fmac_f32_e32 v63, v65, v44
	s_waitcnt lgkmcnt(1)
	v_mul_f32_e32 v61, v57, v45
	v_dual_mul_f32 v45, v56, v45 :: v_dual_add_f32 v2, v2, v54
	v_mul_f32_e32 v54, v57, v47
	v_add_f32_e32 v62, v55, v68
	s_delay_alu instid0(VALU_DEP_4) | instskip(NEXT) | instid1(VALU_DEP_4)
	v_fma_f32 v55, v56, v44, -v61
	v_fmac_f32_e32 v45, v57, v44
	v_mul_f32_e32 v61, v56, v47
	v_fma_f32 v44, v56, v46, -v54
	s_waitcnt lgkmcnt(0)
	v_mul_f32_e32 v47, v67, v49
	v_add_f32_e32 v3, v3, v63
	v_dual_add_f32 v56, v52, v55 :: v_dual_add_f32 v1, v1, v45
	v_fmac_f32_e32 v61, v57, v46
	v_add_f32_e32 v57, v53, v44
	v_fma_f32 v63, v66, v48, -v47
	ds_load_2addr_b64 v[44:47], v0 offset0:128 offset1:144
	ds_load_b128 v[52:55], v39 offset:160
	v_dual_mul_f32 v64, v66, v49 :: v_dual_mul_f32 v65, v67, v51
	v_dual_add_f32 v25, v25, v61 :: v_dual_add_f32 v68, v60, v63
	v_mul_f32_e32 v60, v59, v49
	s_delay_alu instid0(VALU_DEP_3) | instskip(NEXT) | instid1(VALU_DEP_4)
	v_fmac_f32_e32 v64, v67, v48
	v_fma_f32 v65, v66, v50, -v65
	v_mul_f32_e32 v49, v58, v49
	v_mul_f32_e32 v61, v66, v51
	s_delay_alu instid0(VALU_DEP_3) | instskip(SKIP_3) | instid1(VALU_DEP_3)
	v_dual_add_f32 v3, v3, v64 :: v_dual_add_f32 v2, v2, v65
	v_fma_f32 v64, v58, v48, -v60
	v_mul_f32_e32 v65, v59, v51
	v_fmac_f32_e32 v49, v59, v48
	v_dual_fmac_f32 v61, v67, v50 :: v_dual_add_f32 v70, v56, v64
	v_mul_f32_e32 v56, v58, v51
	s_delay_alu instid0(VALU_DEP_4)
	v_fma_f32 v48, v58, v50, -v65
	s_waitcnt lgkmcnt(0)
	v_mul_f32_e32 v51, v53, v45
	v_mul_f32_e32 v58, v53, v47
	;; [unrolled: 1-line block ×3, first 2 shown]
	v_dual_fmac_f32 v56, v59, v50 :: v_dual_add_f32 v71, v57, v48
	s_delay_alu instid0(VALU_DEP_4) | instskip(SKIP_2) | instid1(VALU_DEP_4)
	v_fma_f32 v57, v52, v44, -v51
	v_mul_f32_e32 v73, v52, v47
	v_fma_f32 v52, v52, v46, -v58
	v_add_f32_e32 v25, v25, v56
	ds_load_b128 v[64:67], v39 offset:176
	v_add_f32_e32 v68, v68, v57
	ds_load_b128 v[56:59], v39 offset:4272
	;; [unrolled: 2-line block ×3, first 2 shown]
	v_add_f32_e32 v1, v1, v49
	ds_load_2addr_b64 v[48:51], v0 offset0:160 offset1:176
	v_fmac_f32_e32 v72, v53, v44
	v_dual_fmac_f32 v73, v53, v46 :: v_dual_add_f32 v2, v2, v52
	s_delay_alu instid0(VALU_DEP_2) | instskip(NEXT) | instid1(VALU_DEP_2)
	v_add_f32_e32 v3, v3, v72
	v_add_f32_e32 v69, v69, v73
	s_waitcnt lgkmcnt(1)
	v_mul_f32_e32 v74, v61, v45
	v_mul_f32_e32 v45, v60, v45
	;; [unrolled: 1-line block ×3, first 2 shown]
	s_waitcnt lgkmcnt(0)
	v_dual_mul_f32 v72, v60, v47 :: v_dual_mul_f32 v47, v55, v49
	v_fma_f32 v52, v60, v44, -v74
	v_fmac_f32_e32 v45, v61, v44
	v_fma_f32 v44, v60, v46, -v53
	s_delay_alu instid0(VALU_DEP_4) | instskip(NEXT) | instid1(VALU_DEP_3)
	v_dual_fmac_f32 v72, v61, v46 :: v_dual_mul_f32 v53, v54, v49
	v_dual_add_f32 v52, v70, v52 :: v_dual_add_f32 v1, v1, v45
	s_delay_alu instid0(VALU_DEP_3)
	v_add_f32_e32 v60, v71, v44
	v_fma_f32 v61, v54, v48, -v47
	ds_load_2addr_b64 v[44:47], v0 offset0:192 offset1:208
	v_mul_f32_e32 v70, v55, v51
	v_fmac_f32_e32 v53, v55, v48
	v_dual_add_f32 v61, v68, v61 :: v_dual_mul_f32 v68, v54, v51
	s_delay_alu instid0(VALU_DEP_3) | instskip(NEXT) | instid1(VALU_DEP_3)
	v_fma_f32 v54, v54, v50, -v70
	v_add_f32_e32 v3, v3, v53
	v_mul_f32_e32 v53, v63, v49
	s_delay_alu instid0(VALU_DEP_4) | instskip(NEXT) | instid1(VALU_DEP_4)
	v_dual_mul_f32 v49, v62, v49 :: v_dual_fmac_f32 v68, v55, v50
	v_add_f32_e32 v2, v2, v54
	v_mul_f32_e32 v54, v63, v51
	s_delay_alu instid0(VALU_DEP_4) | instskip(NEXT) | instid1(VALU_DEP_4)
	v_fma_f32 v53, v62, v48, -v53
	v_fmac_f32_e32 v49, v63, v48
	v_dual_add_f32 v55, v69, v68 :: v_dual_mul_f32 v68, v62, v51
	s_delay_alu instid0(VALU_DEP_4) | instskip(NEXT) | instid1(VALU_DEP_4)
	v_fma_f32 v48, v62, v50, -v54
	v_add_f32_e32 v52, v52, v53
	s_delay_alu instid0(VALU_DEP_4)
	v_add_f32_e32 v1, v1, v49
	s_waitcnt lgkmcnt(0)
	v_dual_mul_f32 v53, v65, v45 :: v_dual_fmac_f32 v68, v63, v50
	v_add_f32_e32 v54, v60, v48
	ds_load_2addr_b64 v[48:51], v0 offset0:224 offset1:240
	v_mul_f32_e32 v60, v64, v45
	v_fma_f32 v0, v64, v44, -v53
	v_mul_f32_e32 v53, v65, v47
	v_mul_f32_e32 v62, v64, v47
	s_delay_alu instid0(VALU_DEP_4) | instskip(NEXT) | instid1(VALU_DEP_4)
	v_fmac_f32_e32 v60, v65, v44
	v_add_f32_e32 v61, v61, v0
	s_delay_alu instid0(VALU_DEP_4) | instskip(SKIP_3) | instid1(VALU_DEP_4)
	v_fma_f32 v0, v64, v46, -v53
	v_mul_f32_e32 v53, v57, v45
	v_dual_fmac_f32 v62, v65, v46 :: v_dual_mul_f32 v45, v56, v45
	v_add_f32_e32 v3, v3, v60
	v_add_f32_e32 v2, v2, v0
	s_delay_alu instid0(VALU_DEP_4) | instskip(NEXT) | instid1(VALU_DEP_4)
	v_fma_f32 v0, v56, v44, -v53
	v_dual_mul_f32 v53, v57, v47 :: v_dual_add_f32 v60, v55, v62
	v_dual_fmac_f32 v45, v57, v44 :: v_dual_mul_f32 v62, v56, v47
	s_delay_alu instid0(VALU_DEP_3) | instskip(NEXT) | instid1(VALU_DEP_3)
	v_add_f32_e32 v64, v52, v0
	v_fma_f32 v44, v56, v46, -v53
	s_waitcnt lgkmcnt(0)
	v_dual_mul_f32 v47, v67, v49 :: v_dual_add_nc_u32 v0, 0x1800, v38
	v_add_f32_e32 v1, v1, v45
	v_fmac_f32_e32 v62, v57, v46
	v_add_f32_e32 v56, v54, v44
	s_delay_alu instid0(VALU_DEP_4)
	v_fma_f32 v57, v66, v48, -v47
	ds_load_2addr_b64 v[44:47], v0 offset1:16
	ds_load_b128 v[52:55], v39 offset:192
	v_add_f32_e32 v25, v25, v72
	v_mul_f32_e32 v63, v66, v49
	v_mul_f32_e32 v65, v67, v51
	v_add_f32_e32 v57, v61, v57
	s_delay_alu instid0(VALU_DEP_4) | instskip(NEXT) | instid1(VALU_DEP_4)
	v_add_f32_e32 v25, v25, v68
	v_fmac_f32_e32 v63, v67, v48
	s_delay_alu instid0(VALU_DEP_4)
	v_fma_f32 v61, v66, v50, -v65
	v_mul_f32_e32 v65, v59, v49
	v_mul_f32_e32 v49, v58, v49
	v_dual_add_f32 v25, v25, v62 :: v_dual_mul_f32 v62, v66, v51
	v_mul_f32_e32 v66, v59, v51
	v_dual_add_f32 v3, v3, v63 :: v_dual_add_f32 v2, v2, v61
	v_fma_f32 v65, v58, v48, -v65
	s_delay_alu instid0(VALU_DEP_4)
	v_fmac_f32_e32 v62, v67, v50
	v_fmac_f32_e32 v49, v59, v48
	v_fma_f32 v48, v58, v50, -v66
	s_waitcnt lgkmcnt(0)
	v_dual_mul_f32 v58, v58, v51 :: v_dual_mul_f32 v51, v53, v45
	v_add_f32_e32 v68, v60, v62
	ds_load_b128 v[60:63], v39 offset:4288
	v_dual_add_f32 v1, v1, v49 :: v_dual_fmac_f32 v58, v59, v50
	v_add_f32_e32 v71, v56, v48
	v_fma_f32 v56, v52, v44, -v51
	ds_load_2addr_b64 v[48:51], v0 offset0:32 offset1:48
	v_dual_mul_f32 v70, v52, v45 :: v_dual_mul_f32 v59, v53, v47
	v_mul_f32_e32 v73, v52, v47
	v_add_f32_e32 v69, v64, v65
	ds_load_b128 v[64:67], v39 offset:208
	v_fmac_f32_e32 v70, v53, v44
	v_fma_f32 v52, v52, v46, -v59
	v_fmac_f32_e32 v73, v53, v46
	v_add_f32_e32 v25, v25, v58
	s_delay_alu instid0(VALU_DEP_4) | instskip(NEXT) | instid1(VALU_DEP_4)
	v_dual_add_f32 v72, v57, v56 :: v_dual_add_f32 v3, v3, v70
	v_add_f32_e32 v2, v2, v52
	ds_load_b128 v[56:59], v39 offset:4304
	v_add_f32_e32 v68, v68, v73
	s_waitcnt lgkmcnt(3)
	v_mul_f32_e32 v70, v61, v45
	v_dual_mul_f32 v45, v60, v45 :: v_dual_mul_f32 v52, v61, v47
	s_delay_alu instid0(VALU_DEP_2) | instskip(NEXT) | instid1(VALU_DEP_2)
	v_fma_f32 v53, v60, v44, -v70
	v_dual_fmac_f32 v45, v61, v44 :: v_dual_mul_f32 v70, v60, v47
	s_delay_alu instid0(VALU_DEP_3)
	v_fma_f32 v44, v60, v46, -v52
	s_waitcnt lgkmcnt(2)
	v_mul_f32_e32 v47, v55, v49
	v_add_f32_e32 v52, v69, v53
	v_add_f32_e32 v1, v1, v45
	v_dual_fmac_f32 v70, v61, v46 :: v_dual_add_f32 v53, v71, v44
	s_delay_alu instid0(VALU_DEP_4) | instskip(SKIP_3) | instid1(VALU_DEP_2)
	v_fma_f32 v61, v54, v48, -v47
	ds_load_2addr_b64 v[44:47], v0 offset0:64 offset1:80
	v_dual_mul_f32 v60, v54, v49 :: v_dual_mul_f32 v69, v55, v51
	v_dual_add_f32 v25, v25, v70 :: v_dual_mul_f32 v70, v54, v51
	v_dual_add_f32 v61, v72, v61 :: v_dual_fmac_f32 v60, v55, v48
	s_delay_alu instid0(VALU_DEP_3) | instskip(SKIP_1) | instid1(VALU_DEP_4)
	v_fma_f32 v54, v54, v50, -v69
	v_mul_f32_e32 v69, v63, v49
	v_dual_mul_f32 v49, v62, v49 :: v_dual_fmac_f32 v70, v55, v50
	s_delay_alu instid0(VALU_DEP_3) | instskip(NEXT) | instid1(VALU_DEP_3)
	v_dual_add_f32 v3, v3, v60 :: v_dual_add_f32 v2, v2, v54
	v_fma_f32 v54, v62, v48, -v69
	s_delay_alu instid0(VALU_DEP_3) | instskip(SKIP_2) | instid1(VALU_DEP_3)
	v_fmac_f32_e32 v49, v63, v48
	v_mul_f32_e32 v48, v63, v51
	v_dual_mul_f32 v60, v62, v51 :: v_dual_add_f32 v55, v68, v70
	v_dual_add_f32 v52, v52, v54 :: v_dual_add_f32 v1, v1, v49
	s_delay_alu instid0(VALU_DEP_3)
	v_fma_f32 v54, v62, v50, -v48
	s_waitcnt lgkmcnt(0)
	v_mul_f32_e32 v62, v65, v45
	v_fmac_f32_e32 v60, v63, v50
	ds_load_2addr_b64 v[48:51], v0 offset0:96 offset1:112
	v_dual_mul_f32 v68, v64, v47 :: v_dual_add_f32 v53, v53, v54
	v_fma_f32 v54, v64, v44, -v62
	v_mul_f32_e32 v62, v65, v47
	v_add_f32_e32 v25, v25, v60
	s_delay_alu instid0(VALU_DEP_4) | instskip(NEXT) | instid1(VALU_DEP_4)
	v_dual_mul_f32 v63, v64, v45 :: v_dual_fmac_f32 v68, v65, v46
	v_add_f32_e32 v60, v61, v54
	s_delay_alu instid0(VALU_DEP_4)
	v_fma_f32 v54, v64, v46, -v62
	v_mul_f32_e32 v61, v57, v45
	v_mul_f32_e32 v45, v56, v45
	v_fmac_f32_e32 v63, v65, v44
	v_add_f32_e32 v62, v55, v68
	v_add_f32_e32 v2, v2, v54
	v_mul_f32_e32 v54, v57, v47
	v_fma_f32 v55, v56, v44, -v61
	v_fmac_f32_e32 v45, v57, v44
	v_mul_f32_e32 v61, v56, v47
	v_add_f32_e32 v3, v3, v63
	v_fma_f32 v44, v56, v46, -v54
	s_waitcnt lgkmcnt(0)
	v_dual_mul_f32 v47, v67, v49 :: v_dual_add_f32 v56, v52, v55
	v_add_f32_e32 v1, v1, v45
	v_fmac_f32_e32 v61, v57, v46
	v_add_f32_e32 v57, v53, v44
	s_delay_alu instid0(VALU_DEP_4)
	v_fma_f32 v63, v66, v48, -v47
	ds_load_2addr_b64 v[44:47], v0 offset0:128 offset1:144
	ds_load_b128 v[52:55], v39 offset:224
	v_dual_mul_f32 v64, v66, v49 :: v_dual_mul_f32 v65, v67, v51
	v_add_f32_e32 v25, v25, v61
	v_mul_f32_e32 v61, v66, v51
	v_add_f32_e32 v68, v60, v63
	s_delay_alu instid0(VALU_DEP_4) | instskip(SKIP_4) | instid1(VALU_DEP_4)
	v_fmac_f32_e32 v64, v67, v48
	v_fma_f32 v65, v66, v50, -v65
	v_mul_f32_e32 v60, v59, v49
	v_fmac_f32_e32 v61, v67, v50
	v_mul_f32_e32 v49, v58, v49
	v_dual_add_f32 v3, v3, v64 :: v_dual_add_f32 v2, v2, v65
	s_delay_alu instid0(VALU_DEP_4)
	v_fma_f32 v64, v58, v48, -v60
	v_mul_f32_e32 v65, v59, v51
	v_add_f32_e32 v69, v62, v61
	ds_load_b128 v[60:63], v39 offset:4320
	v_fmac_f32_e32 v49, v59, v48
	v_add_f32_e32 v70, v56, v64
	v_mul_f32_e32 v56, v58, v51
	v_fma_f32 v48, v58, v50, -v65
	ds_load_b128 v[64:67], v39 offset:240
	s_waitcnt lgkmcnt(2)
	v_mul_f32_e32 v51, v53, v45
	v_dual_add_f32 v1, v1, v49 :: v_dual_fmac_f32 v56, v59, v50
	v_dual_add_f32 v71, v57, v48 :: v_dual_mul_f32 v72, v52, v45
	s_delay_alu instid0(VALU_DEP_3) | instskip(SKIP_4) | instid1(VALU_DEP_3)
	v_fma_f32 v57, v52, v44, -v51
	ds_load_2addr_b64 v[48:51], v0 offset0:160 offset1:176
	v_mul_f32_e32 v58, v53, v47
	v_dual_mul_f32 v73, v52, v47 :: v_dual_fmac_f32 v72, v53, v44
	v_dual_add_f32 v68, v68, v57 :: v_dual_add_f32 v25, v25, v56
	v_fma_f32 v52, v52, v46, -v58
	s_delay_alu instid0(VALU_DEP_3)
	v_fmac_f32_e32 v73, v53, v46
	s_waitcnt lgkmcnt(2)
	v_mul_f32_e32 v74, v61, v45
	v_mul_f32_e32 v45, v60, v45
	;; [unrolled: 1-line block ×3, first 2 shown]
	v_add_f32_e32 v3, v3, v72
	v_add_f32_e32 v2, v2, v52
	v_fma_f32 v52, v60, v44, -v74
	v_dual_fmac_f32 v45, v61, v44 :: v_dual_mul_f32 v72, v60, v47
	v_fma_f32 v44, v60, v46, -v53
	ds_load_b128 v[56:59], v39 offset:4336
	v_dual_add_f32 v52, v70, v52 :: v_dual_add_f32 v1, v1, v45
	s_waitcnt lgkmcnt(1)
	v_dual_mul_f32 v47, v55, v49 :: v_dual_fmac_f32 v72, v61, v46
	v_dual_mul_f32 v53, v54, v49 :: v_dual_add_f32 v60, v71, v44
	v_mul_f32_e32 v70, v55, v51
	s_delay_alu instid0(VALU_DEP_3)
	v_fma_f32 v61, v54, v48, -v47
	ds_load_2addr_b64 v[44:47], v0 offset0:192 offset1:208
	v_fmac_f32_e32 v53, v55, v48
	v_add_f32_e32 v25, v25, v72
	v_add_f32_e32 v69, v69, v73
	v_dual_add_f32 v61, v68, v61 :: v_dual_mul_f32 v68, v54, v51
	v_fma_f32 v54, v54, v50, -v70
	v_add_f32_e32 v53, v3, v53
	v_mul_f32_e32 v3, v63, v49
	s_delay_alu instid0(VALU_DEP_4) | instskip(NEXT) | instid1(VALU_DEP_4)
	v_dual_mul_f32 v49, v62, v49 :: v_dual_fmac_f32 v68, v55, v50
	v_add_f32_e32 v54, v2, v54
	v_mul_f32_e32 v2, v63, v51
	s_delay_alu instid0(VALU_DEP_4) | instskip(NEXT) | instid1(VALU_DEP_4)
	v_fma_f32 v3, v62, v48, -v3
	v_fmac_f32_e32 v49, v63, v48
	v_dual_mul_f32 v51, v62, v51 :: v_dual_add_f32 v48, v69, v68
	s_delay_alu instid0(VALU_DEP_4) | instskip(NEXT) | instid1(VALU_DEP_3)
	v_fma_f32 v2, v62, v50, -v2
	v_dual_add_f32 v52, v52, v3 :: v_dual_add_f32 v49, v1, v49
	s_waitcnt lgkmcnt(0)
	v_mul_f32_e32 v55, v65, v45
	v_fmac_f32_e32 v51, v63, v50
	v_add_f32_e32 v50, v60, v2
	ds_load_2addr_b64 v[0:3], v0 offset0:224 offset1:240
	v_mul_f32_e32 v60, v64, v45
	v_fma_f32 v55, v64, v44, -v55
	v_add_f32_e32 v25, v25, v51
	v_mul_f32_e32 v51, v65, v47
	v_mul_f32_e32 v62, v64, v47
	v_fmac_f32_e32 v60, v65, v44
	v_add_f32_e32 v55, v61, v55
	v_mul_f32_e32 v61, v57, v45
	v_fma_f32 v51, v64, v46, -v51
	v_mul_f32_e32 v45, v56, v45
	v_add_f32_e32 v53, v53, v60
	v_fmac_f32_e32 v62, v65, v46
	v_fma_f32 v60, v56, v44, -v61
	v_add_f32_e32 v51, v54, v51
	v_mul_f32_e32 v54, v57, v47
	v_fmac_f32_e32 v45, v57, v44
	v_mul_f32_e32 v47, v56, v47
	v_add_f32_e32 v44, v52, v60
	v_add_f32_e32 v48, v48, v62
	v_fma_f32 v52, v56, v46, -v54
	s_waitcnt lgkmcnt(0)
	v_mul_f32_e32 v54, v67, v1
	v_mul_f32_e32 v56, v66, v1
	v_add_f32_e32 v60, v49, v45
	v_dual_fmac_f32 v47, v57, v46 :: v_dual_mul_f32 v46, v67, v3
	s_delay_alu instid0(VALU_DEP_4) | instskip(NEXT) | instid1(VALU_DEP_4)
	v_fma_f32 v45, v66, v0, -v54
	v_fmac_f32_e32 v56, v67, v0
	v_add_f32_e32 v52, v50, v52
	v_mul_f32_e32 v54, v66, v3
	v_add_f32_e32 v25, v25, v47
	s_delay_alu instid0(VALU_DEP_4)
	v_dual_add_f32 v49, v55, v45 :: v_dual_add_f32 v50, v53, v56
	v_fma_f32 v45, v66, v2, -v46
	v_mul_f32_e32 v46, v59, v1
	v_mul_f32_e32 v1, v58, v1
	;; [unrolled: 1-line block ×3, first 2 shown]
	v_dual_mul_f32 v3, v58, v3 :: v_dual_fmac_f32 v54, v67, v2
	v_add_f32_e32 v47, v51, v45
	v_fma_f32 v45, v58, v0, -v46
	v_fmac_f32_e32 v1, v59, v0
	v_fma_f32 v0, v58, v2, -v53
	v_fmac_f32_e32 v3, v59, v2
	v_add_f32_e32 v48, v48, v54
	v_add_f32_e32 v45, v44, v45
	;; [unrolled: 1-line block ×3, first 2 shown]
	s_delay_alu instid0(VALU_DEP_4)
	v_dual_add_f32 v44, v52, v0 :: v_dual_add_f32 v25, v25, v3
	s_barrier
	buffer_gl0_inv
	s_cbranch_scc1 .LBB72_55
.LBB72_7:                               ;   Parent Loop BB72_4 Depth=1
                                        ; =>  This Inner Loop Header: Depth=2
	v_add_co_u32 v0, s5, v36, s20
	s_delay_alu instid0(VALU_DEP_1) | instskip(SKIP_1) | instid1(VALU_DEP_2)
	v_add_co_ci_u32_e64 v1, null, 0, s21, s5
	v_cmp_eq_u64_e64 s7, s[20:21], v[16:17]
	v_cmp_le_i64_e64 s6, s[12:13], v[0:1]
	v_cmp_gt_i64_e64 s5, v[0:1], v[4:5]
	s_delay_alu instid0(VALU_DEP_3) | instskip(NEXT) | instid1(VALU_DEP_1)
	s_and_b32 s24, s44, s7
	s_or_b32 s7, s6, s5
	s_delay_alu instid0(SALU_CYCLE_1) | instskip(SKIP_1) | instid1(VALU_DEP_1)
	s_or_b32 s8, s7, s24
	v_add_co_u32 v2, s7, v34, v26
	v_add_co_ci_u32_e64 v3, s7, v35, v27, s7
	s_or_b32 s7, s0, s8
	s_delay_alu instid0(SALU_CYCLE_1) | instskip(NEXT) | instid1(SALU_CYCLE_1)
	s_xor_b32 s7, s7, -1
	s_and_saveexec_b32 s8, s7
	s_delay_alu instid0(SALU_CYCLE_1)
	s_xor_b32 s7, exec_lo, s8
	s_cbranch_execz .LBB72_9
; %bb.8:                                ;   in Loop: Header=BB72_7 Depth=2
	global_load_b64 v[51:52], v[2:3], off
	s_waitcnt vmcnt(0)
	ds_store_b64 v40, v[51:52]
.LBB72_9:                               ;   in Loop: Header=BB72_7 Depth=2
	s_or_saveexec_b32 s7, s7
	s_xor_b32 s15, s24, -1
	s_xor_b32 exec_lo, exec_lo, s7
	s_cbranch_execz .LBB72_15
; %bb.10:                               ;   in Loop: Header=BB72_7 Depth=2
	s_and_saveexec_b32 s8, s15
	s_delay_alu instid0(SALU_CYCLE_1)
	s_xor_b32 s8, exec_lo, s8
	s_cbranch_execz .LBB72_12
; %bb.11:                               ;   in Loop: Header=BB72_7 Depth=2
	v_mov_b32_e32 v51, v7
	v_mov_b32_e32 v52, v7
	ds_store_b64 v40, v[51:52]
.LBB72_12:                              ;   in Loop: Header=BB72_7 Depth=2
	s_and_not1_saveexec_b32 s8, s8
	s_cbranch_execz .LBB72_14
; %bb.13:                               ;   in Loop: Header=BB72_7 Depth=2
	ds_store_b64 v40, v[6:7]
.LBB72_14:                              ;   in Loop: Header=BB72_7 Depth=2
	s_or_b32 exec_lo, exec_lo, s8
.LBB72_15:                              ;   in Loop: Header=BB72_7 Depth=2
	s_delay_alu instid0(SALU_CYCLE_1) | instskip(SKIP_2) | instid1(VALU_DEP_2)
	s_or_b32 exec_lo, exec_lo, s7
	v_cmp_eq_u64_e64 s7, s[20:21], v[18:19]
	v_cmp_lt_i64_e64 s8, v[10:11], v[0:1]
	s_and_b32 s7, s44, s7
	s_delay_alu instid0(VALU_DEP_1) | instskip(NEXT) | instid1(SALU_CYCLE_1)
	s_or_b32 s6, s6, s8
	s_or_b32 s6, s6, s7
	s_delay_alu instid0(SALU_CYCLE_1) | instskip(NEXT) | instid1(SALU_CYCLE_1)
	s_or_b32 s6, s1, s6
	s_xor_b32 s6, s6, -1
	s_delay_alu instid0(SALU_CYCLE_1) | instskip(NEXT) | instid1(SALU_CYCLE_1)
	s_and_saveexec_b32 s8, s6
	s_xor_b32 s6, exec_lo, s8
	s_cbranch_execz .LBB72_17
; %bb.16:                               ;   in Loop: Header=BB72_7 Depth=2
	global_load_b64 v[2:3], v[2:3], off offset:128
	s_waitcnt vmcnt(0)
	ds_store_b64 v40, v[2:3] offset:128
.LBB72_17:                              ;   in Loop: Header=BB72_7 Depth=2
	s_and_not1_saveexec_b32 s6, s6
	s_cbranch_execz .LBB72_23
; %bb.18:                               ;   in Loop: Header=BB72_7 Depth=2
	s_xor_b32 s7, s7, -1
	s_delay_alu instid0(SALU_CYCLE_1) | instskip(NEXT) | instid1(SALU_CYCLE_1)
	s_and_saveexec_b32 s8, s7
	s_xor_b32 s7, exec_lo, s8
	s_cbranch_execz .LBB72_20
; %bb.19:                               ;   in Loop: Header=BB72_7 Depth=2
	v_mov_b32_e32 v2, v7
	v_mov_b32_e32 v3, v7
	ds_store_b64 v40, v[2:3] offset:128
.LBB72_20:                              ;   in Loop: Header=BB72_7 Depth=2
	s_and_not1_saveexec_b32 s7, s7
	s_cbranch_execz .LBB72_22
; %bb.21:                               ;   in Loop: Header=BB72_7 Depth=2
	ds_store_b64 v40, v[6:7] offset:128
.LBB72_22:                              ;   in Loop: Header=BB72_7 Depth=2
	s_or_b32 exec_lo, exec_lo, s7
.LBB72_23:                              ;   in Loop: Header=BB72_7 Depth=2
	s_delay_alu instid0(SALU_CYCLE_1) | instskip(SKIP_1) | instid1(VALU_DEP_1)
	s_or_b32 exec_lo, exec_lo, s6
	v_add_co_u32 v0, s6, v0, 16
	v_add_co_ci_u32_e64 v1, s6, 0, v1, s6
	v_cmp_eq_u64_e64 s7, s[20:21], v[20:21]
	s_delay_alu instid0(VALU_DEP_2) | instskip(SKIP_1) | instid1(VALU_DEP_3)
	v_cmp_le_i64_e64 s6, s[12:13], v[0:1]
	v_cmp_gt_i64_e64 s8, v[0:1], v[4:5]
	s_and_b32 s25, s44, s7
	s_delay_alu instid0(VALU_DEP_1) | instskip(NEXT) | instid1(SALU_CYCLE_1)
	s_or_b32 s7, s6, s8
	s_or_b32 s7, s7, s25
	s_delay_alu instid0(SALU_CYCLE_1) | instskip(NEXT) | instid1(SALU_CYCLE_1)
	s_or_b32 s7, s0, s7
	s_xor_b32 s7, s7, -1
	s_delay_alu instid0(SALU_CYCLE_1) | instskip(NEXT) | instid1(SALU_CYCLE_1)
	s_and_saveexec_b32 s8, s7
	s_xor_b32 s8, exec_lo, s8
	s_cbranch_execz .LBB72_25
; %bb.24:                               ;   in Loop: Header=BB72_7 Depth=2
	v_add_co_u32 v0, s7, v32, v26
	s_delay_alu instid0(VALU_DEP_1)
	v_add_co_ci_u32_e64 v1, s7, v33, v27, s7
	global_load_b64 v[0:1], v[0:1], off
	s_waitcnt vmcnt(0)
	ds_store_b64 v40, v[0:1] offset:4096
.LBB72_25:                              ;   in Loop: Header=BB72_7 Depth=2
	s_and_not1_saveexec_b32 s7, s8
	s_cbranch_execz .LBB72_31
; %bb.26:                               ;   in Loop: Header=BB72_7 Depth=2
	s_xor_b32 s8, s25, -1
	s_delay_alu instid0(SALU_CYCLE_1) | instskip(NEXT) | instid1(SALU_CYCLE_1)
	s_and_saveexec_b32 s25, s8
	s_xor_b32 s8, exec_lo, s25
	s_cbranch_execz .LBB72_28
; %bb.27:                               ;   in Loop: Header=BB72_7 Depth=2
	v_mov_b32_e32 v0, v7
	v_mov_b32_e32 v1, v7
	ds_store_b64 v40, v[0:1] offset:4096
.LBB72_28:                              ;   in Loop: Header=BB72_7 Depth=2
	s_and_not1_saveexec_b32 s8, s8
	s_cbranch_execz .LBB72_30
; %bb.29:                               ;   in Loop: Header=BB72_7 Depth=2
	ds_store_b64 v40, v[6:7] offset:4096
.LBB72_30:                              ;   in Loop: Header=BB72_7 Depth=2
	s_or_b32 exec_lo, exec_lo, s8
.LBB72_31:                              ;   in Loop: Header=BB72_7 Depth=2
	s_delay_alu instid0(SALU_CYCLE_1) | instskip(SKIP_1) | instid1(SALU_CYCLE_1)
	s_or_b32 exec_lo, exec_lo, s7
	s_or_b32 s5, s6, s5
	s_or_b32 s5, s5, s24
	s_delay_alu instid0(SALU_CYCLE_1) | instskip(NEXT) | instid1(SALU_CYCLE_1)
	s_or_b32 s5, s1, s5
	s_xor_b32 s5, s5, -1
	s_delay_alu instid0(SALU_CYCLE_1) | instskip(NEXT) | instid1(SALU_CYCLE_1)
	s_and_saveexec_b32 s6, s5
	s_xor_b32 s6, exec_lo, s6
	s_cbranch_execz .LBB72_33
; %bb.32:                               ;   in Loop: Header=BB72_7 Depth=2
	v_add_co_u32 v0, s5, v32, v26
	s_delay_alu instid0(VALU_DEP_1)
	v_add_co_ci_u32_e64 v1, s5, v33, v27, s5
	global_load_b64 v[0:1], v[0:1], off offset:128
	s_waitcnt vmcnt(0)
	ds_store_b64 v40, v[0:1] offset:4224
.LBB72_33:                              ;   in Loop: Header=BB72_7 Depth=2
	s_and_not1_saveexec_b32 s5, s6
	s_cbranch_execz .LBB72_39
; %bb.34:                               ;   in Loop: Header=BB72_7 Depth=2
	s_and_saveexec_b32 s6, s15
	s_delay_alu instid0(SALU_CYCLE_1)
	s_xor_b32 s6, exec_lo, s6
	s_cbranch_execz .LBB72_36
; %bb.35:                               ;   in Loop: Header=BB72_7 Depth=2
	v_mov_b32_e32 v0, v7
	v_mov_b32_e32 v1, v7
	ds_store_b64 v40, v[0:1] offset:4224
.LBB72_36:                              ;   in Loop: Header=BB72_7 Depth=2
	s_and_not1_saveexec_b32 s6, s6
	s_cbranch_execz .LBB72_38
; %bb.37:                               ;   in Loop: Header=BB72_7 Depth=2
	ds_store_b64 v40, v[6:7] offset:4224
.LBB72_38:                              ;   in Loop: Header=BB72_7 Depth=2
	s_or_b32 exec_lo, exec_lo, s6
.LBB72_39:                              ;   in Loop: Header=BB72_7 Depth=2
	s_delay_alu instid0(SALU_CYCLE_1) | instskip(SKIP_1) | instid1(VALU_DEP_1)
	s_or_b32 exec_lo, exec_lo, s5
	v_add_co_u32 v0, s5, v37, s20
	v_add_co_ci_u32_e64 v1, null, 0, s21, s5
	s_delay_alu instid0(VALU_DEP_1) | instskip(NEXT) | instid1(VALU_DEP_1)
	v_cmp_gt_i64_e64 s5, s[12:13], v[0:1]
	s_and_b32 s6, vcc_lo, s5
	s_delay_alu instid0(SALU_CYCLE_1) | instskip(NEXT) | instid1(SALU_CYCLE_1)
	s_xor_b32 s6, s6, -1
	s_and_saveexec_b32 s7, s6
	s_delay_alu instid0(SALU_CYCLE_1)
	s_xor_b32 s6, exec_lo, s7
	s_cbranch_execz .LBB72_41
; %bb.40:                               ;   in Loop: Header=BB72_7 Depth=2
	v_mov_b32_e32 v2, v7
	v_mov_b32_e32 v3, v7
	ds_store_b64 v41, v[2:3]
.LBB72_41:                              ;   in Loop: Header=BB72_7 Depth=2
	s_and_not1_saveexec_b32 s6, s6
	s_cbranch_execz .LBB72_43
; %bb.42:                               ;   in Loop: Header=BB72_7 Depth=2
	global_load_b64 v[2:3], v[28:29], off offset:-128
	s_waitcnt vmcnt(0)
	ds_store_b64 v41, v[2:3]
.LBB72_43:                              ;   in Loop: Header=BB72_7 Depth=2
	s_or_b32 exec_lo, exec_lo, s6
	v_cmp_gt_i64_e64 s6, s[22:23], v[0:1]
	s_delay_alu instid0(VALU_DEP_1) | instskip(NEXT) | instid1(SALU_CYCLE_1)
	s_and_b32 s7, vcc_lo, s6
	s_xor_b32 s7, s7, -1
	s_delay_alu instid0(SALU_CYCLE_1) | instskip(NEXT) | instid1(SALU_CYCLE_1)
	s_and_saveexec_b32 s8, s7
	s_xor_b32 s7, exec_lo, s8
	s_cbranch_execz .LBB72_45
; %bb.44:                               ;   in Loop: Header=BB72_7 Depth=2
	v_mov_b32_e32 v0, v7
	v_mov_b32_e32 v1, v7
	ds_store_b64 v41, v[0:1] offset:128
.LBB72_45:                              ;   in Loop: Header=BB72_7 Depth=2
	s_and_not1_saveexec_b32 s7, s7
	s_cbranch_execz .LBB72_47
; %bb.46:                               ;   in Loop: Header=BB72_7 Depth=2
	global_load_b64 v[0:1], v[28:29], off
	s_waitcnt vmcnt(0)
	ds_store_b64 v41, v[0:1] offset:128
.LBB72_47:                              ;   in Loop: Header=BB72_7 Depth=2
	s_or_b32 exec_lo, exec_lo, s7
	s_and_b32 s5, s4, s5
	s_delay_alu instid0(SALU_CYCLE_1) | instskip(NEXT) | instid1(SALU_CYCLE_1)
	s_xor_b32 s5, s5, -1
	s_and_saveexec_b32 s7, s5
	s_delay_alu instid0(SALU_CYCLE_1)
	s_xor_b32 s5, exec_lo, s7
	s_cbranch_execz .LBB72_49
; %bb.48:                               ;   in Loop: Header=BB72_7 Depth=2
	v_mov_b32_e32 v0, v7
	v_mov_b32_e32 v1, v7
	ds_store_b64 v41, v[0:1] offset:4096
.LBB72_49:                              ;   in Loop: Header=BB72_7 Depth=2
	s_and_not1_saveexec_b32 s5, s5
	s_cbranch_execz .LBB72_51
; %bb.50:                               ;   in Loop: Header=BB72_7 Depth=2
	global_load_b64 v[0:1], v[30:31], off offset:-128
	s_waitcnt vmcnt(0)
	ds_store_b64 v41, v[0:1] offset:4096
.LBB72_51:                              ;   in Loop: Header=BB72_7 Depth=2
	s_or_b32 exec_lo, exec_lo, s5
	s_and_b32 s5, s4, s6
	s_delay_alu instid0(SALU_CYCLE_1) | instskip(NEXT) | instid1(SALU_CYCLE_1)
	s_xor_b32 s5, s5, -1
	s_and_saveexec_b32 s6, s5
	s_delay_alu instid0(SALU_CYCLE_1)
	s_xor_b32 s5, exec_lo, s6
	s_cbranch_execz .LBB72_53
; %bb.52:                               ;   in Loop: Header=BB72_7 Depth=2
	v_mov_b32_e32 v0, v7
	v_mov_b32_e32 v1, v7
	ds_store_b64 v41, v[0:1] offset:4224
.LBB72_53:                              ;   in Loop: Header=BB72_7 Depth=2
	s_and_not1_saveexec_b32 s5, s5
	s_cbranch_execz .LBB72_6
; %bb.54:                               ;   in Loop: Header=BB72_7 Depth=2
	global_load_b64 v[0:1], v[30:31], off
	s_waitcnt vmcnt(0)
	ds_store_b64 v41, v[0:1] offset:4224
	s_branch .LBB72_6
.LBB72_55:                              ;   in Loop: Header=BB72_4 Depth=1
	v_mul_lo_u32 v2, v43, s16
	v_mul_lo_u32 v3, v42, s17
	v_mad_u64_u32 v[0:1], null, v42, s16, 0
	v_cmp_gt_i32_e32 vcc_lo, s10, v42
	s_delay_alu instid0(VALU_DEP_2) | instskip(NEXT) | instid1(VALU_DEP_1)
	v_add3_u32 v1, v1, v3, v2
	v_lshlrev_b64 v[0:1], 3, v[0:1]
	s_delay_alu instid0(VALU_DEP_1) | instskip(NEXT) | instid1(VALU_DEP_1)
	v_add_co_u32 v0, s4, s40, v0
	v_add_co_ci_u32_e64 v1, s4, s41, v1, s4
	s_and_b32 s4, s2, vcc_lo
	s_delay_alu instid0(SALU_CYCLE_1)
	s_and_saveexec_b32 s5, s4
	s_cbranch_execz .LBB72_57
; %bb.56:                               ;   in Loop: Header=BB72_4 Depth=1
	v_add_co_u32 v2, s4, v0, v26
	s_delay_alu instid0(VALU_DEP_1)
	v_add_co_ci_u32_e64 v3, s4, v1, v27, s4
	v_mul_f32_e32 v31, s34, v50
	v_mul_f32_e32 v30, s35, v50
	global_load_b64 v[28:29], v[2:3], off
	v_fmac_f32_e32 v31, s35, v49
	v_fma_f32 v30, v49, s34, -v30
	s_waitcnt vmcnt(0)
	s_delay_alu instid0(VALU_DEP_1)
	v_dual_add_f32 v28, v28, v30 :: v_dual_add_f32 v29, v29, v31
	global_store_b64 v[2:3], v[28:29], off
.LBB72_57:                              ;   in Loop: Header=BB72_4 Depth=1
	s_or_b32 exec_lo, exec_lo, s5
	s_and_b32 s5, s3, vcc_lo
	s_delay_alu instid0(SALU_CYCLE_1)
	s_and_saveexec_b32 s4, s5
	s_cbranch_execz .LBB72_59
; %bb.58:                               ;   in Loop: Header=BB72_4 Depth=1
	v_lshlrev_b64 v[2:3], 3, v[12:13]
	v_mul_f32_e32 v29, s34, v48
	s_delay_alu instid0(VALU_DEP_1) | instskip(NEXT) | instid1(VALU_DEP_3)
	v_dual_mul_f32 v28, s35, v48 :: v_dual_fmac_f32 v29, s35, v47
	v_add_co_u32 v0, vcc_lo, v0, v2
	s_delay_alu instid0(VALU_DEP_4) | instskip(NEXT) | instid1(VALU_DEP_3)
	v_add_co_ci_u32_e32 v1, vcc_lo, v1, v3, vcc_lo
	v_fma_f32 v28, v47, s34, -v28
	global_load_b64 v[2:3], v[0:1], off
	s_waitcnt vmcnt(0)
	v_dual_add_f32 v2, v2, v28 :: v_dual_add_f32 v3, v3, v29
	global_store_b64 v[0:1], v[2:3], off
.LBB72_59:                              ;   in Loop: Header=BB72_4 Depth=1
	s_or_b32 exec_lo, exec_lo, s4
	v_add_nc_u32_e32 v2, 16, v42
	s_delay_alu instid0(VALU_DEP_1) | instskip(SKIP_3) | instid1(VALU_DEP_4)
	v_ashrrev_i32_e32 v3, 31, v2
	v_mul_lo_u32 v28, v2, s17
	v_mad_u64_u32 v[0:1], null, v2, s16, 0
	v_cmp_gt_i32_e32 vcc_lo, s10, v2
	v_mul_lo_u32 v3, v3, s16
	s_delay_alu instid0(VALU_DEP_1) | instskip(NEXT) | instid1(VALU_DEP_1)
	v_add3_u32 v1, v1, v28, v3
	v_lshlrev_b64 v[0:1], 3, v[0:1]
	s_delay_alu instid0(VALU_DEP_1) | instskip(NEXT) | instid1(VALU_DEP_1)
	v_add_co_u32 v0, s4, s40, v0
	v_add_co_ci_u32_e64 v1, s4, s41, v1, s4
	s_and_b32 s4, s2, vcc_lo
	s_delay_alu instid0(SALU_CYCLE_1)
	s_and_saveexec_b32 s5, s4
	s_cbranch_execz .LBB72_61
; %bb.60:                               ;   in Loop: Header=BB72_4 Depth=1
	v_add_co_u32 v2, s4, v0, v26
	s_delay_alu instid0(VALU_DEP_1)
	v_add_co_ci_u32_e64 v3, s4, v1, v27, s4
	v_mul_f32_e32 v31, s34, v46
	v_mul_f32_e32 v30, s35, v46
	global_load_b64 v[28:29], v[2:3], off
	v_fmac_f32_e32 v31, s35, v45
	v_fma_f32 v30, v45, s34, -v30
	s_waitcnt vmcnt(0)
	s_delay_alu instid0(VALU_DEP_1)
	v_dual_add_f32 v28, v28, v30 :: v_dual_add_f32 v29, v29, v31
	global_store_b64 v[2:3], v[28:29], off
.LBB72_61:                              ;   in Loop: Header=BB72_4 Depth=1
	s_or_b32 exec_lo, exec_lo, s5
	s_and_b32 s5, s3, vcc_lo
	s_delay_alu instid0(SALU_CYCLE_1)
	s_and_saveexec_b32 s4, s5
	s_cbranch_execz .LBB72_3
; %bb.62:                               ;   in Loop: Header=BB72_4 Depth=1
	v_lshlrev_b64 v[2:3], 3, v[12:13]
	v_mul_f32_e32 v28, s35, v25
	s_delay_alu instid0(VALU_DEP_2) | instskip(NEXT) | instid1(VALU_DEP_3)
	v_add_co_u32 v0, vcc_lo, v0, v2
	v_add_co_ci_u32_e32 v1, vcc_lo, v1, v3, vcc_lo
	global_load_b64 v[2:3], v[0:1], off
	v_mul_f32_e32 v25, s34, v25
	s_delay_alu instid0(VALU_DEP_1) | instskip(SKIP_2) | instid1(VALU_DEP_1)
	v_fmac_f32_e32 v25, s35, v44
	v_fma_f32 v28, v44, s34, -v28
	s_waitcnt vmcnt(0)
	v_dual_add_f32 v2, v2, v28 :: v_dual_add_f32 v3, v3, v25
	global_store_b64 v[0:1], v[2:3], off
	s_branch .LBB72_3
.LBB72_63:
	s_nop 0
	s_sendmsg sendmsg(MSG_DEALLOC_VGPRS)
	s_endpgm
	.section	.rodata,"a",@progbits
	.p2align	6, 0x0
	.amdhsa_kernel _ZL30rocblas_trmm_outofplace_kernelI19rocblas_complex_numIfELi32ELi2ELb1ELb0ELb0ELb0EPKS1_S2_S1_Ev17rocblas_diagonal_iiT6_lPT7_lllS7_lllPT8_llli
		.amdhsa_group_segment_fixed_size 16384
		.amdhsa_private_segment_fixed_size 0
		.amdhsa_kernarg_size 392
		.amdhsa_user_sgpr_count 13
		.amdhsa_user_sgpr_dispatch_ptr 0
		.amdhsa_user_sgpr_queue_ptr 0
		.amdhsa_user_sgpr_kernarg_segment_ptr 1
		.amdhsa_user_sgpr_dispatch_id 0
		.amdhsa_user_sgpr_private_segment_size 0
		.amdhsa_wavefront_size32 1
		.amdhsa_uses_dynamic_stack 0
		.amdhsa_enable_private_segment 0
		.amdhsa_system_sgpr_workgroup_id_x 1
		.amdhsa_system_sgpr_workgroup_id_y 1
		.amdhsa_system_sgpr_workgroup_id_z 1
		.amdhsa_system_sgpr_workgroup_info 0
		.amdhsa_system_vgpr_workitem_id 1
		.amdhsa_next_free_vgpr 85
		.amdhsa_next_free_sgpr 46
		.amdhsa_reserve_vcc 1
		.amdhsa_float_round_mode_32 0
		.amdhsa_float_round_mode_16_64 0
		.amdhsa_float_denorm_mode_32 3
		.amdhsa_float_denorm_mode_16_64 3
		.amdhsa_dx10_clamp 1
		.amdhsa_ieee_mode 1
		.amdhsa_fp16_overflow 0
		.amdhsa_workgroup_processor_mode 1
		.amdhsa_memory_ordered 1
		.amdhsa_forward_progress 0
		.amdhsa_shared_vgpr_count 0
		.amdhsa_exception_fp_ieee_invalid_op 0
		.amdhsa_exception_fp_denorm_src 0
		.amdhsa_exception_fp_ieee_div_zero 0
		.amdhsa_exception_fp_ieee_overflow 0
		.amdhsa_exception_fp_ieee_underflow 0
		.amdhsa_exception_fp_ieee_inexact 0
		.amdhsa_exception_int_div_zero 0
	.end_amdhsa_kernel
	.section	.text._ZL30rocblas_trmm_outofplace_kernelI19rocblas_complex_numIfELi32ELi2ELb1ELb0ELb0ELb0EPKS1_S2_S1_Ev17rocblas_diagonal_iiT6_lPT7_lllS7_lllPT8_llli,"axG",@progbits,_ZL30rocblas_trmm_outofplace_kernelI19rocblas_complex_numIfELi32ELi2ELb1ELb0ELb0ELb0EPKS1_S2_S1_Ev17rocblas_diagonal_iiT6_lPT7_lllS7_lllPT8_llli,comdat
.Lfunc_end72:
	.size	_ZL30rocblas_trmm_outofplace_kernelI19rocblas_complex_numIfELi32ELi2ELb1ELb0ELb0ELb0EPKS1_S2_S1_Ev17rocblas_diagonal_iiT6_lPT7_lllS7_lllPT8_llli, .Lfunc_end72-_ZL30rocblas_trmm_outofplace_kernelI19rocblas_complex_numIfELi32ELi2ELb1ELb0ELb0ELb0EPKS1_S2_S1_Ev17rocblas_diagonal_iiT6_lPT7_lllS7_lllPT8_llli
                                        ; -- End function
	.section	.AMDGPU.csdata,"",@progbits
; Kernel info:
; codeLenInByte = 7348
; NumSgprs: 48
; NumVgprs: 85
; ScratchSize: 0
; MemoryBound: 1
; FloatMode: 240
; IeeeMode: 1
; LDSByteSize: 16384 bytes/workgroup (compile time only)
; SGPRBlocks: 5
; VGPRBlocks: 10
; NumSGPRsForWavesPerEU: 48
; NumVGPRsForWavesPerEU: 85
; Occupancy: 16
; WaveLimiterHint : 0
; COMPUTE_PGM_RSRC2:SCRATCH_EN: 0
; COMPUTE_PGM_RSRC2:USER_SGPR: 13
; COMPUTE_PGM_RSRC2:TRAP_HANDLER: 0
; COMPUTE_PGM_RSRC2:TGID_X_EN: 1
; COMPUTE_PGM_RSRC2:TGID_Y_EN: 1
; COMPUTE_PGM_RSRC2:TGID_Z_EN: 1
; COMPUTE_PGM_RSRC2:TIDIG_COMP_CNT: 1
	.section	.text._ZL30rocblas_trmm_outofplace_kernelI19rocblas_complex_numIfELi32ELi2ELb1ELb0ELb0ELb0ES1_KS1_S1_Ev17rocblas_diagonal_iiT6_lPT7_lllS6_lllPT8_llli,"axG",@progbits,_ZL30rocblas_trmm_outofplace_kernelI19rocblas_complex_numIfELi32ELi2ELb1ELb0ELb0ELb0ES1_KS1_S1_Ev17rocblas_diagonal_iiT6_lPT7_lllS6_lllPT8_llli,comdat
	.globl	_ZL30rocblas_trmm_outofplace_kernelI19rocblas_complex_numIfELi32ELi2ELb1ELb0ELb0ELb0ES1_KS1_S1_Ev17rocblas_diagonal_iiT6_lPT7_lllS6_lllPT8_llli ; -- Begin function _ZL30rocblas_trmm_outofplace_kernelI19rocblas_complex_numIfELi32ELi2ELb1ELb0ELb0ELb0ES1_KS1_S1_Ev17rocblas_diagonal_iiT6_lPT7_lllS6_lllPT8_llli
	.p2align	8
	.type	_ZL30rocblas_trmm_outofplace_kernelI19rocblas_complex_numIfELi32ELi2ELb1ELb0ELb0ELb0ES1_KS1_S1_Ev17rocblas_diagonal_iiT6_lPT7_lllS6_lllPT8_llli,@function
_ZL30rocblas_trmm_outofplace_kernelI19rocblas_complex_numIfELi32ELi2ELb1ELb0ELb0ELb0ES1_KS1_S1_Ev17rocblas_diagonal_iiT6_lPT7_lllS6_lllPT8_llli: ; @_ZL30rocblas_trmm_outofplace_kernelI19rocblas_complex_numIfELi32ELi2ELb1ELb0ELb0ELb0ES1_KS1_S1_Ev17rocblas_diagonal_iiT6_lPT7_lllS6_lllPT8_llli
; %bb.0:
	s_clause 0x1
	s_load_b128 s[8:11], s[0:1], 0x0
	s_load_b32 s33, s[0:1], 0x10
	s_waitcnt lgkmcnt(0)
	s_or_b32 s2, s11, s33
	s_delay_alu instid0(SALU_CYCLE_1) | instskip(NEXT) | instid1(SALU_CYCLE_1)
	s_bitset0_b32 s2, 31
	s_cmp_eq_u32 s2, 0
	s_cbranch_scc1 .LBB73_63
; %bb.1:
	s_add_i32 s2, s10, -1
	s_delay_alu instid0(SALU_CYCLE_1) | instskip(NEXT) | instid1(SALU_CYCLE_1)
	s_ashr_i32 s3, s2, 31
	s_lshr_b32 s3, s3, 27
	s_delay_alu instid0(SALU_CYCLE_1) | instskip(NEXT) | instid1(SALU_CYCLE_1)
	s_add_i32 s2, s2, s3
	s_ashr_i32 s34, s2, 5
	s_delay_alu instid0(SALU_CYCLE_1)
	s_cmp_gt_i32 s14, s34
	s_cbranch_scc1 .LBB73_63
; %bb.2:
	s_clause 0x1
	s_load_b512 s[16:31], s[0:1], 0x20
	s_load_b256 s[36:43], s[0:1], 0x60
	v_bfe_u32 v36, v0, 10, 10
	v_and_b32_e32 v37, 0x3ff, v0
	s_mov_b32 s12, s9
	s_delay_alu instid0(VALU_DEP_2) | instskip(SKIP_1) | instid1(VALU_DEP_2)
	v_dual_mov_b32 v5, 0 :: v_dual_lshlrev_b32 v4, 8, v36
	v_lshl_add_u32 v24, s14, 5, v36
	v_add_nc_u32_e32 v39, 0x2000, v4
	s_waitcnt lgkmcnt(0)
	s_mul_i32 s3, s15, s23
	s_mul_hi_u32 s4, s15, s22
	s_mul_i32 s2, s15, s22
	s_add_i32 s3, s4, s3
	v_mad_u64_u32 v[0:1], null, v36, s20, 0
	s_lshl_b64 s[4:5], s[2:3], 3
	s_mul_i32 s22, s15, s43
	s_add_u32 s3, s16, s4
	s_addc_u32 s35, s17, s5
	s_lshl_b64 s[6:7], s[18:19], 3
	s_mul_hi_u32 s23, s15, s42
	s_add_u32 s43, s3, s6
	s_mul_i32 s2, s15, s42
	s_addc_u32 s44, s35, s7
	s_add_i32 s3, s23, s22
	v_mad_u64_u32 v[2:3], null, v36, s21, v[1:2]
	s_lshl_b64 s[2:3], s[2:3], 3
	v_lshl_add_u32 v3, v36, 3, 0x80
	s_add_u32 s18, s36, s2
	s_addc_u32 s19, s37, s3
	s_lshl_b64 s[2:3], s[38:39], 3
	s_delay_alu instid0(SALU_CYCLE_1) | instskip(SKIP_2) | instid1(SALU_CYCLE_1)
	s_add_u32 s35, s18, s2
	s_addc_u32 s36, s19, s3
	s_lshl_b32 s37, s13, 5
	v_dual_mov_b32 v1, v2 :: v_dual_add_nc_u32 v6, s37, v37
	s_cmp_gt_i32 s13, -1
	s_mul_i32 s2, s31, s15
	s_cselect_b32 s38, -1, 0
	s_delay_alu instid0(VALU_DEP_1) | instskip(SKIP_4) | instid1(VALU_DEP_2)
	v_lshlrev_b64 v[0:1], 3, v[0:1]
	v_ashrrev_i32_e32 v7, 31, v6
	v_add_co_u32 v8, vcc_lo, v6, 16
	s_cmpk_eq_i32 s8, 0x84
	s_mul_hi_u32 s3, s30, s15
	v_add_co_ci_u32_e32 v9, vcc_lo, 0, v7, vcc_lo
	v_add_co_u32 v10, vcc_lo, s43, v0
	s_load_b32 s43, s[0:1], 0x8c
	s_cselect_b32 s39, -1, 0
	s_ashr_i32 s13, s9, 31
	s_ashr_i32 s42, s10, 31
	s_lshl_b64 s[18:19], s[20:21], 8
	s_add_u32 s22, s9, -16
	s_addc_u32 s23, s13, -1
	v_add_nc_u32_e32 v12, 16, v6
	s_add_i32 s31, s3, s2
	s_mul_i32 s30, s30, s15
	s_lshl_b64 s[26:27], s[26:27], 3
	s_lshl_b64 s[30:31], s[30:31], 3
	v_cmp_le_i32_e64 s0, s9, v6
	s_add_u32 s8, s30, s26
	v_cmp_gt_i32_e64 s2, s9, v6
	v_cmp_gt_i32_e64 s3, s9, v12
	s_addc_u32 s9, s31, s27
	s_add_u32 s8, s24, s8
	s_addc_u32 s15, s25, s9
	s_lshl_b64 s[24:25], s[28:29], 3
	s_waitcnt lgkmcnt(0)
	s_lshl_b32 s9, s43, 5
	s_add_u32 s6, s16, s6
	s_addc_u32 s7, s17, s7
	s_add_u32 s4, s6, s4
	s_addc_u32 s5, s7, s5
	v_add_co_ci_u32_e32 v11, vcc_lo, s44, v1, vcc_lo
	v_mad_u64_u32 v[14:15], null, s20, v3, s[4:5]
	v_sub_co_u32 v16, vcc_lo, v6, v36
	v_subrev_co_ci_u32_e32 v17, vcc_lo, 0, v7, vcc_lo
	v_cmp_le_i64_e64 s1, s[12:13], v[8:9]
	s_delay_alu instid0(VALU_DEP_3) | instskip(SKIP_1) | instid1(VALU_DEP_4)
	v_add_co_u32 v18, vcc_lo, v16, 16
	v_mov_b32_e32 v0, v15
	v_add_co_ci_u32_e32 v19, vcc_lo, 0, v17, vcc_lo
	v_add_co_u32 v20, vcc_lo, v16, -16
	s_delay_alu instid0(VALU_DEP_3) | instskip(SKIP_4) | instid1(VALU_DEP_4)
	v_mad_u64_u32 v[1:2], null, s21, v3, v[0:1]
	v_lshlrev_b32_e32 v38, 3, v37
	v_add_co_ci_u32_e32 v21, vcc_lo, -1, v17, vcc_lo
	v_lshlrev_b64 v[26:27], 3, v[6:7]
	v_ashrrev_i32_e32 v13, 31, v12
	v_add_nc_u32_e32 v40, v38, v4
	v_add_co_u32 v4, s4, s8, v38
	s_delay_alu instid0(VALU_DEP_1) | instskip(SKIP_1) | instid1(VALU_DEP_2)
	v_add_co_ci_u32_e64 v15, null, s15, 0, s4
	s_mov_b32 s15, s10
	v_add_co_u32 v22, vcc_lo, 0x80, v4
	s_delay_alu instid0(VALU_DEP_2)
	v_add_co_ci_u32_e32 v23, vcc_lo, 0, v15, vcc_lo
	v_dual_mov_b32 v15, v1 :: v_dual_mov_b32 v4, 1.0
	v_add_nc_u32_e32 v41, v39, v38
	s_branch .LBB73_4
.LBB73_3:                               ;   in Loop: Header=BB73_4 Depth=1
	s_or_b32 exec_lo, exec_lo, s4
	v_add_nc_u32_e32 v24, s9, v24
	s_add_i32 s14, s43, s14
	s_delay_alu instid0(SALU_CYCLE_1)
	s_cmp_le_i32 s14, s34
	s_cbranch_scc0 .LBB73_63
.LBB73_4:                               ; =>This Loop Header: Depth=1
                                        ;     Child Loop BB73_7 Depth 2
	v_lshl_add_u32 v42, s14, 5, v36
	v_mov_b32_e32 v49, v5
	v_mov_b32_e32 v50, v5
	;; [unrolled: 1-line block ×4, first 2 shown]
	v_ashrrev_i32_e32 v43, 31, v42
	v_mov_b32_e32 v45, v5
	v_mov_b32_e32 v46, v5
	;; [unrolled: 1-line block ×4, first 2 shown]
	s_and_not1_b32 vcc_lo, exec_lo, s38
	s_cbranch_vccnz .LBB73_55
; %bb.5:                                ;   in Loop: Header=BB73_4 Depth=1
	v_ashrrev_i32_e32 v25, 31, v24
	v_mad_u64_u32 v[28:29], null, s24, v24, v[22:23]
	v_mul_lo_u32 v2, s25, v24
	v_mov_b32_e32 v33, v15
	s_delay_alu instid0(VALU_DEP_4)
	v_lshlrev_b64 v[0:1], 3, v[24:25]
	v_mul_lo_u32 v44, s24, v25
	v_mov_b32_e32 v35, v11
	v_dual_mov_b32 v25, 0 :: v_dual_mov_b32 v32, v14
	v_mov_b32_e32 v34, v10
	v_add_co_u32 v3, vcc_lo, 0x80, v0
	v_add_co_ci_u32_e32 v30, vcc_lo, 0, v1, vcc_lo
	v_sub_co_u32 v0, vcc_lo, s15, v42
	s_delay_alu instid0(VALU_DEP_3) | instskip(NEXT) | instid1(VALU_DEP_3)
	v_mul_lo_u32 v46, s29, v3
	v_mul_lo_u32 v45, s28, v30
	v_mad_u64_u32 v[30:31], null, s28, v3, v[22:23]
	v_sub_co_ci_u32_e32 v1, vcc_lo, s42, v43, vcc_lo
	v_add3_u32 v29, v2, v29, v44
	v_mov_b32_e32 v44, 0
	v_dual_mov_b32 v48, 0 :: v_dual_mov_b32 v47, 0
	s_delay_alu instid0(VALU_DEP_4)
	v_cmp_lt_i64_e32 vcc_lo, 0, v[0:1]
	v_cmp_lt_i64_e64 s4, 16, v[0:1]
	v_add3_u32 v31, v46, v31, v45
	v_dual_mov_b32 v46, 0 :: v_dual_mov_b32 v45, 0
	v_dual_mov_b32 v50, 0 :: v_dual_mov_b32 v49, 0
	s_mov_b64 s[16:17], 0
	s_branch .LBB73_7
.LBB73_6:                               ;   in Loop: Header=BB73_7 Depth=2
	s_or_b32 exec_lo, exec_lo, s5
	s_waitcnt lgkmcnt(0)
	s_waitcnt_vscnt null, 0x0
	s_barrier
	buffer_gl0_inv
	ds_load_2addr_b64 v[51:54], v38 offset1:16
	ds_load_b128 v[55:58], v39
	ds_load_b128 v[59:62], v39 offset:4096
	ds_load_b128 v[63:66], v39 offset:16
	;; [unrolled: 1-line block ×4, first 2 shown]
	ds_load_2addr_b64 v[71:74], v38 offset0:32 offset1:48
	ds_load_b128 v[75:78], v39 offset:4112
	v_add_co_u32 v28, s5, 0x100, v28
	s_delay_alu instid0(VALU_DEP_1) | instskip(SKIP_1) | instid1(VALU_DEP_1)
	v_add_co_ci_u32_e64 v29, s5, 0, v29, s5
	v_add_co_u32 v34, s5, v34, s18
	v_add_co_ci_u32_e64 v35, s5, s19, v35, s5
	v_add_co_u32 v32, s5, v32, s18
	s_delay_alu instid0(VALU_DEP_1)
	v_add_co_ci_u32_e64 v33, s5, s19, v33, s5
	v_add_co_u32 v30, s5, 0x100, v30
	s_waitcnt lgkmcnt(6)
	v_dual_mul_f32 v79, v56, v52 :: v_dual_mul_f32 v82, v55, v54
	v_dual_mul_f32 v80, v55, v52 :: v_dual_mul_f32 v81, v56, v54
	s_waitcnt lgkmcnt(5)
	v_mul_f32_e32 v83, v60, v52
	s_delay_alu instid0(VALU_DEP_3)
	v_fma_f32 v79, v55, v51, -v79
	v_mul_f32_e32 v52, v59, v52
	v_fmac_f32_e32 v80, v56, v51
	v_fma_f32 v55, v55, v53, -v81
	v_mul_f32_e32 v84, v60, v54
	v_mul_f32_e32 v54, v59, v54
	v_fmac_f32_e32 v82, v56, v53
	v_fma_f32 v56, v59, v51, -v83
	v_add_f32_e32 v49, v49, v79
	s_delay_alu instid0(VALU_DEP_4)
	v_dual_add_f32 v55, v47, v55 :: v_dual_fmac_f32 v54, v60, v53
	v_fmac_f32_e32 v52, v60, v51
	v_fma_f32 v51, v59, v53, -v84
	s_waitcnt lgkmcnt(1)
	v_mul_f32_e32 v59, v58, v72
	v_mul_f32_e32 v53, v57, v72
	v_dual_add_f32 v25, v25, v54 :: v_dual_add_f32 v50, v50, v80
	v_add_f32_e32 v51, v44, v51
	s_delay_alu instid0(VALU_DEP_3)
	v_dual_add_f32 v48, v48, v82 :: v_dual_fmac_f32 v53, v58, v71
	v_add_f32_e32 v56, v45, v56
	v_fma_f32 v59, v57, v71, -v59
	v_add_f32_e32 v52, v46, v52
	ds_load_2addr_b64 v[44:47], v38 offset0:64 offset1:80
	v_mul_f32_e32 v60, v58, v74
	v_mul_f32_e32 v54, v57, v74
	v_add_f32_e32 v59, v49, v59
	v_dual_add_f32 v53, v50, v53 :: v_dual_mul_f32 v50, v61, v72
	s_delay_alu instid0(VALU_DEP_4) | instskip(SKIP_3) | instid1(VALU_DEP_3)
	v_fma_f32 v49, v57, v73, -v60
	v_mul_f32_e32 v57, v62, v72
	s_add_u32 s16, s16, 32
	v_add_co_ci_u32_e64 v31, s5, 0, v31, s5
	v_add_f32_e32 v55, v55, v49
	s_delay_alu instid0(VALU_DEP_3) | instskip(SKIP_3) | instid1(VALU_DEP_2)
	v_fma_f32 v49, v61, v71, -v57
	v_mul_f32_e32 v57, v62, v74
	s_addc_u32 s17, s17, 0
	s_sub_i32 s6, s16, 32
	v_add_f32_e32 v56, v56, v49
	s_cmp_ge_i32 s6, s37
	s_waitcnt lgkmcnt(0)
	v_mul_f32_e32 v49, v64, v45
	v_fmac_f32_e32 v54, v58, v73
	v_mul_f32_e32 v58, v61, v74
	s_delay_alu instid0(VALU_DEP_2) | instskip(SKIP_2) | instid1(VALU_DEP_4)
	v_add_f32_e32 v54, v48, v54
	v_fma_f32 v48, v61, v73, -v57
	v_mul_f32_e32 v57, v63, v45
	v_fmac_f32_e32 v58, v62, v73
	v_fmac_f32_e32 v50, v62, v71
	v_fma_f32 v61, v63, v44, -v49
	v_add_f32_e32 v60, v51, v48
	v_fmac_f32_e32 v57, v64, v44
	v_add_f32_e32 v25, v25, v58
	v_add_f32_e32 v52, v52, v50
	ds_load_2addr_b64 v[48:51], v38 offset0:96 offset1:112
	v_mul_f32_e32 v62, v64, v47
	v_add_f32_e32 v58, v59, v61
	v_mul_f32_e32 v59, v63, v47
	v_add_f32_e32 v53, v53, v57
	v_mul_f32_e32 v57, v76, v45
	v_mul_f32_e32 v45, v75, v45
	v_fma_f32 v61, v63, v46, -v62
	v_dual_fmac_f32 v59, v64, v46 :: v_dual_mul_f32 v62, v75, v47
	s_delay_alu instid0(VALU_DEP_4) | instskip(NEXT) | instid1(VALU_DEP_4)
	v_fma_f32 v57, v75, v44, -v57
	v_fmac_f32_e32 v45, v76, v44
	s_delay_alu instid0(VALU_DEP_4) | instskip(SKIP_3) | instid1(VALU_DEP_3)
	v_add_f32_e32 v55, v55, v61
	v_mul_f32_e32 v61, v76, v47
	v_dual_fmac_f32 v62, v76, v46 :: v_dual_add_f32 v59, v54, v59
	v_add_f32_e32 v56, v56, v57
	v_fma_f32 v44, v75, v46, -v61
	s_delay_alu instid0(VALU_DEP_3) | instskip(SKIP_4) | instid1(VALU_DEP_3)
	v_add_f32_e32 v25, v25, v62
	s_waitcnt lgkmcnt(0)
	v_dual_mul_f32 v61, v66, v51 :: v_dual_mul_f32 v54, v65, v49
	v_add_f32_e32 v57, v52, v45
	v_mul_f32_e32 v52, v66, v49
	v_fma_f32 v61, v65, v50, -v61
	v_mul_f32_e32 v62, v65, v51
	s_delay_alu instid0(VALU_DEP_3) | instskip(SKIP_1) | instid1(VALU_DEP_4)
	v_fma_f32 v52, v65, v48, -v52
	v_mul_f32_e32 v65, v78, v51
	v_dual_add_f32 v61, v55, v61 :: v_dual_fmac_f32 v54, v66, v48
	v_add_f32_e32 v60, v60, v44
	ds_load_2addr_b64 v[44:47], v38 offset0:128 offset1:144
	v_add_f32_e32 v58, v58, v52
	v_mul_f32_e32 v52, v78, v49
	v_dual_fmac_f32 v62, v66, v50 :: v_dual_mul_f32 v49, v77, v49
	v_add_f32_e32 v63, v53, v54
	s_delay_alu instid0(VALU_DEP_2)
	v_dual_add_f32 v62, v59, v62 :: v_dual_fmac_f32 v49, v78, v48
	v_mul_f32_e32 v59, v77, v51
	v_fma_f32 v64, v77, v48, -v52
	ds_load_b128 v[52:55], v39 offset:4128
	v_fma_f32 v48, v77, v50, -v65
	v_add_f32_e32 v65, v57, v49
	v_dual_fmac_f32 v59, v78, v50 :: v_dual_add_f32 v64, v56, v64
	s_delay_alu instid0(VALU_DEP_3)
	v_add_f32_e32 v60, v60, v48
	s_waitcnt lgkmcnt(1)
	v_mul_f32_e32 v51, v68, v45
	v_dual_mul_f32 v66, v67, v45 :: v_dual_mul_f32 v57, v68, v47
	v_add_f32_e32 v25, v25, v59
	v_mul_f32_e32 v72, v67, v47
	s_delay_alu instid0(VALU_DEP_4) | instskip(NEXT) | instid1(VALU_DEP_4)
	v_fma_f32 v56, v67, v44, -v51
	v_fmac_f32_e32 v66, v68, v44
	ds_load_2addr_b64 v[48:51], v38 offset0:160 offset1:176
	v_fma_f32 v67, v67, v46, -v57
	v_dual_fmac_f32 v72, v68, v46 :: v_dual_add_f32 v71, v58, v56
	ds_load_b128 v[56:59], v39 offset:4144
	s_waitcnt lgkmcnt(2)
	v_mul_f32_e32 v73, v53, v45
	v_dual_add_f32 v63, v63, v66 :: v_dual_add_f32 v62, v62, v72
	v_mul_f32_e32 v68, v52, v47
	s_delay_alu instid0(VALU_DEP_3) | instskip(SKIP_1) | instid1(VALU_DEP_2)
	v_fma_f32 v66, v52, v44, -v73
	v_add_f32_e32 v61, v61, v67
	v_dual_mul_f32 v67, v53, v47 :: v_dual_add_f32 v64, v64, v66
	s_waitcnt lgkmcnt(1)
	v_mul_f32_e32 v47, v70, v49
	v_dual_mul_f32 v45, v52, v45 :: v_dual_fmac_f32 v68, v53, v46
	s_delay_alu instid0(VALU_DEP_1) | instskip(SKIP_1) | instid1(VALU_DEP_2)
	v_dual_mul_f32 v66, v70, v51 :: v_dual_fmac_f32 v45, v53, v44
	v_mul_f32_e32 v53, v69, v49
	v_fma_f32 v66, v69, v50, -v66
	v_fma_f32 v44, v52, v46, -v67
	s_delay_alu instid0(VALU_DEP_2) | instskip(NEXT) | instid1(VALU_DEP_4)
	v_dual_add_f32 v61, v61, v66 :: v_dual_mul_f32 v66, v55, v51
	v_dual_add_f32 v52, v65, v45 :: v_dual_fmac_f32 v53, v70, v48
	s_delay_alu instid0(VALU_DEP_3)
	v_add_f32_e32 v60, v60, v44
	v_fma_f32 v65, v69, v48, -v47
	ds_load_2addr_b64 v[44:47], v38 offset0:192 offset1:208
	v_add_f32_e32 v53, v63, v53
	v_mul_f32_e32 v63, v55, v49
	v_mul_f32_e32 v49, v54, v49
	s_delay_alu instid0(VALU_DEP_2) | instskip(NEXT) | instid1(VALU_DEP_2)
	v_fma_f32 v63, v54, v48, -v63
	v_fmac_f32_e32 v49, v55, v48
	v_mul_f32_e32 v67, v69, v51
	v_fma_f32 v48, v54, v50, -v66
	v_add_f32_e32 v65, v71, v65
	s_delay_alu instid0(VALU_DEP_3) | instskip(NEXT) | instid1(VALU_DEP_1)
	v_dual_add_f32 v52, v52, v49 :: v_dual_fmac_f32 v67, v70, v50
	v_dual_add_f32 v25, v25, v68 :: v_dual_add_f32 v62, v62, v67
	v_mul_f32_e32 v67, v54, v51
	s_waitcnt lgkmcnt(0)
	v_mul_f32_e32 v66, v0, v47
	v_add_f32_e32 v54, v64, v63
	s_delay_alu instid0(VALU_DEP_3) | instskip(NEXT) | instid1(VALU_DEP_3)
	v_dual_mul_f32 v64, v1, v47 :: v_dual_fmac_f32 v67, v55, v50
	v_dual_add_f32 v55, v60, v48 :: v_dual_fmac_f32 v66, v1, v46
	ds_load_2addr_b64 v[48:51], v38 offset0:224 offset1:240
	v_mul_f32_e32 v63, v1, v45
	v_mul_f32_e32 v60, v0, v45
	v_add_f32_e32 v62, v62, v66
	s_delay_alu instid0(VALU_DEP_3) | instskip(SKIP_3) | instid1(VALU_DEP_3)
	v_fma_f32 v63, v0, v44, -v63
	v_fma_f32 v0, v0, v46, -v64
	v_mul_f32_e32 v64, v57, v45
	v_fmac_f32_e32 v60, v1, v44
	v_add_f32_e32 v61, v61, v0
	s_delay_alu instid0(VALU_DEP_3) | instskip(SKIP_1) | instid1(VALU_DEP_4)
	v_fma_f32 v0, v56, v44, -v64
	v_mul_f32_e32 v64, v56, v47
	v_dual_mul_f32 v1, v56, v45 :: v_dual_add_f32 v60, v53, v60
	s_delay_alu instid0(VALU_DEP_2) | instskip(SKIP_2) | instid1(VALU_DEP_1)
	v_fmac_f32_e32 v64, v57, v46
	s_waitcnt lgkmcnt(0)
	v_dual_mul_f32 v66, v2, v49 :: v_dual_add_f32 v25, v25, v67
	v_dual_mul_f32 v45, v57, v47 :: v_dual_fmac_f32 v66, v3, v48
	v_fmac_f32_e32 v1, v57, v44
	s_delay_alu instid0(VALU_DEP_2)
	v_fma_f32 v44, v56, v46, -v45
	v_add_f32_e32 v63, v65, v63
	v_dual_add_f32 v65, v54, v0 :: v_dual_add_nc_u32 v0, 0x800, v38
	v_dual_add_f32 v25, v25, v64 :: v_dual_mul_f32 v64, v2, v51
	v_mul_f32_e32 v45, v3, v49
	v_add_f32_e32 v56, v55, v44
	v_add_f32_e32 v68, v60, v66
	v_dual_add_f32 v1, v52, v1 :: v_dual_mul_f32 v66, v59, v51
	s_delay_alu instid0(VALU_DEP_4)
	v_fma_f32 v57, v2, v48, -v45
	ds_load_2addr_b64 v[44:47], v0 offset1:16
	ds_load_b128 v[52:55], v39 offset:64
	v_fmac_f32_e32 v64, v3, v50
	v_mul_f32_e32 v67, v3, v51
	v_mul_f32_e32 v3, v58, v49
	v_add_f32_e32 v57, v63, v57
	v_mul_f32_e32 v63, v59, v49
	v_add_f32_e32 v69, v62, v64
	s_delay_alu instid0(VALU_DEP_2) | instskip(NEXT) | instid1(VALU_DEP_1)
	v_fma_f32 v49, v58, v48, -v63
	v_add_f32_e32 v70, v65, v49
	v_fma_f32 v2, v2, v50, -v67
	s_waitcnt lgkmcnt(0)
	v_mul_f32_e32 v49, v53, v45
	s_delay_alu instid0(VALU_DEP_2)
	v_add_f32_e32 v2, v61, v2
	ds_load_b128 v[60:63], v39 offset:4160
	v_fmac_f32_e32 v3, v59, v48
	v_fma_f32 v48, v58, v50, -v66
	v_mul_f32_e32 v58, v58, v51
	v_mul_f32_e32 v73, v52, v47
	ds_load_b128 v[64:67], v39 offset:80
	v_dual_add_f32 v1, v1, v3 :: v_dual_fmac_f32 v58, v59, v50
	v_fmac_f32_e32 v73, v53, v46
	v_add_f32_e32 v71, v56, v48
	v_fma_f32 v56, v52, v44, -v49
	ds_load_2addr_b64 v[48:51], v0 offset0:32 offset1:48
	v_mul_f32_e32 v3, v52, v45
	v_mul_f32_e32 v59, v53, v47
	v_add_f32_e32 v25, v25, v58
	s_delay_alu instid0(VALU_DEP_3) | instskip(NEXT) | instid1(VALU_DEP_3)
	v_fmac_f32_e32 v3, v53, v44
	v_fma_f32 v52, v52, v46, -v59
	s_waitcnt lgkmcnt(2)
	s_delay_alu instid0(VALU_DEP_2) | instskip(NEXT) | instid1(VALU_DEP_2)
	v_dual_add_f32 v3, v68, v3 :: v_dual_mul_f32 v68, v61, v45
	v_dual_mul_f32 v45, v60, v45 :: v_dual_add_f32 v2, v2, v52
	v_mul_f32_e32 v52, v61, v47
	v_add_f32_e32 v72, v57, v56
	s_delay_alu instid0(VALU_DEP_4) | instskip(SKIP_3) | instid1(VALU_DEP_4)
	v_fma_f32 v53, v60, v44, -v68
	v_dual_add_f32 v68, v69, v73 :: v_dual_mul_f32 v69, v60, v47
	v_fmac_f32_e32 v45, v61, v44
	v_fma_f32 v44, v60, v46, -v52
	v_add_f32_e32 v52, v70, v53
	s_waitcnt lgkmcnt(0)
	v_mul_f32_e32 v47, v55, v49
	v_dual_fmac_f32 v69, v61, v46 :: v_dual_mul_f32 v70, v55, v51
	v_dual_mul_f32 v60, v54, v49 :: v_dual_add_f32 v53, v71, v44
	s_delay_alu instid0(VALU_DEP_3) | instskip(NEXT) | instid1(VALU_DEP_3)
	v_fma_f32 v61, v54, v48, -v47
	v_add_f32_e32 v25, v25, v69
	v_mul_f32_e32 v69, v54, v51
	v_fma_f32 v54, v54, v50, -v70
	v_mul_f32_e32 v70, v63, v49
	v_fmac_f32_e32 v60, v55, v48
	ds_load_b128 v[56:59], v39 offset:4176
	v_add_f32_e32 v2, v2, v54
	v_fma_f32 v54, v62, v48, -v70
	v_dual_add_f32 v3, v3, v60 :: v_dual_mul_f32 v60, v62, v51
	s_delay_alu instid0(VALU_DEP_2) | instskip(SKIP_3) | instid1(VALU_DEP_2)
	v_dual_add_f32 v52, v52, v54 :: v_dual_add_f32 v1, v1, v45
	ds_load_2addr_b64 v[44:47], v0 offset0:64 offset1:80
	v_mul_f32_e32 v49, v62, v49
	v_dual_add_f32 v61, v72, v61 :: v_dual_fmac_f32 v60, v63, v50
	v_fmac_f32_e32 v49, v63, v48
	s_delay_alu instid0(VALU_DEP_2) | instskip(NEXT) | instid1(VALU_DEP_1)
	v_dual_mul_f32 v48, v63, v51 :: v_dual_add_f32 v25, v25, v60
	v_fma_f32 v54, v62, v50, -v48
	s_delay_alu instid0(VALU_DEP_1) | instskip(SKIP_3) | instid1(VALU_DEP_2)
	v_add_f32_e32 v53, v53, v54
	s_waitcnt lgkmcnt(0)
	v_mul_f32_e32 v62, v65, v45
	v_mul_f32_e32 v63, v64, v45
	v_fma_f32 v54, v64, v44, -v62
	v_mul_f32_e32 v62, v65, v47
	s_delay_alu instid0(VALU_DEP_3) | instskip(NEXT) | instid1(VALU_DEP_3)
	v_fmac_f32_e32 v63, v65, v44
	v_add_f32_e32 v60, v61, v54
	v_fmac_f32_e32 v69, v55, v50
	s_delay_alu instid0(VALU_DEP_4) | instskip(SKIP_2) | instid1(VALU_DEP_4)
	v_fma_f32 v54, v64, v46, -v62
	v_mul_f32_e32 v61, v57, v45
	v_mul_f32_e32 v45, v56, v45
	v_add_f32_e32 v55, v68, v69
	v_mul_f32_e32 v68, v64, v47
	v_add_f32_e32 v2, v2, v54
	v_mul_f32_e32 v54, v57, v47
	v_fmac_f32_e32 v45, v57, v44
	s_delay_alu instid0(VALU_DEP_4) | instskip(NEXT) | instid1(VALU_DEP_1)
	v_fmac_f32_e32 v68, v65, v46
	v_add_f32_e32 v62, v55, v68
	v_fma_f32 v55, v56, v44, -v61
	v_mul_f32_e32 v61, v56, v47
	v_fma_f32 v44, v56, v46, -v54
	s_delay_alu instid0(VALU_DEP_3)
	v_dual_add_f32 v56, v52, v55 :: v_dual_add_f32 v1, v1, v49
	ds_load_2addr_b64 v[48:51], v0 offset0:96 offset1:112
	v_fmac_f32_e32 v61, v57, v46
	s_waitcnt lgkmcnt(0)
	v_mul_f32_e32 v47, v67, v49
	v_dual_mul_f32 v65, v67, v51 :: v_dual_mul_f32 v64, v66, v49
	v_add_f32_e32 v3, v3, v63
	s_delay_alu instid0(VALU_DEP_3) | instskip(NEXT) | instid1(VALU_DEP_3)
	v_fma_f32 v63, v66, v48, -v47
	v_fma_f32 v65, v66, v50, -v65
	s_delay_alu instid0(VALU_DEP_4) | instskip(NEXT) | instid1(VALU_DEP_3)
	v_fmac_f32_e32 v64, v67, v48
	v_add_f32_e32 v68, v60, v63
	v_mul_f32_e32 v60, v59, v49
	s_delay_alu instid0(VALU_DEP_4)
	v_add_f32_e32 v2, v2, v65
	v_mul_f32_e32 v49, v58, v49
	v_mul_f32_e32 v65, v59, v51
	v_add_f32_e32 v57, v53, v44
	v_add_f32_e32 v3, v3, v64
	v_fma_f32 v64, v58, v48, -v60
	v_fmac_f32_e32 v49, v59, v48
	v_fma_f32 v48, v58, v50, -v65
	s_delay_alu instid0(VALU_DEP_3) | instskip(NEXT) | instid1(VALU_DEP_2)
	v_add_f32_e32 v70, v56, v64
	v_dual_mul_f32 v56, v58, v51 :: v_dual_add_f32 v71, v57, v48
	v_add_f32_e32 v1, v1, v45
	ds_load_2addr_b64 v[44:47], v0 offset0:128 offset1:144
	ds_load_b128 v[52:55], v39 offset:96
	v_add_f32_e32 v25, v25, v61
	v_dual_mul_f32 v61, v66, v51 :: v_dual_fmac_f32 v56, v59, v50
	s_delay_alu instid0(VALU_DEP_1)
	v_fmac_f32_e32 v61, v67, v50
	ds_load_b128 v[64:67], v39 offset:112
	v_add_f32_e32 v69, v62, v61
	ds_load_b128 v[60:63], v39 offset:4192
	s_waitcnt lgkmcnt(2)
	v_mul_f32_e32 v51, v53, v45
	v_mul_f32_e32 v72, v52, v45
	;; [unrolled: 1-line block ×4, first 2 shown]
	s_delay_alu instid0(VALU_DEP_4) | instskip(NEXT) | instid1(VALU_DEP_4)
	v_fma_f32 v57, v52, v44, -v51
	v_fmac_f32_e32 v72, v53, v44
	s_delay_alu instid0(VALU_DEP_4) | instskip(NEXT) | instid1(VALU_DEP_3)
	v_fma_f32 v52, v52, v46, -v58
	v_dual_fmac_f32 v73, v53, v46 :: v_dual_add_f32 v68, v68, v57
	s_delay_alu instid0(VALU_DEP_3) | instskip(NEXT) | instid1(VALU_DEP_3)
	v_add_f32_e32 v3, v3, v72
	v_add_f32_e32 v2, v2, v52
	s_waitcnt lgkmcnt(0)
	v_mul_f32_e32 v74, v61, v45
	v_mul_f32_e32 v45, v60, v45
	;; [unrolled: 1-line block ×4, first 2 shown]
	s_delay_alu instid0(VALU_DEP_4) | instskip(NEXT) | instid1(VALU_DEP_4)
	v_fma_f32 v52, v60, v44, -v74
	v_fmac_f32_e32 v45, v61, v44
	s_delay_alu instid0(VALU_DEP_4) | instskip(NEXT) | instid1(VALU_DEP_4)
	v_fma_f32 v44, v60, v46, -v53
	v_fmac_f32_e32 v72, v61, v46
	s_delay_alu instid0(VALU_DEP_4) | instskip(NEXT) | instid1(VALU_DEP_3)
	v_add_f32_e32 v52, v70, v52
	v_dual_add_f32 v60, v71, v44 :: v_dual_add_f32 v1, v1, v49
	ds_load_2addr_b64 v[48:51], v0 offset0:160 offset1:176
	v_add_f32_e32 v1, v1, v45
	s_waitcnt lgkmcnt(0)
	v_mul_f32_e32 v47, v55, v49
	v_mul_f32_e32 v70, v55, v51
	s_delay_alu instid0(VALU_DEP_2) | instskip(SKIP_2) | instid1(VALU_DEP_1)
	v_fma_f32 v61, v54, v48, -v47
	ds_load_2addr_b64 v[44:47], v0 offset0:192 offset1:208
	v_dual_add_f32 v61, v68, v61 :: v_dual_mul_f32 v68, v54, v51
	v_dual_fmac_f32 v68, v55, v50 :: v_dual_add_f32 v25, v25, v56
	ds_load_b128 v[56:59], v39 offset:4208
	v_mul_f32_e32 v53, v54, v49
	v_fma_f32 v54, v54, v50, -v70
	s_delay_alu instid0(VALU_DEP_1) | instskip(SKIP_1) | instid1(VALU_DEP_2)
	v_dual_fmac_f32 v53, v55, v48 :: v_dual_add_f32 v2, v2, v54
	v_mul_f32_e32 v54, v63, v51
	v_add_f32_e32 v3, v3, v53
	v_mul_f32_e32 v53, v63, v49
	v_mul_f32_e32 v49, v62, v49
	s_delay_alu instid0(VALU_DEP_2) | instskip(NEXT) | instid1(VALU_DEP_2)
	v_fma_f32 v53, v62, v48, -v53
	v_fmac_f32_e32 v49, v63, v48
	v_fma_f32 v48, v62, v50, -v54
	s_delay_alu instid0(VALU_DEP_3) | instskip(NEXT) | instid1(VALU_DEP_2)
	v_add_f32_e32 v52, v52, v53
	v_dual_add_f32 v1, v1, v49 :: v_dual_add_f32 v54, v60, v48
	v_add_f32_e32 v69, v69, v73
	s_waitcnt lgkmcnt(1)
	v_mul_f32_e32 v53, v65, v45
	s_delay_alu instid0(VALU_DEP_2) | instskip(SKIP_2) | instid1(VALU_DEP_3)
	v_dual_mul_f32 v60, v64, v45 :: v_dual_add_f32 v55, v69, v68
	v_mul_f32_e32 v68, v62, v51
	v_mul_f32_e32 v62, v64, v47
	v_fmac_f32_e32 v60, v65, v44
	s_delay_alu instid0(VALU_DEP_3) | instskip(SKIP_4) | instid1(VALU_DEP_3)
	v_fmac_f32_e32 v68, v63, v50
	ds_load_2addr_b64 v[48:51], v0 offset0:224 offset1:240
	v_fma_f32 v0, v64, v44, -v53
	v_mul_f32_e32 v53, v65, v47
	v_dual_fmac_f32 v62, v65, v46 :: v_dual_add_f32 v3, v3, v60
	v_add_f32_e32 v61, v61, v0
	s_delay_alu instid0(VALU_DEP_3)
	v_fma_f32 v0, v64, v46, -v53
	s_waitcnt lgkmcnt(1)
	v_mul_f32_e32 v53, v57, v45
	v_dual_mul_f32 v45, v56, v45 :: v_dual_add_f32 v60, v55, v62
	v_mul_f32_e32 v62, v56, v47
	v_add_f32_e32 v2, v2, v0
	s_delay_alu instid0(VALU_DEP_4)
	v_fma_f32 v0, v56, v44, -v53
	v_mul_f32_e32 v53, v57, v47
	v_fmac_f32_e32 v45, v57, v44
	v_add_f32_e32 v25, v25, v72
	v_fmac_f32_e32 v62, v57, v46
	v_add_f32_e32 v64, v52, v0
	v_fma_f32 v44, v56, v46, -v53
	s_waitcnt lgkmcnt(0)
	v_dual_mul_f32 v47, v67, v49 :: v_dual_add_nc_u32 v0, 0x1000, v38
	v_add_f32_e32 v1, v1, v45
	v_mul_f32_e32 v63, v66, v49
	v_add_f32_e32 v56, v54, v44
	s_delay_alu instid0(VALU_DEP_4)
	v_fma_f32 v57, v66, v48, -v47
	ds_load_2addr_b64 v[44:47], v0 offset1:16
	ds_load_b128 v[52:55], v39 offset:128
	v_add_f32_e32 v25, v25, v68
	v_mul_f32_e32 v65, v67, v51
	v_fmac_f32_e32 v63, v67, v48
	v_add_f32_e32 v57, v61, v57
	s_delay_alu instid0(VALU_DEP_4) | instskip(NEXT) | instid1(VALU_DEP_4)
	v_dual_add_f32 v25, v25, v62 :: v_dual_mul_f32 v62, v66, v51
	v_fma_f32 v61, v66, v50, -v65
	v_mul_f32_e32 v65, v59, v49
	v_dual_mul_f32 v49, v58, v49 :: v_dual_mul_f32 v66, v59, v51
	s_delay_alu instid0(VALU_DEP_4) | instskip(NEXT) | instid1(VALU_DEP_4)
	v_fmac_f32_e32 v62, v67, v50
	v_dual_add_f32 v3, v3, v63 :: v_dual_add_f32 v2, v2, v61
	s_delay_alu instid0(VALU_DEP_4) | instskip(NEXT) | instid1(VALU_DEP_3)
	v_fma_f32 v65, v58, v48, -v65
	v_dual_fmac_f32 v49, v59, v48 :: v_dual_add_f32 v68, v60, v62
	ds_load_b128 v[60:63], v39 offset:4224
	v_fma_f32 v48, v58, v50, -v66
	s_waitcnt lgkmcnt(1)
	v_dual_mul_f32 v58, v58, v51 :: v_dual_mul_f32 v51, v53, v45
	v_add_f32_e32 v69, v64, v65
	ds_load_b128 v[64:67], v39 offset:144
	v_dual_add_f32 v1, v1, v49 :: v_dual_fmac_f32 v58, v59, v50
	v_add_f32_e32 v71, v56, v48
	v_fma_f32 v56, v52, v44, -v51
	ds_load_2addr_b64 v[48:51], v0 offset0:32 offset1:48
	v_dual_mul_f32 v70, v52, v45 :: v_dual_mul_f32 v59, v53, v47
	v_mul_f32_e32 v73, v52, v47
	v_add_f32_e32 v25, v25, v58
	s_delay_alu instid0(VALU_DEP_3) | instskip(NEXT) | instid1(VALU_DEP_4)
	v_fmac_f32_e32 v70, v53, v44
	v_fma_f32 v52, v52, v46, -v59
	s_delay_alu instid0(VALU_DEP_4) | instskip(SKIP_1) | instid1(VALU_DEP_3)
	v_fmac_f32_e32 v73, v53, v46
	s_waitcnt lgkmcnt(2)
	v_dual_add_f32 v3, v3, v70 :: v_dual_mul_f32 v70, v61, v45
	s_delay_alu instid0(VALU_DEP_3) | instskip(SKIP_2) | instid1(VALU_DEP_4)
	v_dual_mul_f32 v45, v60, v45 :: v_dual_add_f32 v2, v2, v52
	v_mul_f32_e32 v52, v61, v47
	v_add_f32_e32 v68, v68, v73
	v_fma_f32 v53, v60, v44, -v70
	s_delay_alu instid0(VALU_DEP_4) | instskip(NEXT) | instid1(VALU_DEP_4)
	v_dual_fmac_f32 v45, v61, v44 :: v_dual_mul_f32 v70, v60, v47
	v_fma_f32 v44, v60, v46, -v52
	s_waitcnt lgkmcnt(0)
	v_mul_f32_e32 v47, v55, v49
	v_add_f32_e32 v52, v69, v53
	v_add_f32_e32 v1, v1, v45
	v_dual_fmac_f32 v70, v61, v46 :: v_dual_add_f32 v53, v71, v44
	v_mul_f32_e32 v60, v54, v49
	v_fma_f32 v61, v54, v48, -v47
	ds_load_2addr_b64 v[44:47], v0 offset0:64 offset1:80
	v_mul_f32_e32 v69, v55, v51
	v_dual_add_f32 v25, v25, v70 :: v_dual_fmac_f32 v60, v55, v48
	v_mul_f32_e32 v70, v54, v51
	s_delay_alu instid0(VALU_DEP_3) | instskip(SKIP_3) | instid1(VALU_DEP_4)
	v_fma_f32 v54, v54, v50, -v69
	v_mul_f32_e32 v69, v63, v49
	v_mul_f32_e32 v49, v62, v49
	v_dual_add_f32 v3, v3, v60 :: v_dual_mul_f32 v60, v62, v51
	v_add_f32_e32 v2, v2, v54
	s_delay_alu instid0(VALU_DEP_4) | instskip(NEXT) | instid1(VALU_DEP_4)
	v_fma_f32 v54, v62, v48, -v69
	v_fmac_f32_e32 v49, v63, v48
	v_mul_f32_e32 v48, v63, v51
	v_fmac_f32_e32 v60, v63, v50
	v_add_f32_e32 v72, v57, v56
	ds_load_b128 v[56:59], v39 offset:4240
	v_fmac_f32_e32 v70, v55, v50
	v_dual_add_f32 v52, v52, v54 :: v_dual_add_f32 v1, v1, v49
	v_fma_f32 v54, v62, v50, -v48
	s_waitcnt lgkmcnt(1)
	v_mul_f32_e32 v62, v65, v45
	ds_load_2addr_b64 v[48:51], v0 offset0:96 offset1:112
	v_add_f32_e32 v61, v72, v61
	v_add_f32_e32 v55, v68, v70
	;; [unrolled: 1-line block ×3, first 2 shown]
	v_fma_f32 v54, v64, v44, -v62
	v_mul_f32_e32 v62, v65, v47
	v_dual_mul_f32 v68, v64, v47 :: v_dual_add_f32 v25, v25, v60
	s_delay_alu instid0(VALU_DEP_3) | instskip(NEXT) | instid1(VALU_DEP_3)
	v_dual_mul_f32 v63, v64, v45 :: v_dual_add_f32 v60, v61, v54
	v_fma_f32 v54, v64, v46, -v62
	s_delay_alu instid0(VALU_DEP_3) | instskip(NEXT) | instid1(VALU_DEP_3)
	v_fmac_f32_e32 v68, v65, v46
	v_fmac_f32_e32 v63, v65, v44
	s_waitcnt lgkmcnt(1)
	v_mul_f32_e32 v61, v57, v45
	v_dual_mul_f32 v45, v56, v45 :: v_dual_add_f32 v2, v2, v54
	v_mul_f32_e32 v54, v57, v47
	v_add_f32_e32 v62, v55, v68
	s_delay_alu instid0(VALU_DEP_4) | instskip(NEXT) | instid1(VALU_DEP_4)
	v_fma_f32 v55, v56, v44, -v61
	v_fmac_f32_e32 v45, v57, v44
	v_mul_f32_e32 v61, v56, v47
	v_fma_f32 v44, v56, v46, -v54
	s_waitcnt lgkmcnt(0)
	v_mul_f32_e32 v47, v67, v49
	v_add_f32_e32 v3, v3, v63
	v_dual_add_f32 v56, v52, v55 :: v_dual_add_f32 v1, v1, v45
	v_fmac_f32_e32 v61, v57, v46
	v_add_f32_e32 v57, v53, v44
	v_fma_f32 v63, v66, v48, -v47
	ds_load_2addr_b64 v[44:47], v0 offset0:128 offset1:144
	ds_load_b128 v[52:55], v39 offset:160
	v_dual_mul_f32 v64, v66, v49 :: v_dual_mul_f32 v65, v67, v51
	v_dual_add_f32 v25, v25, v61 :: v_dual_add_f32 v68, v60, v63
	v_mul_f32_e32 v60, v59, v49
	s_delay_alu instid0(VALU_DEP_3) | instskip(NEXT) | instid1(VALU_DEP_4)
	v_fmac_f32_e32 v64, v67, v48
	v_fma_f32 v65, v66, v50, -v65
	v_mul_f32_e32 v49, v58, v49
	v_mul_f32_e32 v61, v66, v51
	s_delay_alu instid0(VALU_DEP_3) | instskip(SKIP_3) | instid1(VALU_DEP_3)
	v_dual_add_f32 v3, v3, v64 :: v_dual_add_f32 v2, v2, v65
	v_fma_f32 v64, v58, v48, -v60
	v_mul_f32_e32 v65, v59, v51
	v_fmac_f32_e32 v49, v59, v48
	v_dual_fmac_f32 v61, v67, v50 :: v_dual_add_f32 v70, v56, v64
	v_mul_f32_e32 v56, v58, v51
	s_delay_alu instid0(VALU_DEP_4)
	v_fma_f32 v48, v58, v50, -v65
	s_waitcnt lgkmcnt(0)
	v_mul_f32_e32 v51, v53, v45
	v_mul_f32_e32 v58, v53, v47
	;; [unrolled: 1-line block ×3, first 2 shown]
	v_dual_fmac_f32 v56, v59, v50 :: v_dual_add_f32 v71, v57, v48
	s_delay_alu instid0(VALU_DEP_4) | instskip(SKIP_2) | instid1(VALU_DEP_4)
	v_fma_f32 v57, v52, v44, -v51
	v_mul_f32_e32 v73, v52, v47
	v_fma_f32 v52, v52, v46, -v58
	v_add_f32_e32 v25, v25, v56
	ds_load_b128 v[64:67], v39 offset:176
	v_add_f32_e32 v68, v68, v57
	ds_load_b128 v[56:59], v39 offset:4272
	;; [unrolled: 2-line block ×3, first 2 shown]
	v_add_f32_e32 v1, v1, v49
	ds_load_2addr_b64 v[48:51], v0 offset0:160 offset1:176
	v_fmac_f32_e32 v72, v53, v44
	v_dual_fmac_f32 v73, v53, v46 :: v_dual_add_f32 v2, v2, v52
	s_delay_alu instid0(VALU_DEP_2) | instskip(NEXT) | instid1(VALU_DEP_2)
	v_add_f32_e32 v3, v3, v72
	v_add_f32_e32 v69, v69, v73
	s_waitcnt lgkmcnt(1)
	v_mul_f32_e32 v74, v61, v45
	v_mul_f32_e32 v45, v60, v45
	;; [unrolled: 1-line block ×3, first 2 shown]
	s_waitcnt lgkmcnt(0)
	v_dual_mul_f32 v72, v60, v47 :: v_dual_mul_f32 v47, v55, v49
	v_fma_f32 v52, v60, v44, -v74
	v_fmac_f32_e32 v45, v61, v44
	v_fma_f32 v44, v60, v46, -v53
	s_delay_alu instid0(VALU_DEP_4) | instskip(NEXT) | instid1(VALU_DEP_3)
	v_dual_fmac_f32 v72, v61, v46 :: v_dual_mul_f32 v53, v54, v49
	v_dual_add_f32 v52, v70, v52 :: v_dual_add_f32 v1, v1, v45
	s_delay_alu instid0(VALU_DEP_3)
	v_add_f32_e32 v60, v71, v44
	v_fma_f32 v61, v54, v48, -v47
	ds_load_2addr_b64 v[44:47], v0 offset0:192 offset1:208
	v_mul_f32_e32 v70, v55, v51
	v_fmac_f32_e32 v53, v55, v48
	v_dual_add_f32 v61, v68, v61 :: v_dual_mul_f32 v68, v54, v51
	s_delay_alu instid0(VALU_DEP_3) | instskip(NEXT) | instid1(VALU_DEP_3)
	v_fma_f32 v54, v54, v50, -v70
	v_add_f32_e32 v3, v3, v53
	v_mul_f32_e32 v53, v63, v49
	s_delay_alu instid0(VALU_DEP_4) | instskip(NEXT) | instid1(VALU_DEP_4)
	v_dual_mul_f32 v49, v62, v49 :: v_dual_fmac_f32 v68, v55, v50
	v_add_f32_e32 v2, v2, v54
	v_mul_f32_e32 v54, v63, v51
	s_delay_alu instid0(VALU_DEP_4) | instskip(NEXT) | instid1(VALU_DEP_4)
	v_fma_f32 v53, v62, v48, -v53
	v_fmac_f32_e32 v49, v63, v48
	v_dual_add_f32 v55, v69, v68 :: v_dual_mul_f32 v68, v62, v51
	s_delay_alu instid0(VALU_DEP_4) | instskip(NEXT) | instid1(VALU_DEP_4)
	v_fma_f32 v48, v62, v50, -v54
	v_add_f32_e32 v52, v52, v53
	s_delay_alu instid0(VALU_DEP_4)
	v_add_f32_e32 v1, v1, v49
	s_waitcnt lgkmcnt(0)
	v_dual_mul_f32 v53, v65, v45 :: v_dual_fmac_f32 v68, v63, v50
	v_add_f32_e32 v54, v60, v48
	ds_load_2addr_b64 v[48:51], v0 offset0:224 offset1:240
	v_mul_f32_e32 v60, v64, v45
	v_fma_f32 v0, v64, v44, -v53
	v_mul_f32_e32 v53, v65, v47
	v_mul_f32_e32 v62, v64, v47
	s_delay_alu instid0(VALU_DEP_4) | instskip(NEXT) | instid1(VALU_DEP_4)
	v_fmac_f32_e32 v60, v65, v44
	v_add_f32_e32 v61, v61, v0
	s_delay_alu instid0(VALU_DEP_4) | instskip(SKIP_3) | instid1(VALU_DEP_4)
	v_fma_f32 v0, v64, v46, -v53
	v_mul_f32_e32 v53, v57, v45
	v_dual_fmac_f32 v62, v65, v46 :: v_dual_mul_f32 v45, v56, v45
	v_add_f32_e32 v3, v3, v60
	v_add_f32_e32 v2, v2, v0
	s_delay_alu instid0(VALU_DEP_4) | instskip(NEXT) | instid1(VALU_DEP_4)
	v_fma_f32 v0, v56, v44, -v53
	v_dual_mul_f32 v53, v57, v47 :: v_dual_add_f32 v60, v55, v62
	v_dual_fmac_f32 v45, v57, v44 :: v_dual_mul_f32 v62, v56, v47
	s_delay_alu instid0(VALU_DEP_3) | instskip(NEXT) | instid1(VALU_DEP_3)
	v_add_f32_e32 v64, v52, v0
	v_fma_f32 v44, v56, v46, -v53
	s_waitcnt lgkmcnt(0)
	v_dual_mul_f32 v47, v67, v49 :: v_dual_add_nc_u32 v0, 0x1800, v38
	v_add_f32_e32 v1, v1, v45
	v_fmac_f32_e32 v62, v57, v46
	v_add_f32_e32 v56, v54, v44
	s_delay_alu instid0(VALU_DEP_4)
	v_fma_f32 v57, v66, v48, -v47
	ds_load_2addr_b64 v[44:47], v0 offset1:16
	ds_load_b128 v[52:55], v39 offset:192
	v_add_f32_e32 v25, v25, v72
	v_mul_f32_e32 v63, v66, v49
	v_mul_f32_e32 v65, v67, v51
	v_add_f32_e32 v57, v61, v57
	s_delay_alu instid0(VALU_DEP_4) | instskip(NEXT) | instid1(VALU_DEP_4)
	v_add_f32_e32 v25, v25, v68
	v_fmac_f32_e32 v63, v67, v48
	s_delay_alu instid0(VALU_DEP_4)
	v_fma_f32 v61, v66, v50, -v65
	v_mul_f32_e32 v65, v59, v49
	v_mul_f32_e32 v49, v58, v49
	v_dual_add_f32 v25, v25, v62 :: v_dual_mul_f32 v62, v66, v51
	v_mul_f32_e32 v66, v59, v51
	v_dual_add_f32 v3, v3, v63 :: v_dual_add_f32 v2, v2, v61
	v_fma_f32 v65, v58, v48, -v65
	s_delay_alu instid0(VALU_DEP_4)
	v_fmac_f32_e32 v62, v67, v50
	v_fmac_f32_e32 v49, v59, v48
	v_fma_f32 v48, v58, v50, -v66
	s_waitcnt lgkmcnt(0)
	v_dual_mul_f32 v58, v58, v51 :: v_dual_mul_f32 v51, v53, v45
	v_add_f32_e32 v68, v60, v62
	ds_load_b128 v[60:63], v39 offset:4288
	v_dual_add_f32 v1, v1, v49 :: v_dual_fmac_f32 v58, v59, v50
	v_add_f32_e32 v71, v56, v48
	v_fma_f32 v56, v52, v44, -v51
	ds_load_2addr_b64 v[48:51], v0 offset0:32 offset1:48
	v_dual_mul_f32 v70, v52, v45 :: v_dual_mul_f32 v59, v53, v47
	v_mul_f32_e32 v73, v52, v47
	v_add_f32_e32 v69, v64, v65
	ds_load_b128 v[64:67], v39 offset:208
	v_fmac_f32_e32 v70, v53, v44
	v_fma_f32 v52, v52, v46, -v59
	v_fmac_f32_e32 v73, v53, v46
	v_add_f32_e32 v25, v25, v58
	s_delay_alu instid0(VALU_DEP_4) | instskip(NEXT) | instid1(VALU_DEP_4)
	v_dual_add_f32 v72, v57, v56 :: v_dual_add_f32 v3, v3, v70
	v_add_f32_e32 v2, v2, v52
	ds_load_b128 v[56:59], v39 offset:4304
	v_add_f32_e32 v68, v68, v73
	s_waitcnt lgkmcnt(3)
	v_mul_f32_e32 v70, v61, v45
	v_dual_mul_f32 v45, v60, v45 :: v_dual_mul_f32 v52, v61, v47
	s_delay_alu instid0(VALU_DEP_2) | instskip(NEXT) | instid1(VALU_DEP_2)
	v_fma_f32 v53, v60, v44, -v70
	v_dual_fmac_f32 v45, v61, v44 :: v_dual_mul_f32 v70, v60, v47
	s_delay_alu instid0(VALU_DEP_3)
	v_fma_f32 v44, v60, v46, -v52
	s_waitcnt lgkmcnt(2)
	v_mul_f32_e32 v47, v55, v49
	v_add_f32_e32 v52, v69, v53
	v_add_f32_e32 v1, v1, v45
	v_dual_fmac_f32 v70, v61, v46 :: v_dual_add_f32 v53, v71, v44
	s_delay_alu instid0(VALU_DEP_4) | instskip(SKIP_3) | instid1(VALU_DEP_2)
	v_fma_f32 v61, v54, v48, -v47
	ds_load_2addr_b64 v[44:47], v0 offset0:64 offset1:80
	v_dual_mul_f32 v60, v54, v49 :: v_dual_mul_f32 v69, v55, v51
	v_dual_add_f32 v25, v25, v70 :: v_dual_mul_f32 v70, v54, v51
	v_dual_add_f32 v61, v72, v61 :: v_dual_fmac_f32 v60, v55, v48
	s_delay_alu instid0(VALU_DEP_3) | instskip(SKIP_1) | instid1(VALU_DEP_4)
	v_fma_f32 v54, v54, v50, -v69
	v_mul_f32_e32 v69, v63, v49
	v_dual_mul_f32 v49, v62, v49 :: v_dual_fmac_f32 v70, v55, v50
	s_delay_alu instid0(VALU_DEP_3) | instskip(NEXT) | instid1(VALU_DEP_3)
	v_dual_add_f32 v3, v3, v60 :: v_dual_add_f32 v2, v2, v54
	v_fma_f32 v54, v62, v48, -v69
	s_delay_alu instid0(VALU_DEP_3) | instskip(SKIP_2) | instid1(VALU_DEP_3)
	v_fmac_f32_e32 v49, v63, v48
	v_mul_f32_e32 v48, v63, v51
	v_dual_mul_f32 v60, v62, v51 :: v_dual_add_f32 v55, v68, v70
	v_dual_add_f32 v52, v52, v54 :: v_dual_add_f32 v1, v1, v49
	s_delay_alu instid0(VALU_DEP_3)
	v_fma_f32 v54, v62, v50, -v48
	s_waitcnt lgkmcnt(0)
	v_mul_f32_e32 v62, v65, v45
	v_fmac_f32_e32 v60, v63, v50
	ds_load_2addr_b64 v[48:51], v0 offset0:96 offset1:112
	v_dual_mul_f32 v68, v64, v47 :: v_dual_add_f32 v53, v53, v54
	v_fma_f32 v54, v64, v44, -v62
	v_mul_f32_e32 v62, v65, v47
	v_add_f32_e32 v25, v25, v60
	s_delay_alu instid0(VALU_DEP_4) | instskip(NEXT) | instid1(VALU_DEP_4)
	v_dual_mul_f32 v63, v64, v45 :: v_dual_fmac_f32 v68, v65, v46
	v_add_f32_e32 v60, v61, v54
	s_delay_alu instid0(VALU_DEP_4)
	v_fma_f32 v54, v64, v46, -v62
	v_mul_f32_e32 v61, v57, v45
	v_mul_f32_e32 v45, v56, v45
	v_fmac_f32_e32 v63, v65, v44
	v_add_f32_e32 v62, v55, v68
	v_add_f32_e32 v2, v2, v54
	v_mul_f32_e32 v54, v57, v47
	v_fma_f32 v55, v56, v44, -v61
	v_fmac_f32_e32 v45, v57, v44
	v_mul_f32_e32 v61, v56, v47
	v_add_f32_e32 v3, v3, v63
	v_fma_f32 v44, v56, v46, -v54
	s_waitcnt lgkmcnt(0)
	v_dual_mul_f32 v47, v67, v49 :: v_dual_add_f32 v56, v52, v55
	v_add_f32_e32 v1, v1, v45
	v_fmac_f32_e32 v61, v57, v46
	v_add_f32_e32 v57, v53, v44
	s_delay_alu instid0(VALU_DEP_4)
	v_fma_f32 v63, v66, v48, -v47
	ds_load_2addr_b64 v[44:47], v0 offset0:128 offset1:144
	ds_load_b128 v[52:55], v39 offset:224
	v_dual_mul_f32 v64, v66, v49 :: v_dual_mul_f32 v65, v67, v51
	v_add_f32_e32 v25, v25, v61
	v_mul_f32_e32 v61, v66, v51
	v_add_f32_e32 v68, v60, v63
	s_delay_alu instid0(VALU_DEP_4) | instskip(SKIP_4) | instid1(VALU_DEP_4)
	v_fmac_f32_e32 v64, v67, v48
	v_fma_f32 v65, v66, v50, -v65
	v_mul_f32_e32 v60, v59, v49
	v_fmac_f32_e32 v61, v67, v50
	v_mul_f32_e32 v49, v58, v49
	v_dual_add_f32 v3, v3, v64 :: v_dual_add_f32 v2, v2, v65
	s_delay_alu instid0(VALU_DEP_4)
	v_fma_f32 v64, v58, v48, -v60
	v_mul_f32_e32 v65, v59, v51
	v_add_f32_e32 v69, v62, v61
	ds_load_b128 v[60:63], v39 offset:4320
	v_fmac_f32_e32 v49, v59, v48
	v_add_f32_e32 v70, v56, v64
	v_mul_f32_e32 v56, v58, v51
	v_fma_f32 v48, v58, v50, -v65
	ds_load_b128 v[64:67], v39 offset:240
	s_waitcnt lgkmcnt(2)
	v_mul_f32_e32 v51, v53, v45
	v_dual_add_f32 v1, v1, v49 :: v_dual_fmac_f32 v56, v59, v50
	v_dual_add_f32 v71, v57, v48 :: v_dual_mul_f32 v72, v52, v45
	s_delay_alu instid0(VALU_DEP_3) | instskip(SKIP_4) | instid1(VALU_DEP_3)
	v_fma_f32 v57, v52, v44, -v51
	ds_load_2addr_b64 v[48:51], v0 offset0:160 offset1:176
	v_mul_f32_e32 v58, v53, v47
	v_dual_mul_f32 v73, v52, v47 :: v_dual_fmac_f32 v72, v53, v44
	v_dual_add_f32 v68, v68, v57 :: v_dual_add_f32 v25, v25, v56
	v_fma_f32 v52, v52, v46, -v58
	s_delay_alu instid0(VALU_DEP_3)
	v_fmac_f32_e32 v73, v53, v46
	s_waitcnt lgkmcnt(2)
	v_mul_f32_e32 v74, v61, v45
	v_mul_f32_e32 v45, v60, v45
	;; [unrolled: 1-line block ×3, first 2 shown]
	v_add_f32_e32 v3, v3, v72
	v_add_f32_e32 v2, v2, v52
	v_fma_f32 v52, v60, v44, -v74
	v_dual_fmac_f32 v45, v61, v44 :: v_dual_mul_f32 v72, v60, v47
	v_fma_f32 v44, v60, v46, -v53
	ds_load_b128 v[56:59], v39 offset:4336
	v_dual_add_f32 v52, v70, v52 :: v_dual_add_f32 v1, v1, v45
	s_waitcnt lgkmcnt(1)
	v_dual_mul_f32 v47, v55, v49 :: v_dual_fmac_f32 v72, v61, v46
	v_dual_mul_f32 v53, v54, v49 :: v_dual_add_f32 v60, v71, v44
	v_mul_f32_e32 v70, v55, v51
	s_delay_alu instid0(VALU_DEP_3)
	v_fma_f32 v61, v54, v48, -v47
	ds_load_2addr_b64 v[44:47], v0 offset0:192 offset1:208
	v_fmac_f32_e32 v53, v55, v48
	v_add_f32_e32 v25, v25, v72
	v_add_f32_e32 v69, v69, v73
	v_dual_add_f32 v61, v68, v61 :: v_dual_mul_f32 v68, v54, v51
	v_fma_f32 v54, v54, v50, -v70
	v_add_f32_e32 v53, v3, v53
	v_mul_f32_e32 v3, v63, v49
	s_delay_alu instid0(VALU_DEP_4) | instskip(NEXT) | instid1(VALU_DEP_4)
	v_dual_mul_f32 v49, v62, v49 :: v_dual_fmac_f32 v68, v55, v50
	v_add_f32_e32 v54, v2, v54
	v_mul_f32_e32 v2, v63, v51
	s_delay_alu instid0(VALU_DEP_4) | instskip(NEXT) | instid1(VALU_DEP_4)
	v_fma_f32 v3, v62, v48, -v3
	v_fmac_f32_e32 v49, v63, v48
	v_dual_mul_f32 v51, v62, v51 :: v_dual_add_f32 v48, v69, v68
	s_delay_alu instid0(VALU_DEP_4) | instskip(NEXT) | instid1(VALU_DEP_3)
	v_fma_f32 v2, v62, v50, -v2
	v_dual_add_f32 v52, v52, v3 :: v_dual_add_f32 v49, v1, v49
	s_waitcnt lgkmcnt(0)
	v_mul_f32_e32 v55, v65, v45
	v_fmac_f32_e32 v51, v63, v50
	v_add_f32_e32 v50, v60, v2
	ds_load_2addr_b64 v[0:3], v0 offset0:224 offset1:240
	v_mul_f32_e32 v60, v64, v45
	v_fma_f32 v55, v64, v44, -v55
	v_add_f32_e32 v25, v25, v51
	v_mul_f32_e32 v51, v65, v47
	v_mul_f32_e32 v62, v64, v47
	v_fmac_f32_e32 v60, v65, v44
	v_add_f32_e32 v55, v61, v55
	v_mul_f32_e32 v61, v57, v45
	v_fma_f32 v51, v64, v46, -v51
	v_mul_f32_e32 v45, v56, v45
	v_add_f32_e32 v53, v53, v60
	v_fmac_f32_e32 v62, v65, v46
	v_fma_f32 v60, v56, v44, -v61
	v_add_f32_e32 v51, v54, v51
	v_mul_f32_e32 v54, v57, v47
	v_fmac_f32_e32 v45, v57, v44
	v_mul_f32_e32 v47, v56, v47
	v_add_f32_e32 v44, v52, v60
	v_add_f32_e32 v48, v48, v62
	v_fma_f32 v52, v56, v46, -v54
	s_waitcnt lgkmcnt(0)
	v_mul_f32_e32 v54, v67, v1
	v_mul_f32_e32 v56, v66, v1
	v_add_f32_e32 v60, v49, v45
	v_dual_fmac_f32 v47, v57, v46 :: v_dual_mul_f32 v46, v67, v3
	s_delay_alu instid0(VALU_DEP_4) | instskip(NEXT) | instid1(VALU_DEP_4)
	v_fma_f32 v45, v66, v0, -v54
	v_fmac_f32_e32 v56, v67, v0
	v_add_f32_e32 v52, v50, v52
	v_mul_f32_e32 v54, v66, v3
	v_add_f32_e32 v25, v25, v47
	s_delay_alu instid0(VALU_DEP_4)
	v_dual_add_f32 v49, v55, v45 :: v_dual_add_f32 v50, v53, v56
	v_fma_f32 v45, v66, v2, -v46
	v_mul_f32_e32 v46, v59, v1
	v_mul_f32_e32 v1, v58, v1
	;; [unrolled: 1-line block ×3, first 2 shown]
	v_dual_mul_f32 v3, v58, v3 :: v_dual_fmac_f32 v54, v67, v2
	v_add_f32_e32 v47, v51, v45
	v_fma_f32 v45, v58, v0, -v46
	v_fmac_f32_e32 v1, v59, v0
	v_fma_f32 v0, v58, v2, -v53
	v_fmac_f32_e32 v3, v59, v2
	v_add_f32_e32 v48, v48, v54
	v_add_f32_e32 v45, v44, v45
	;; [unrolled: 1-line block ×3, first 2 shown]
	s_delay_alu instid0(VALU_DEP_4)
	v_dual_add_f32 v44, v52, v0 :: v_dual_add_f32 v25, v25, v3
	s_barrier
	buffer_gl0_inv
	s_cbranch_scc1 .LBB73_55
.LBB73_7:                               ;   Parent Loop BB73_4 Depth=1
                                        ; =>  This Inner Loop Header: Depth=2
	v_add_co_u32 v0, s5, v36, s16
	s_delay_alu instid0(VALU_DEP_1) | instskip(SKIP_1) | instid1(VALU_DEP_2)
	v_add_co_ci_u32_e64 v1, null, 0, s17, s5
	v_cmp_eq_u64_e64 s7, s[16:17], v[16:17]
	v_cmp_le_i64_e64 s6, s[12:13], v[0:1]
	v_cmp_gt_i64_e64 s5, v[0:1], v[6:7]
	s_delay_alu instid0(VALU_DEP_3) | instskip(NEXT) | instid1(VALU_DEP_1)
	s_and_b32 s21, s39, s7
	s_or_b32 s7, s6, s5
	s_delay_alu instid0(SALU_CYCLE_1) | instskip(SKIP_1) | instid1(VALU_DEP_1)
	s_or_b32 s8, s7, s21
	v_add_co_u32 v2, s7, v34, v26
	v_add_co_ci_u32_e64 v3, s7, v35, v27, s7
	s_or_b32 s7, s0, s8
	s_delay_alu instid0(SALU_CYCLE_1) | instskip(NEXT) | instid1(SALU_CYCLE_1)
	s_xor_b32 s7, s7, -1
	s_and_saveexec_b32 s8, s7
	s_delay_alu instid0(SALU_CYCLE_1)
	s_xor_b32 s7, exec_lo, s8
	s_cbranch_execz .LBB73_9
; %bb.8:                                ;   in Loop: Header=BB73_7 Depth=2
	global_load_b64 v[51:52], v[2:3], off
	s_waitcnt vmcnt(0)
	ds_store_b64 v40, v[51:52]
.LBB73_9:                               ;   in Loop: Header=BB73_7 Depth=2
	s_or_saveexec_b32 s7, s7
	s_xor_b32 s20, s21, -1
	s_xor_b32 exec_lo, exec_lo, s7
	s_cbranch_execz .LBB73_15
; %bb.10:                               ;   in Loop: Header=BB73_7 Depth=2
	s_and_saveexec_b32 s8, s20
	s_delay_alu instid0(SALU_CYCLE_1)
	s_xor_b32 s8, exec_lo, s8
	s_cbranch_execz .LBB73_12
; %bb.11:                               ;   in Loop: Header=BB73_7 Depth=2
	v_mov_b32_e32 v51, v5
	v_mov_b32_e32 v52, v5
	ds_store_b64 v40, v[51:52]
.LBB73_12:                              ;   in Loop: Header=BB73_7 Depth=2
	s_and_not1_saveexec_b32 s8, s8
	s_cbranch_execz .LBB73_14
; %bb.13:                               ;   in Loop: Header=BB73_7 Depth=2
	ds_store_b64 v40, v[4:5]
.LBB73_14:                              ;   in Loop: Header=BB73_7 Depth=2
	s_or_b32 exec_lo, exec_lo, s8
.LBB73_15:                              ;   in Loop: Header=BB73_7 Depth=2
	s_delay_alu instid0(SALU_CYCLE_1) | instskip(SKIP_2) | instid1(VALU_DEP_2)
	s_or_b32 exec_lo, exec_lo, s7
	v_cmp_eq_u64_e64 s7, s[16:17], v[18:19]
	v_cmp_lt_i64_e64 s8, v[8:9], v[0:1]
	s_and_b32 s7, s39, s7
	s_delay_alu instid0(VALU_DEP_1) | instskip(NEXT) | instid1(SALU_CYCLE_1)
	s_or_b32 s6, s6, s8
	s_or_b32 s6, s6, s7
	s_delay_alu instid0(SALU_CYCLE_1) | instskip(NEXT) | instid1(SALU_CYCLE_1)
	s_or_b32 s6, s1, s6
	s_xor_b32 s6, s6, -1
	s_delay_alu instid0(SALU_CYCLE_1) | instskip(NEXT) | instid1(SALU_CYCLE_1)
	s_and_saveexec_b32 s8, s6
	s_xor_b32 s6, exec_lo, s8
	s_cbranch_execz .LBB73_17
; %bb.16:                               ;   in Loop: Header=BB73_7 Depth=2
	global_load_b64 v[2:3], v[2:3], off offset:128
	s_waitcnt vmcnt(0)
	ds_store_b64 v40, v[2:3] offset:128
.LBB73_17:                              ;   in Loop: Header=BB73_7 Depth=2
	s_and_not1_saveexec_b32 s6, s6
	s_cbranch_execz .LBB73_23
; %bb.18:                               ;   in Loop: Header=BB73_7 Depth=2
	s_xor_b32 s7, s7, -1
	s_delay_alu instid0(SALU_CYCLE_1) | instskip(NEXT) | instid1(SALU_CYCLE_1)
	s_and_saveexec_b32 s8, s7
	s_xor_b32 s7, exec_lo, s8
	s_cbranch_execz .LBB73_20
; %bb.19:                               ;   in Loop: Header=BB73_7 Depth=2
	v_mov_b32_e32 v2, v5
	v_mov_b32_e32 v3, v5
	ds_store_b64 v40, v[2:3] offset:128
.LBB73_20:                              ;   in Loop: Header=BB73_7 Depth=2
	s_and_not1_saveexec_b32 s7, s7
	s_cbranch_execz .LBB73_22
; %bb.21:                               ;   in Loop: Header=BB73_7 Depth=2
	ds_store_b64 v40, v[4:5] offset:128
.LBB73_22:                              ;   in Loop: Header=BB73_7 Depth=2
	s_or_b32 exec_lo, exec_lo, s7
.LBB73_23:                              ;   in Loop: Header=BB73_7 Depth=2
	s_delay_alu instid0(SALU_CYCLE_1) | instskip(SKIP_1) | instid1(VALU_DEP_1)
	s_or_b32 exec_lo, exec_lo, s6
	v_add_co_u32 v0, s6, v0, 16
	v_add_co_ci_u32_e64 v1, s6, 0, v1, s6
	v_cmp_eq_u64_e64 s7, s[16:17], v[20:21]
	s_delay_alu instid0(VALU_DEP_2) | instskip(SKIP_1) | instid1(VALU_DEP_3)
	v_cmp_le_i64_e64 s6, s[12:13], v[0:1]
	v_cmp_gt_i64_e64 s8, v[0:1], v[6:7]
	s_and_b32 s26, s39, s7
	s_delay_alu instid0(VALU_DEP_1) | instskip(NEXT) | instid1(SALU_CYCLE_1)
	s_or_b32 s7, s6, s8
	s_or_b32 s7, s7, s26
	s_delay_alu instid0(SALU_CYCLE_1) | instskip(NEXT) | instid1(SALU_CYCLE_1)
	s_or_b32 s7, s0, s7
	s_xor_b32 s7, s7, -1
	s_delay_alu instid0(SALU_CYCLE_1) | instskip(NEXT) | instid1(SALU_CYCLE_1)
	s_and_saveexec_b32 s8, s7
	s_xor_b32 s8, exec_lo, s8
	s_cbranch_execz .LBB73_25
; %bb.24:                               ;   in Loop: Header=BB73_7 Depth=2
	v_add_co_u32 v0, s7, v32, v26
	s_delay_alu instid0(VALU_DEP_1)
	v_add_co_ci_u32_e64 v1, s7, v33, v27, s7
	global_load_b64 v[0:1], v[0:1], off
	s_waitcnt vmcnt(0)
	ds_store_b64 v40, v[0:1] offset:4096
.LBB73_25:                              ;   in Loop: Header=BB73_7 Depth=2
	s_and_not1_saveexec_b32 s7, s8
	s_cbranch_execz .LBB73_31
; %bb.26:                               ;   in Loop: Header=BB73_7 Depth=2
	s_xor_b32 s8, s26, -1
	s_delay_alu instid0(SALU_CYCLE_1) | instskip(NEXT) | instid1(SALU_CYCLE_1)
	s_and_saveexec_b32 s26, s8
	s_xor_b32 s8, exec_lo, s26
	s_cbranch_execz .LBB73_28
; %bb.27:                               ;   in Loop: Header=BB73_7 Depth=2
	v_mov_b32_e32 v0, v5
	v_mov_b32_e32 v1, v5
	ds_store_b64 v40, v[0:1] offset:4096
.LBB73_28:                              ;   in Loop: Header=BB73_7 Depth=2
	s_and_not1_saveexec_b32 s8, s8
	s_cbranch_execz .LBB73_30
; %bb.29:                               ;   in Loop: Header=BB73_7 Depth=2
	ds_store_b64 v40, v[4:5] offset:4096
.LBB73_30:                              ;   in Loop: Header=BB73_7 Depth=2
	s_or_b32 exec_lo, exec_lo, s8
.LBB73_31:                              ;   in Loop: Header=BB73_7 Depth=2
	s_delay_alu instid0(SALU_CYCLE_1) | instskip(SKIP_1) | instid1(SALU_CYCLE_1)
	s_or_b32 exec_lo, exec_lo, s7
	s_or_b32 s5, s6, s5
	s_or_b32 s5, s5, s21
	s_delay_alu instid0(SALU_CYCLE_1) | instskip(NEXT) | instid1(SALU_CYCLE_1)
	s_or_b32 s5, s1, s5
	s_xor_b32 s5, s5, -1
	s_delay_alu instid0(SALU_CYCLE_1) | instskip(NEXT) | instid1(SALU_CYCLE_1)
	s_and_saveexec_b32 s6, s5
	s_xor_b32 s6, exec_lo, s6
	s_cbranch_execz .LBB73_33
; %bb.32:                               ;   in Loop: Header=BB73_7 Depth=2
	v_add_co_u32 v0, s5, v32, v26
	s_delay_alu instid0(VALU_DEP_1)
	v_add_co_ci_u32_e64 v1, s5, v33, v27, s5
	global_load_b64 v[0:1], v[0:1], off offset:128
	s_waitcnt vmcnt(0)
	ds_store_b64 v40, v[0:1] offset:4224
.LBB73_33:                              ;   in Loop: Header=BB73_7 Depth=2
	s_and_not1_saveexec_b32 s5, s6
	s_cbranch_execz .LBB73_39
; %bb.34:                               ;   in Loop: Header=BB73_7 Depth=2
	s_and_saveexec_b32 s6, s20
	s_delay_alu instid0(SALU_CYCLE_1)
	s_xor_b32 s6, exec_lo, s6
	s_cbranch_execz .LBB73_36
; %bb.35:                               ;   in Loop: Header=BB73_7 Depth=2
	v_mov_b32_e32 v0, v5
	v_mov_b32_e32 v1, v5
	ds_store_b64 v40, v[0:1] offset:4224
.LBB73_36:                              ;   in Loop: Header=BB73_7 Depth=2
	s_and_not1_saveexec_b32 s6, s6
	s_cbranch_execz .LBB73_38
; %bb.37:                               ;   in Loop: Header=BB73_7 Depth=2
	ds_store_b64 v40, v[4:5] offset:4224
.LBB73_38:                              ;   in Loop: Header=BB73_7 Depth=2
	s_or_b32 exec_lo, exec_lo, s6
.LBB73_39:                              ;   in Loop: Header=BB73_7 Depth=2
	s_delay_alu instid0(SALU_CYCLE_1) | instskip(SKIP_1) | instid1(VALU_DEP_1)
	s_or_b32 exec_lo, exec_lo, s5
	v_add_co_u32 v0, s5, v37, s16
	v_add_co_ci_u32_e64 v1, null, 0, s17, s5
	s_delay_alu instid0(VALU_DEP_1) | instskip(NEXT) | instid1(VALU_DEP_1)
	v_cmp_gt_i64_e64 s5, s[12:13], v[0:1]
	s_and_b32 s6, vcc_lo, s5
	s_delay_alu instid0(SALU_CYCLE_1) | instskip(NEXT) | instid1(SALU_CYCLE_1)
	s_xor_b32 s6, s6, -1
	s_and_saveexec_b32 s7, s6
	s_delay_alu instid0(SALU_CYCLE_1)
	s_xor_b32 s6, exec_lo, s7
	s_cbranch_execz .LBB73_41
; %bb.40:                               ;   in Loop: Header=BB73_7 Depth=2
	v_mov_b32_e32 v2, v5
	v_mov_b32_e32 v3, v5
	ds_store_b64 v41, v[2:3]
.LBB73_41:                              ;   in Loop: Header=BB73_7 Depth=2
	s_and_not1_saveexec_b32 s6, s6
	s_cbranch_execz .LBB73_43
; %bb.42:                               ;   in Loop: Header=BB73_7 Depth=2
	global_load_b64 v[2:3], v[28:29], off offset:-128
	s_waitcnt vmcnt(0)
	ds_store_b64 v41, v[2:3]
.LBB73_43:                              ;   in Loop: Header=BB73_7 Depth=2
	s_or_b32 exec_lo, exec_lo, s6
	v_cmp_gt_i64_e64 s6, s[22:23], v[0:1]
	s_delay_alu instid0(VALU_DEP_1) | instskip(NEXT) | instid1(SALU_CYCLE_1)
	s_and_b32 s7, vcc_lo, s6
	s_xor_b32 s7, s7, -1
	s_delay_alu instid0(SALU_CYCLE_1) | instskip(NEXT) | instid1(SALU_CYCLE_1)
	s_and_saveexec_b32 s8, s7
	s_xor_b32 s7, exec_lo, s8
	s_cbranch_execz .LBB73_45
; %bb.44:                               ;   in Loop: Header=BB73_7 Depth=2
	v_mov_b32_e32 v0, v5
	v_mov_b32_e32 v1, v5
	ds_store_b64 v41, v[0:1] offset:128
.LBB73_45:                              ;   in Loop: Header=BB73_7 Depth=2
	s_and_not1_saveexec_b32 s7, s7
	s_cbranch_execz .LBB73_47
; %bb.46:                               ;   in Loop: Header=BB73_7 Depth=2
	global_load_b64 v[0:1], v[28:29], off
	s_waitcnt vmcnt(0)
	ds_store_b64 v41, v[0:1] offset:128
.LBB73_47:                              ;   in Loop: Header=BB73_7 Depth=2
	s_or_b32 exec_lo, exec_lo, s7
	s_and_b32 s5, s4, s5
	s_delay_alu instid0(SALU_CYCLE_1) | instskip(NEXT) | instid1(SALU_CYCLE_1)
	s_xor_b32 s5, s5, -1
	s_and_saveexec_b32 s7, s5
	s_delay_alu instid0(SALU_CYCLE_1)
	s_xor_b32 s5, exec_lo, s7
	s_cbranch_execz .LBB73_49
; %bb.48:                               ;   in Loop: Header=BB73_7 Depth=2
	v_mov_b32_e32 v0, v5
	v_mov_b32_e32 v1, v5
	ds_store_b64 v41, v[0:1] offset:4096
.LBB73_49:                              ;   in Loop: Header=BB73_7 Depth=2
	s_and_not1_saveexec_b32 s5, s5
	s_cbranch_execz .LBB73_51
; %bb.50:                               ;   in Loop: Header=BB73_7 Depth=2
	global_load_b64 v[0:1], v[30:31], off offset:-128
	s_waitcnt vmcnt(0)
	ds_store_b64 v41, v[0:1] offset:4096
.LBB73_51:                              ;   in Loop: Header=BB73_7 Depth=2
	s_or_b32 exec_lo, exec_lo, s5
	s_and_b32 s5, s4, s6
	s_delay_alu instid0(SALU_CYCLE_1) | instskip(NEXT) | instid1(SALU_CYCLE_1)
	s_xor_b32 s5, s5, -1
	s_and_saveexec_b32 s6, s5
	s_delay_alu instid0(SALU_CYCLE_1)
	s_xor_b32 s5, exec_lo, s6
	s_cbranch_execz .LBB73_53
; %bb.52:                               ;   in Loop: Header=BB73_7 Depth=2
	v_mov_b32_e32 v0, v5
	v_mov_b32_e32 v1, v5
	ds_store_b64 v41, v[0:1] offset:4224
.LBB73_53:                              ;   in Loop: Header=BB73_7 Depth=2
	s_and_not1_saveexec_b32 s5, s5
	s_cbranch_execz .LBB73_6
; %bb.54:                               ;   in Loop: Header=BB73_7 Depth=2
	global_load_b64 v[0:1], v[30:31], off
	s_waitcnt vmcnt(0)
	ds_store_b64 v41, v[0:1] offset:4224
	s_branch .LBB73_6
.LBB73_55:                              ;   in Loop: Header=BB73_4 Depth=1
	v_mul_lo_u32 v2, v43, s40
	v_mul_lo_u32 v3, v42, s41
	v_mad_u64_u32 v[0:1], null, v42, s40, 0
	v_cmp_gt_i32_e32 vcc_lo, s10, v42
	s_delay_alu instid0(VALU_DEP_2) | instskip(NEXT) | instid1(VALU_DEP_1)
	v_add3_u32 v1, v1, v3, v2
	v_lshlrev_b64 v[0:1], 3, v[0:1]
	s_delay_alu instid0(VALU_DEP_1) | instskip(NEXT) | instid1(VALU_DEP_1)
	v_add_co_u32 v0, s4, s35, v0
	v_add_co_ci_u32_e64 v1, s4, s36, v1, s4
	s_and_b32 s4, s2, vcc_lo
	s_delay_alu instid0(SALU_CYCLE_1)
	s_and_saveexec_b32 s5, s4
	s_cbranch_execz .LBB73_57
; %bb.56:                               ;   in Loop: Header=BB73_4 Depth=1
	v_add_co_u32 v2, s4, v0, v26
	s_delay_alu instid0(VALU_DEP_1)
	v_add_co_ci_u32_e64 v3, s4, v1, v27, s4
	v_mul_f32_e32 v31, s11, v50
	v_mul_f32_e32 v30, s33, v50
	global_load_b64 v[28:29], v[2:3], off
	v_fmac_f32_e32 v31, s33, v49
	v_fma_f32 v30, v49, s11, -v30
	s_waitcnt vmcnt(0)
	s_delay_alu instid0(VALU_DEP_1)
	v_dual_add_f32 v28, v28, v30 :: v_dual_add_f32 v29, v29, v31
	global_store_b64 v[2:3], v[28:29], off
.LBB73_57:                              ;   in Loop: Header=BB73_4 Depth=1
	s_or_b32 exec_lo, exec_lo, s5
	s_and_b32 s5, s3, vcc_lo
	s_delay_alu instid0(SALU_CYCLE_1)
	s_and_saveexec_b32 s4, s5
	s_cbranch_execz .LBB73_59
; %bb.58:                               ;   in Loop: Header=BB73_4 Depth=1
	v_lshlrev_b64 v[2:3], 3, v[12:13]
	v_mul_f32_e32 v29, s11, v48
	s_delay_alu instid0(VALU_DEP_1) | instskip(NEXT) | instid1(VALU_DEP_3)
	v_dual_mul_f32 v28, s33, v48 :: v_dual_fmac_f32 v29, s33, v47
	v_add_co_u32 v0, vcc_lo, v0, v2
	s_delay_alu instid0(VALU_DEP_4) | instskip(NEXT) | instid1(VALU_DEP_3)
	v_add_co_ci_u32_e32 v1, vcc_lo, v1, v3, vcc_lo
	v_fma_f32 v28, v47, s11, -v28
	global_load_b64 v[2:3], v[0:1], off
	s_waitcnt vmcnt(0)
	v_dual_add_f32 v2, v2, v28 :: v_dual_add_f32 v3, v3, v29
	global_store_b64 v[0:1], v[2:3], off
.LBB73_59:                              ;   in Loop: Header=BB73_4 Depth=1
	s_or_b32 exec_lo, exec_lo, s4
	v_add_nc_u32_e32 v2, 16, v42
	s_delay_alu instid0(VALU_DEP_1) | instskip(SKIP_3) | instid1(VALU_DEP_4)
	v_ashrrev_i32_e32 v3, 31, v2
	v_mul_lo_u32 v28, v2, s41
	v_mad_u64_u32 v[0:1], null, v2, s40, 0
	v_cmp_gt_i32_e32 vcc_lo, s10, v2
	v_mul_lo_u32 v3, v3, s40
	s_delay_alu instid0(VALU_DEP_1) | instskip(NEXT) | instid1(VALU_DEP_1)
	v_add3_u32 v1, v1, v28, v3
	v_lshlrev_b64 v[0:1], 3, v[0:1]
	s_delay_alu instid0(VALU_DEP_1) | instskip(NEXT) | instid1(VALU_DEP_1)
	v_add_co_u32 v0, s4, s35, v0
	v_add_co_ci_u32_e64 v1, s4, s36, v1, s4
	s_and_b32 s4, s2, vcc_lo
	s_delay_alu instid0(SALU_CYCLE_1)
	s_and_saveexec_b32 s5, s4
	s_cbranch_execz .LBB73_61
; %bb.60:                               ;   in Loop: Header=BB73_4 Depth=1
	v_add_co_u32 v2, s4, v0, v26
	s_delay_alu instid0(VALU_DEP_1)
	v_add_co_ci_u32_e64 v3, s4, v1, v27, s4
	v_mul_f32_e32 v31, s11, v46
	v_mul_f32_e32 v30, s33, v46
	global_load_b64 v[28:29], v[2:3], off
	v_fmac_f32_e32 v31, s33, v45
	v_fma_f32 v30, v45, s11, -v30
	s_waitcnt vmcnt(0)
	s_delay_alu instid0(VALU_DEP_1)
	v_dual_add_f32 v28, v28, v30 :: v_dual_add_f32 v29, v29, v31
	global_store_b64 v[2:3], v[28:29], off
.LBB73_61:                              ;   in Loop: Header=BB73_4 Depth=1
	s_or_b32 exec_lo, exec_lo, s5
	s_and_b32 s5, s3, vcc_lo
	s_delay_alu instid0(SALU_CYCLE_1)
	s_and_saveexec_b32 s4, s5
	s_cbranch_execz .LBB73_3
; %bb.62:                               ;   in Loop: Header=BB73_4 Depth=1
	v_lshlrev_b64 v[2:3], 3, v[12:13]
	v_mul_f32_e32 v28, s33, v25
	s_delay_alu instid0(VALU_DEP_2) | instskip(NEXT) | instid1(VALU_DEP_3)
	v_add_co_u32 v0, vcc_lo, v0, v2
	v_add_co_ci_u32_e32 v1, vcc_lo, v1, v3, vcc_lo
	global_load_b64 v[2:3], v[0:1], off
	v_mul_f32_e32 v25, s11, v25
	s_delay_alu instid0(VALU_DEP_1) | instskip(SKIP_2) | instid1(VALU_DEP_1)
	v_fmac_f32_e32 v25, s33, v44
	v_fma_f32 v28, v44, s11, -v28
	s_waitcnt vmcnt(0)
	v_dual_add_f32 v2, v2, v28 :: v_dual_add_f32 v3, v3, v25
	global_store_b64 v[0:1], v[2:3], off
	s_branch .LBB73_3
.LBB73_63:
	s_nop 0
	s_sendmsg sendmsg(MSG_DEALLOC_VGPRS)
	s_endpgm
	.section	.rodata,"a",@progbits
	.p2align	6, 0x0
	.amdhsa_kernel _ZL30rocblas_trmm_outofplace_kernelI19rocblas_complex_numIfELi32ELi2ELb1ELb0ELb0ELb0ES1_KS1_S1_Ev17rocblas_diagonal_iiT6_lPT7_lllS6_lllPT8_llli
		.amdhsa_group_segment_fixed_size 16384
		.amdhsa_private_segment_fixed_size 0
		.amdhsa_kernarg_size 392
		.amdhsa_user_sgpr_count 13
		.amdhsa_user_sgpr_dispatch_ptr 0
		.amdhsa_user_sgpr_queue_ptr 0
		.amdhsa_user_sgpr_kernarg_segment_ptr 1
		.amdhsa_user_sgpr_dispatch_id 0
		.amdhsa_user_sgpr_private_segment_size 0
		.amdhsa_wavefront_size32 1
		.amdhsa_uses_dynamic_stack 0
		.amdhsa_enable_private_segment 0
		.amdhsa_system_sgpr_workgroup_id_x 1
		.amdhsa_system_sgpr_workgroup_id_y 1
		.amdhsa_system_sgpr_workgroup_id_z 1
		.amdhsa_system_sgpr_workgroup_info 0
		.amdhsa_system_vgpr_workitem_id 1
		.amdhsa_next_free_vgpr 85
		.amdhsa_next_free_sgpr 45
		.amdhsa_reserve_vcc 1
		.amdhsa_float_round_mode_32 0
		.amdhsa_float_round_mode_16_64 0
		.amdhsa_float_denorm_mode_32 3
		.amdhsa_float_denorm_mode_16_64 3
		.amdhsa_dx10_clamp 1
		.amdhsa_ieee_mode 1
		.amdhsa_fp16_overflow 0
		.amdhsa_workgroup_processor_mode 1
		.amdhsa_memory_ordered 1
		.amdhsa_forward_progress 0
		.amdhsa_shared_vgpr_count 0
		.amdhsa_exception_fp_ieee_invalid_op 0
		.amdhsa_exception_fp_denorm_src 0
		.amdhsa_exception_fp_ieee_div_zero 0
		.amdhsa_exception_fp_ieee_overflow 0
		.amdhsa_exception_fp_ieee_underflow 0
		.amdhsa_exception_fp_ieee_inexact 0
		.amdhsa_exception_int_div_zero 0
	.end_amdhsa_kernel
	.section	.text._ZL30rocblas_trmm_outofplace_kernelI19rocblas_complex_numIfELi32ELi2ELb1ELb0ELb0ELb0ES1_KS1_S1_Ev17rocblas_diagonal_iiT6_lPT7_lllS6_lllPT8_llli,"axG",@progbits,_ZL30rocblas_trmm_outofplace_kernelI19rocblas_complex_numIfELi32ELi2ELb1ELb0ELb0ELb0ES1_KS1_S1_Ev17rocblas_diagonal_iiT6_lPT7_lllS6_lllPT8_llli,comdat
.Lfunc_end73:
	.size	_ZL30rocblas_trmm_outofplace_kernelI19rocblas_complex_numIfELi32ELi2ELb1ELb0ELb0ELb0ES1_KS1_S1_Ev17rocblas_diagonal_iiT6_lPT7_lllS6_lllPT8_llli, .Lfunc_end73-_ZL30rocblas_trmm_outofplace_kernelI19rocblas_complex_numIfELi32ELi2ELb1ELb0ELb0ELb0ES1_KS1_S1_Ev17rocblas_diagonal_iiT6_lPT7_lllS6_lllPT8_llli
                                        ; -- End function
	.section	.AMDGPU.csdata,"",@progbits
; Kernel info:
; codeLenInByte = 7320
; NumSgprs: 47
; NumVgprs: 85
; ScratchSize: 0
; MemoryBound: 1
; FloatMode: 240
; IeeeMode: 1
; LDSByteSize: 16384 bytes/workgroup (compile time only)
; SGPRBlocks: 5
; VGPRBlocks: 10
; NumSGPRsForWavesPerEU: 47
; NumVGPRsForWavesPerEU: 85
; Occupancy: 16
; WaveLimiterHint : 0
; COMPUTE_PGM_RSRC2:SCRATCH_EN: 0
; COMPUTE_PGM_RSRC2:USER_SGPR: 13
; COMPUTE_PGM_RSRC2:TRAP_HANDLER: 0
; COMPUTE_PGM_RSRC2:TGID_X_EN: 1
; COMPUTE_PGM_RSRC2:TGID_Y_EN: 1
; COMPUTE_PGM_RSRC2:TGID_Z_EN: 1
; COMPUTE_PGM_RSRC2:TIDIG_COMP_CNT: 1
	.section	.text._ZL30rocblas_trmm_outofplace_kernelI19rocblas_complex_numIfELi32ELi2ELb1ELb1ELb0ELb0EPKS1_S2_S1_Ev17rocblas_diagonal_iiT6_lPT7_lllS7_lllPT8_llli,"axG",@progbits,_ZL30rocblas_trmm_outofplace_kernelI19rocblas_complex_numIfELi32ELi2ELb1ELb1ELb0ELb0EPKS1_S2_S1_Ev17rocblas_diagonal_iiT6_lPT7_lllS7_lllPT8_llli,comdat
	.globl	_ZL30rocblas_trmm_outofplace_kernelI19rocblas_complex_numIfELi32ELi2ELb1ELb1ELb0ELb0EPKS1_S2_S1_Ev17rocblas_diagonal_iiT6_lPT7_lllS7_lllPT8_llli ; -- Begin function _ZL30rocblas_trmm_outofplace_kernelI19rocblas_complex_numIfELi32ELi2ELb1ELb1ELb0ELb0EPKS1_S2_S1_Ev17rocblas_diagonal_iiT6_lPT7_lllS7_lllPT8_llli
	.p2align	8
	.type	_ZL30rocblas_trmm_outofplace_kernelI19rocblas_complex_numIfELi32ELi2ELb1ELb1ELb0ELb0EPKS1_S2_S1_Ev17rocblas_diagonal_iiT6_lPT7_lllS7_lllPT8_llli,@function
_ZL30rocblas_trmm_outofplace_kernelI19rocblas_complex_numIfELi32ELi2ELb1ELb1ELb0ELb0EPKS1_S2_S1_Ev17rocblas_diagonal_iiT6_lPT7_lllS7_lllPT8_llli: ; @_ZL30rocblas_trmm_outofplace_kernelI19rocblas_complex_numIfELi32ELi2ELb1ELb1ELb0ELb0EPKS1_S2_S1_Ev17rocblas_diagonal_iiT6_lPT7_lllS7_lllPT8_llli
; %bb.0:
	s_load_b512 s[16:31], s[0:1], 0x10
	s_waitcnt lgkmcnt(0)
	s_mul_i32 s2, s15, s19
	s_mul_hi_u32 s3, s15, s18
	s_delay_alu instid0(SALU_CYCLE_1) | instskip(SKIP_1) | instid1(SALU_CYCLE_1)
	s_add_i32 s3, s3, s2
	s_mul_i32 s2, s15, s18
	s_lshl_b64 s[2:3], s[2:3], 3
	s_delay_alu instid0(SALU_CYCLE_1) | instskip(SKIP_4) | instid1(SALU_CYCLE_1)
	s_add_u32 s2, s16, s2
	s_addc_u32 s3, s17, s3
	s_load_b64 s[34:35], s[2:3], 0x0
	s_waitcnt lgkmcnt(0)
	s_or_b32 s2, s34, s35
	s_bitset0_b32 s2, 31
	s_delay_alu instid0(SALU_CYCLE_1)
	s_cmp_eq_u32 s2, 0
	s_cbranch_scc1 .LBB74_63
; %bb.1:
	s_load_b128 s[8:11], s[0:1], 0x0
	s_waitcnt lgkmcnt(0)
	s_add_i32 s2, s10, -1
	s_delay_alu instid0(SALU_CYCLE_1) | instskip(NEXT) | instid1(SALU_CYCLE_1)
	s_ashr_i32 s3, s2, 31
	s_lshr_b32 s3, s3, 27
	s_delay_alu instid0(SALU_CYCLE_1) | instskip(NEXT) | instid1(SALU_CYCLE_1)
	s_add_i32 s2, s2, s3
	s_ashr_i32 s11, s2, 5
	s_delay_alu instid0(SALU_CYCLE_1)
	s_cmp_gt_i32 s14, s11
	s_cbranch_scc1 .LBB74_63
; %bb.2:
	s_clause 0x1
	s_load_b128 s[16:19], s[0:1], 0x70
	s_load_b256 s[36:43], s[0:1], 0x50
	s_mul_i32 s3, s15, s27
	s_mul_hi_u32 s4, s15, s26
	s_mul_i32 s2, s15, s26
	s_add_i32 s3, s4, s3
	s_load_b32 s33, s[0:1], 0x8c
	s_lshl_b64 s[4:5], s[2:3], 3
	v_bfe_u32 v36, v0, 10, 10
	s_add_u32 s2, s20, s4
	s_addc_u32 s3, s21, s5
	s_lshl_b64 s[6:7], s[22:23], 3
	v_dual_mov_b32 v27, 0 :: v_dual_and_b32 v0, 0x3ff, v0
	s_add_u32 s2, s2, s6
	s_addc_u32 s3, s3, s7
	v_dual_mov_b32 v26, 1.0 :: v_dual_lshlrev_b32 v1, 8, v36
	s_delay_alu instid0(VALU_DEP_2)
	v_lshlrev_b32_e32 v37, 3, v0
	v_lshl_add_u32 v24, s14, 5, v36
	s_waitcnt lgkmcnt(0)
	s_mul_i32 s1, s15, s19
	s_mul_hi_u32 s12, s15, s18
	s_mul_i32 s0, s15, s18
	s_add_i32 s1, s12, s1
	v_add_nc_u32_e32 v38, 0x2000, v1
	s_lshl_b64 s[0:1], s[0:1], 3
	v_add_nc_u32_e32 v39, v37, v1
	s_add_u32 s12, s40, s0
	s_addc_u32 s18, s41, s1
	s_lshl_b64 s[0:1], s[42:43], 3
	s_mul_hi_u32 s26, s38, s15
	s_add_u32 s40, s12, s0
	s_addc_u32 s41, s18, s1
	s_lshl_b32 s0, s13, 5
	s_mov_b32 s12, s9
	v_add_nc_u32_e32 v4, s0, v36
	v_add_nc_u32_e32 v6, s0, v0
	s_sub_i32 s42, s9, s0
	v_add_nc_u32_e32 v40, v38, v37
	s_cmp_gt_i32 s42, 0
	v_ashrrev_i32_e32 v5, 31, v4
	v_mul_lo_u32 v2, v4, s25
	v_mad_u64_u32 v[0:1], null, v4, s24, 0
	v_ashrrev_i32_e32 v7, 31, v6
	s_delay_alu instid0(VALU_DEP_4)
	v_mul_lo_u32 v3, v5, s24
	v_add_nc_u32_e32 v8, 16, v6
	v_add_co_u32 v10, vcc_lo, v6, 16
	s_cselect_b32 s43, -1, 0
	s_cmpk_eq_i32 s8, 0x84
	v_add_co_ci_u32_e32 v11, vcc_lo, 0, v7, vcc_lo
	s_delay_alu instid0(VALU_DEP_4)
	v_add3_u32 v1, v1, v2, v3
	s_cselect_b32 s44, -1, 0
	s_ashr_i32 s13, s9, 31
	s_ashr_i32 s45, s10, 31
	s_lshl_b64 s[18:19], s[24:25], 8
	v_lshlrev_b64 v[0:1], 3, v[0:1]
	s_mul_i32 s8, s39, s15
	s_add_u32 s22, s9, -16
	v_cmp_le_i32_e64 s0, s9, v6
	s_addc_u32 s23, s13, -1
	v_cmp_le_i64_e64 s1, s[12:13], v[10:11]
	v_add_co_u32 v12, vcc_lo, s2, v0
	v_add_co_ci_u32_e32 v13, vcc_lo, s3, v1, vcc_lo
	v_cmp_gt_i32_e64 s2, s9, v6
	v_cmp_gt_i32_e64 s3, s9, v8
	s_add_i32 s9, s26, s8
	s_mul_i32 s8, s38, s15
	s_lshl_b64 s[26:27], s[30:31], 3
	s_lshl_b64 s[8:9], s[8:9], 3
	v_lshlrev_b64 v[0:1], 3, v[4:5]
	s_add_u32 s8, s8, s26
	v_sub_co_u32 v14, vcc_lo, v6, v4
	s_addc_u32 s9, s9, s27
	s_add_u32 s8, s8, s28
	v_sub_co_ci_u32_e32 v15, vcc_lo, v7, v5, vcc_lo
	s_addc_u32 s9, s9, s29
	s_add_u32 s26, s8, 0x80
	v_add_co_u32 v0, vcc_lo, 0x80, v0
	s_addc_u32 s27, s9, 0
	s_lshl_b64 s[28:29], s[36:37], 3
	s_lshl_b32 s9, s33, 5
	v_add_co_ci_u32_e32 v1, vcc_lo, 0, v1, vcc_lo
	s_add_u32 s6, s20, s6
	s_addc_u32 s7, s21, s7
	s_add_u32 s4, s6, s4
	s_addc_u32 s5, s7, s5
	v_mul_lo_u32 v1, s24, v1
	v_mad_u64_u32 v[16:17], null, s24, v0, s[4:5]
	v_mul_lo_u32 v0, s25, v0
	v_add_co_u32 v18, vcc_lo, v14, 16
	v_add_co_ci_u32_e32 v19, vcc_lo, 0, v15, vcc_lo
	v_add_co_u32 v20, vcc_lo, v14, -16
	v_lshlrev_b64 v[22:23], 3, v[6:7]
	v_ashrrev_i32_e32 v9, 31, v8
	v_add_co_ci_u32_e32 v21, vcc_lo, -1, v15, vcc_lo
	v_add3_u32 v17, v0, v17, v1
	s_branch .LBB74_4
.LBB74_3:                               ;   in Loop: Header=BB74_4 Depth=1
	s_or_b32 exec_lo, exec_lo, s4
	v_add_nc_u32_e32 v24, s9, v24
	s_add_i32 s14, s33, s14
	s_delay_alu instid0(SALU_CYCLE_1)
	s_cmp_le_i32 s14, s11
	s_cbranch_scc0 .LBB74_63
.LBB74_4:                               ; =>This Loop Header: Depth=1
                                        ;     Child Loop BB74_7 Depth 2
	v_lshl_add_u32 v41, s14, 5, v36
	v_mov_b32_e32 v48, v27
	v_mov_b32_e32 v49, v27
	;; [unrolled: 1-line block ×4, first 2 shown]
	v_ashrrev_i32_e32 v42, 31, v41
	v_mov_b32_e32 v44, v27
	v_mov_b32_e32 v45, v27
	;; [unrolled: 1-line block ×4, first 2 shown]
	s_and_not1_b32 vcc_lo, exec_lo, s43
	s_cbranch_vccnz .LBB74_55
; %bb.5:                                ;   in Loop: Header=BB74_4 Depth=1
	v_ashrrev_i32_e32 v25, 31, v24
	v_mad_u64_u32 v[28:29], null, s28, v24, s[26:27]
	v_mul_lo_u32 v2, s29, v24
	v_mov_b32_e32 v33, v17
	s_delay_alu instid0(VALU_DEP_4)
	v_lshlrev_b64 v[0:1], 3, v[24:25]
	v_mul_lo_u32 v43, s28, v25
	v_mov_b32_e32 v35, v13
	v_dual_mov_b32 v25, 0 :: v_dual_mov_b32 v32, v16
	v_mov_b32_e32 v34, v12
	v_add_co_u32 v3, vcc_lo, 0x80, v0
	v_add_co_ci_u32_e32 v30, vcc_lo, 0, v1, vcc_lo
	v_sub_co_u32 v0, vcc_lo, s10, v41
	s_delay_alu instid0(VALU_DEP_3) | instskip(NEXT) | instid1(VALU_DEP_3)
	v_mul_lo_u32 v45, s37, v3
	v_mul_lo_u32 v44, s36, v30
	v_mad_u64_u32 v[30:31], null, s36, v3, s[26:27]
	v_sub_co_ci_u32_e32 v1, vcc_lo, s45, v42, vcc_lo
	v_add3_u32 v29, v2, v29, v43
	v_dual_mov_b32 v43, 0 :: v_dual_mov_b32 v46, 0
	s_delay_alu instid0(VALU_DEP_3)
	v_cmp_lt_i64_e32 vcc_lo, 0, v[0:1]
	v_cmp_lt_i64_e64 s4, 16, v[0:1]
	v_add3_u32 v31, v45, v31, v44
	v_dual_mov_b32 v45, 0 :: v_dual_mov_b32 v48, 0
	v_dual_mov_b32 v44, 0 :: v_dual_mov_b32 v47, 0
	v_mov_b32_e32 v49, 0
	s_mov_b64 s[20:21], 0
	s_branch .LBB74_7
.LBB74_6:                               ;   in Loop: Header=BB74_7 Depth=2
	s_or_b32 exec_lo, exec_lo, s6
	s_waitcnt lgkmcnt(0)
	s_waitcnt_vscnt null, 0x0
	s_barrier
	buffer_gl0_inv
	ds_load_2addr_b64 v[50:53], v37 offset1:16
	ds_load_b128 v[54:57], v38
	ds_load_b128 v[58:61], v38 offset:4096
	ds_load_b128 v[62:65], v38 offset:16
	;; [unrolled: 1-line block ×4, first 2 shown]
	ds_load_2addr_b64 v[70:73], v37 offset0:32 offset1:48
	ds_load_b128 v[74:77], v38 offset:4112
	v_add_co_u32 v28, s5, 0x100, v28
	s_delay_alu instid0(VALU_DEP_1) | instskip(SKIP_1) | instid1(VALU_DEP_1)
	v_add_co_ci_u32_e64 v29, s5, 0, v29, s5
	v_add_co_u32 v34, s5, v34, s18
	v_add_co_ci_u32_e64 v35, s5, s19, v35, s5
	v_add_co_u32 v32, s5, v32, s18
	s_delay_alu instid0(VALU_DEP_1)
	v_add_co_ci_u32_e64 v33, s5, s19, v33, s5
	v_add_co_u32 v30, s5, 0x100, v30
	s_waitcnt lgkmcnt(6)
	v_dual_mul_f32 v78, v55, v51 :: v_dual_mul_f32 v81, v54, v53
	v_dual_mul_f32 v79, v54, v51 :: v_dual_mul_f32 v80, v55, v53
	s_waitcnt lgkmcnt(5)
	v_mul_f32_e32 v82, v59, v51
	s_delay_alu instid0(VALU_DEP_3)
	v_fma_f32 v78, v54, v50, -v78
	v_mul_f32_e32 v51, v58, v51
	v_fmac_f32_e32 v79, v55, v50
	v_fma_f32 v54, v54, v52, -v80
	v_mul_f32_e32 v83, v59, v53
	v_mul_f32_e32 v53, v58, v53
	v_fmac_f32_e32 v81, v55, v52
	v_fma_f32 v55, v58, v50, -v82
	v_add_f32_e32 v48, v48, v78
	v_fmac_f32_e32 v51, v59, v50
	v_add_f32_e32 v54, v46, v54
	v_fma_f32 v50, v58, v52, -v83
	s_waitcnt lgkmcnt(1)
	v_mul_f32_e32 v58, v57, v71
	v_add_f32_e32 v49, v49, v79
	v_add_co_ci_u32_e64 v31, s5, 0, v31, s5
	v_add_f32_e32 v50, v43, v50
	s_delay_alu instid0(VALU_DEP_4) | instskip(SKIP_2) | instid1(VALU_DEP_3)
	v_fma_f32 v58, v56, v70, -v58
	v_dual_fmac_f32 v53, v59, v52 :: v_dual_mul_f32 v52, v56, v71
	v_mul_f32_e32 v59, v57, v73
	v_dual_add_f32 v47, v47, v81 :: v_dual_add_f32 v58, v48, v58
	s_delay_alu instid0(VALU_DEP_3) | instskip(NEXT) | instid1(VALU_DEP_4)
	v_add_f32_e32 v25, v25, v53
	v_dual_fmac_f32 v52, v57, v70 :: v_dual_add_f32 v55, v44, v55
	v_mul_f32_e32 v53, v56, v73
	v_fma_f32 v48, v56, v72, -v59
	v_mul_f32_e32 v56, v61, v71
	v_add_f32_e32 v51, v45, v51
	ds_load_2addr_b64 v[43:46], v37 offset0:64 offset1:80
	v_add_f32_e32 v52, v49, v52
	v_add_f32_e32 v54, v54, v48
	v_fmac_f32_e32 v53, v57, v72
	v_mul_f32_e32 v49, v60, v71
	v_fma_f32 v48, v60, v70, -v56
	v_mul_f32_e32 v56, v61, v73
	v_mul_f32_e32 v57, v60, v73
	v_add_f32_e32 v53, v47, v53
	v_fmac_f32_e32 v49, v61, v70
	s_add_u32 s20, s20, 32
	v_fma_f32 v47, v60, v72, -v56
	s_addc_u32 s21, s21, 0
	s_cmp_ge_i32 s20, s42
	s_delay_alu instid0(VALU_DEP_1) | instskip(SKIP_2) | instid1(VALU_DEP_1)
	v_add_f32_e32 v59, v50, v47
	s_waitcnt lgkmcnt(0)
	v_mul_f32_e32 v56, v62, v44
	v_fmac_f32_e32 v56, v63, v43
	s_delay_alu instid0(VALU_DEP_1)
	v_add_f32_e32 v52, v52, v56
	v_add_f32_e32 v55, v55, v48
	v_mul_f32_e32 v48, v63, v44
	v_mul_f32_e32 v56, v75, v44
	;; [unrolled: 1-line block ×3, first 2 shown]
	v_fmac_f32_e32 v57, v61, v72
	v_mul_f32_e32 v61, v63, v46
	v_fma_f32 v60, v62, v43, -v48
	v_fma_f32 v56, v74, v43, -v56
	s_delay_alu instid0(VALU_DEP_4) | instskip(NEXT) | instid1(VALU_DEP_3)
	v_dual_fmac_f32 v44, v75, v43 :: v_dual_add_f32 v25, v25, v57
	v_add_f32_e32 v57, v58, v60
	v_fma_f32 v60, v62, v45, -v61
	v_add_f32_e32 v51, v51, v49
	ds_load_2addr_b64 v[47:50], v37 offset0:96 offset1:112
	v_mul_f32_e32 v58, v62, v46
	v_add_f32_e32 v54, v54, v60
	v_mul_f32_e32 v60, v75, v46
	s_delay_alu instid0(VALU_DEP_3) | instskip(NEXT) | instid1(VALU_DEP_2)
	v_dual_mul_f32 v61, v74, v46 :: v_dual_fmac_f32 v58, v63, v45
	v_fma_f32 v43, v74, v45, -v60
	s_delay_alu instid0(VALU_DEP_2) | instskip(SKIP_2) | instid1(VALU_DEP_3)
	v_dual_add_f32 v58, v53, v58 :: v_dual_add_f32 v55, v55, v56
	v_add_f32_e32 v56, v51, v44
	s_waitcnt lgkmcnt(0)
	v_dual_add_f32 v59, v59, v43 :: v_dual_mul_f32 v60, v65, v50
	v_mul_f32_e32 v51, v65, v48
	v_mul_f32_e32 v53, v64, v48
	s_delay_alu instid0(VALU_DEP_3) | instskip(SKIP_4) | instid1(VALU_DEP_1)
	v_fma_f32 v60, v64, v49, -v60
	v_fmac_f32_e32 v61, v75, v45
	ds_load_2addr_b64 v[43:46], v37 offset0:128 offset1:144
	v_dual_add_f32 v60, v54, v60 :: v_dual_add_f32 v25, v25, v61
	v_mul_f32_e32 v61, v64, v50
	v_fmac_f32_e32 v61, v65, v49
	s_delay_alu instid0(VALU_DEP_1)
	v_dual_add_f32 v61, v58, v61 :: v_dual_mul_f32 v58, v76, v50
	v_fma_f32 v51, v64, v47, -v51
	v_mul_f32_e32 v64, v77, v50
	s_waitcnt lgkmcnt(0)
	v_mul_f32_e32 v50, v67, v44
	v_fmac_f32_e32 v58, v77, v49
	v_add_f32_e32 v57, v57, v51
	v_mul_f32_e32 v51, v77, v48
	v_dual_mul_f32 v48, v76, v48 :: v_dual_mul_f32 v71, v66, v46
	s_delay_alu instid0(VALU_DEP_2) | instskip(NEXT) | instid1(VALU_DEP_2)
	v_fma_f32 v63, v76, v47, -v51
	v_fmac_f32_e32 v48, v77, v47
	v_fmac_f32_e32 v53, v65, v47
	v_fma_f32 v47, v76, v49, -v64
	s_delay_alu instid0(VALU_DEP_3) | instskip(NEXT) | instid1(VALU_DEP_3)
	v_dual_add_f32 v63, v55, v63 :: v_dual_add_f32 v64, v56, v48
	v_add_f32_e32 v62, v52, v53
	ds_load_b128 v[51:54], v38 offset:4128
	v_fma_f32 v55, v66, v43, -v50
	v_dual_mul_f32 v56, v67, v46 :: v_dual_mul_f32 v65, v66, v44
	v_add_f32_e32 v25, v25, v58
	s_delay_alu instid0(VALU_DEP_3) | instskip(NEXT) | instid1(VALU_DEP_3)
	v_add_f32_e32 v70, v57, v55
	v_fma_f32 v66, v66, v45, -v56
	ds_load_b128 v[55:58], v38 offset:4144
	v_add_f32_e32 v59, v59, v47
	ds_load_2addr_b64 v[47:50], v37 offset0:160 offset1:176
	v_dual_fmac_f32 v71, v67, v45 :: v_dual_add_f32 v60, v60, v66
	s_waitcnt lgkmcnt(2)
	v_mul_f32_e32 v72, v52, v44
	v_mul_f32_e32 v44, v51, v44
	;; [unrolled: 1-line block ×3, first 2 shown]
	s_delay_alu instid0(VALU_DEP_2) | instskip(SKIP_3) | instid1(VALU_DEP_2)
	v_fmac_f32_e32 v44, v52, v43
	v_fmac_f32_e32 v65, v67, v43
	s_waitcnt lgkmcnt(0)
	v_dual_mul_f32 v67, v51, v46 :: v_dual_mul_f32 v46, v69, v48
	v_add_f32_e32 v62, v62, v65
	s_delay_alu instid0(VALU_DEP_2) | instskip(SKIP_4) | instid1(VALU_DEP_4)
	v_fmac_f32_e32 v67, v52, v45
	v_mul_f32_e32 v52, v68, v48
	v_fma_f32 v65, v51, v43, -v72
	v_fma_f32 v43, v51, v45, -v66
	v_mul_f32_e32 v66, v68, v50
	v_dual_add_f32 v51, v64, v44 :: v_dual_fmac_f32 v52, v69, v47
	s_delay_alu instid0(VALU_DEP_4) | instskip(NEXT) | instid1(VALU_DEP_4)
	v_add_f32_e32 v63, v63, v65
	v_add_f32_e32 v59, v59, v43
	v_fma_f32 v64, v68, v47, -v46
	s_delay_alu instid0(VALU_DEP_4) | instskip(SKIP_2) | instid1(VALU_DEP_4)
	v_dual_add_f32 v61, v61, v71 :: v_dual_add_f32 v52, v62, v52
	v_mul_f32_e32 v62, v54, v48
	v_mul_f32_e32 v48, v53, v48
	v_dual_add_f32 v64, v70, v64 :: v_dual_mul_f32 v65, v69, v50
	ds_load_2addr_b64 v[43:46], v37 offset0:192 offset1:208
	v_fmac_f32_e32 v66, v69, v49
	v_fmac_f32_e32 v48, v54, v47
	v_fma_f32 v62, v53, v47, -v62
	v_fma_f32 v65, v68, v49, -v65
	v_add_f32_e32 v25, v25, v67
	v_add_f32_e32 v61, v61, v66
	v_dual_mul_f32 v66, v53, v50 :: v_dual_add_f32 v51, v51, v48
	s_delay_alu instid0(VALU_DEP_4) | instskip(NEXT) | instid1(VALU_DEP_2)
	v_dual_add_f32 v60, v60, v65 :: v_dual_mul_f32 v65, v54, v50
	v_fmac_f32_e32 v66, v54, v49
	s_delay_alu instid0(VALU_DEP_2) | instskip(SKIP_1) | instid1(VALU_DEP_2)
	v_fma_f32 v47, v53, v49, -v65
	v_add_f32_e32 v53, v63, v62
	v_dual_add_f32 v25, v25, v66 :: v_dual_add_f32 v54, v59, v47
	s_waitcnt lgkmcnt(0)
	v_mul_f32_e32 v59, v0, v44
	ds_load_2addr_b64 v[47:50], v37 offset0:224 offset1:240
	v_mul_f32_e32 v62, v1, v44
	v_mul_f32_e32 v63, v1, v46
	;; [unrolled: 1-line block ×3, first 2 shown]
	s_delay_alu instid0(VALU_DEP_3) | instskip(NEXT) | instid1(VALU_DEP_3)
	v_fma_f32 v62, v0, v43, -v62
	v_fma_f32 v0, v0, v45, -v63
	v_mul_f32_e32 v63, v56, v44
	s_delay_alu instid0(VALU_DEP_3) | instskip(NEXT) | instid1(VALU_DEP_3)
	v_dual_fmac_f32 v59, v1, v43 :: v_dual_add_f32 v62, v64, v62
	v_add_f32_e32 v60, v60, v0
	s_waitcnt lgkmcnt(0)
	v_mul_f32_e32 v66, v3, v50
	v_fma_f32 v0, v55, v43, -v63
	s_delay_alu instid0(VALU_DEP_1) | instskip(SKIP_3) | instid1(VALU_DEP_3)
	v_dual_mul_f32 v63, v55, v46 :: v_dual_add_f32 v64, v53, v0
	v_fmac_f32_e32 v65, v1, v45
	v_dual_mul_f32 v1, v55, v44 :: v_dual_mul_f32 v44, v56, v46
	v_add_nc_u32_e32 v0, 0x800, v37
	v_add_f32_e32 v61, v61, v65
	s_delay_alu instid0(VALU_DEP_3) | instskip(NEXT) | instid1(VALU_DEP_4)
	v_fmac_f32_e32 v1, v56, v43
	v_fma_f32 v43, v55, v45, -v44
	s_delay_alu instid0(VALU_DEP_1) | instskip(SKIP_1) | instid1(VALU_DEP_2)
	v_dual_mul_f32 v44, v3, v48 :: v_dual_add_f32 v55, v54, v43
	v_fmac_f32_e32 v63, v56, v45
	v_fma_f32 v56, v2, v47, -v44
	v_add_f32_e32 v59, v52, v59
	s_delay_alu instid0(VALU_DEP_3) | instskip(SKIP_1) | instid1(VALU_DEP_4)
	v_add_f32_e32 v25, v25, v63
	v_mul_f32_e32 v63, v2, v50
	v_add_f32_e32 v56, v62, v56
	s_delay_alu instid0(VALU_DEP_2)
	v_dual_mul_f32 v62, v58, v48 :: v_dual_fmac_f32 v63, v3, v49
	v_add_f32_e32 v1, v51, v1
	ds_load_2addr_b64 v[43:46], v0 offset1:16
	ds_load_b128 v[51:54], v38 offset:64
	v_add_f32_e32 v68, v61, v63
	s_waitcnt lgkmcnt(0)
	v_dual_mul_f32 v72, v51, v46 :: v_dual_mul_f32 v65, v2, v48
	v_fma_f32 v2, v2, v49, -v66
	s_delay_alu instid0(VALU_DEP_2) | instskip(NEXT) | instid1(VALU_DEP_2)
	v_dual_fmac_f32 v72, v52, v45 :: v_dual_fmac_f32 v65, v3, v47
	v_dual_mul_f32 v3, v57, v48 :: v_dual_add_f32 v2, v60, v2
	v_fma_f32 v48, v57, v47, -v62
	s_delay_alu instid0(VALU_DEP_3)
	v_add_f32_e32 v67, v59, v65
	ds_load_b128 v[59:62], v38 offset:4160
	v_mul_f32_e32 v65, v58, v50
	v_fmac_f32_e32 v3, v58, v47
	v_add_f32_e32 v69, v64, v48
	v_mul_f32_e32 v48, v52, v44
	s_delay_alu instid0(VALU_DEP_4)
	v_fma_f32 v47, v57, v49, -v65
	v_mul_f32_e32 v57, v57, v50
	ds_load_b128 v[63:66], v38 offset:80
	v_add_f32_e32 v1, v1, v3
	v_dual_fmac_f32 v57, v58, v49 :: v_dual_mul_f32 v58, v52, v46
	v_add_f32_e32 v70, v55, v47
	v_fma_f32 v55, v51, v43, -v48
	ds_load_2addr_b64 v[47:50], v0 offset0:32 offset1:48
	v_mul_f32_e32 v3, v51, v44
	v_fma_f32 v51, v51, v45, -v58
	s_delay_alu instid0(VALU_DEP_2) | instskip(SKIP_1) | instid1(VALU_DEP_2)
	v_fmac_f32_e32 v3, v52, v43
	s_waitcnt lgkmcnt(2)
	v_dual_add_f32 v2, v2, v51 :: v_dual_mul_f32 v51, v60, v46
	s_delay_alu instid0(VALU_DEP_2) | instskip(SKIP_2) | instid1(VALU_DEP_2)
	v_add_f32_e32 v3, v67, v3
	v_mul_f32_e32 v67, v60, v44
	v_dual_mul_f32 v44, v59, v44 :: v_dual_add_f32 v25, v25, v57
	v_fma_f32 v52, v59, v43, -v67
	v_dual_add_f32 v67, v68, v72 :: v_dual_mul_f32 v68, v59, v46
	s_delay_alu instid0(VALU_DEP_3) | instskip(SKIP_4) | instid1(VALU_DEP_2)
	v_fmac_f32_e32 v44, v60, v43
	v_fma_f32 v43, v59, v45, -v51
	s_waitcnt lgkmcnt(0)
	v_mul_f32_e32 v46, v54, v48
	v_dual_mul_f32 v59, v53, v48 :: v_dual_fmac_f32 v68, v60, v45
	v_fma_f32 v60, v53, v47, -v46
	s_delay_alu instid0(VALU_DEP_2) | instskip(NEXT) | instid1(VALU_DEP_3)
	v_fmac_f32_e32 v59, v54, v47
	v_add_f32_e32 v25, v25, v68
	v_mul_f32_e32 v68, v53, v50
	v_add_f32_e32 v51, v69, v52
	v_mul_f32_e32 v69, v54, v50
	v_add_f32_e32 v52, v70, v43
	s_delay_alu instid0(VALU_DEP_4) | instskip(NEXT) | instid1(VALU_DEP_3)
	v_fmac_f32_e32 v68, v54, v49
	v_fma_f32 v53, v53, v49, -v69
	v_mul_f32_e32 v69, v62, v48
	v_mul_f32_e32 v48, v61, v48
	s_delay_alu instid0(VALU_DEP_4) | instskip(NEXT) | instid1(VALU_DEP_4)
	v_add_f32_e32 v54, v67, v68
	v_dual_add_f32 v2, v2, v53 :: v_dual_add_f32 v1, v1, v44
	ds_load_2addr_b64 v[43:46], v0 offset0:64 offset1:80
	v_add_f32_e32 v71, v56, v55
	ds_load_b128 v[55:58], v38 offset:4176
	v_fma_f32 v53, v61, v47, -v69
	v_fmac_f32_e32 v48, v62, v47
	v_dual_mul_f32 v47, v62, v50 :: v_dual_add_f32 v60, v71, v60
	s_delay_alu instid0(VALU_DEP_3) | instskip(NEXT) | instid1(VALU_DEP_2)
	v_add_f32_e32 v51, v51, v53
	v_fma_f32 v53, v61, v49, -v47
	s_delay_alu instid0(VALU_DEP_1) | instskip(SKIP_4) | instid1(VALU_DEP_3)
	v_dual_add_f32 v52, v52, v53 :: v_dual_add_f32 v3, v3, v59
	v_mul_f32_e32 v59, v61, v50
	s_waitcnt lgkmcnt(1)
	v_mul_f32_e32 v61, v64, v44
	v_mul_f32_e32 v67, v63, v46
	v_dual_fmac_f32 v59, v62, v49 :: v_dual_mul_f32 v62, v63, v44
	s_delay_alu instid0(VALU_DEP_3) | instskip(SKIP_1) | instid1(VALU_DEP_3)
	v_fma_f32 v53, v63, v43, -v61
	v_mul_f32_e32 v61, v64, v46
	v_add_f32_e32 v25, v25, v59
	s_delay_alu instid0(VALU_DEP_4)
	v_fmac_f32_e32 v62, v64, v43
	v_fmac_f32_e32 v67, v64, v45
	v_add_f32_e32 v59, v60, v53
	s_waitcnt lgkmcnt(0)
	v_mul_f32_e32 v60, v56, v44
	v_mul_f32_e32 v44, v55, v44
	v_fma_f32 v53, v63, v45, -v61
	v_add_f32_e32 v61, v54, v67
	s_delay_alu instid0(VALU_DEP_4) | instskip(NEXT) | instid1(VALU_DEP_4)
	v_fma_f32 v54, v55, v43, -v60
	v_dual_fmac_f32 v44, v56, v43 :: v_dual_add_f32 v1, v1, v48
	ds_load_2addr_b64 v[47:50], v0 offset0:96 offset1:112
	v_dual_add_f32 v2, v2, v53 :: v_dual_mul_f32 v53, v56, v46
	v_mul_f32_e32 v60, v55, v46
	s_delay_alu instid0(VALU_DEP_2) | instskip(NEXT) | instid1(VALU_DEP_2)
	v_fma_f32 v43, v55, v45, -v53
	v_fmac_f32_e32 v60, v56, v45
	s_delay_alu instid0(VALU_DEP_2) | instskip(SKIP_4) | instid1(VALU_DEP_3)
	v_add_f32_e32 v56, v52, v43
	s_waitcnt lgkmcnt(0)
	v_mul_f32_e32 v64, v66, v50
	v_dual_mul_f32 v46, v66, v48 :: v_dual_add_f32 v3, v3, v62
	v_mul_f32_e32 v63, v65, v48
	v_fma_f32 v64, v65, v49, -v64
	s_delay_alu instid0(VALU_DEP_3) | instskip(NEXT) | instid1(VALU_DEP_2)
	v_fma_f32 v62, v65, v47, -v46
	v_dual_add_f32 v2, v2, v64 :: v_dual_add_f32 v55, v51, v54
	v_dual_mul_f32 v64, v58, v50 :: v_dual_add_f32 v1, v1, v44
	ds_load_2addr_b64 v[43:46], v0 offset0:128 offset1:144
	ds_load_b128 v[51:54], v38 offset:96
	v_fmac_f32_e32 v63, v66, v47
	v_add_f32_e32 v67, v59, v62
	s_waitcnt lgkmcnt(0)
	v_dual_mul_f32 v72, v51, v46 :: v_dual_add_f32 v25, v25, v60
	v_dual_mul_f32 v60, v65, v50 :: v_dual_mul_f32 v71, v51, v44
	s_delay_alu instid0(VALU_DEP_2) | instskip(NEXT) | instid1(VALU_DEP_2)
	v_dual_fmac_f32 v72, v52, v45 :: v_dual_add_f32 v3, v3, v63
	v_dual_fmac_f32 v60, v66, v49 :: v_dual_fmac_f32 v71, v52, v43
	s_delay_alu instid0(VALU_DEP_1) | instskip(NEXT) | instid1(VALU_DEP_1)
	v_add_f32_e32 v68, v61, v60
	v_add_f32_e32 v68, v68, v72
	v_mul_f32_e32 v59, v58, v48
	v_mul_f32_e32 v48, v57, v48
	s_delay_alu instid0(VALU_DEP_2)
	v_fma_f32 v63, v57, v47, -v59
	ds_load_b128 v[59:62], v38 offset:4192
	v_fmac_f32_e32 v48, v58, v47
	v_fma_f32 v47, v57, v49, -v64
	v_add_f32_e32 v69, v55, v63
	v_mul_f32_e32 v55, v57, v50
	ds_load_b128 v[63:66], v38 offset:112
	v_mul_f32_e32 v50, v52, v44
	v_add_f32_e32 v70, v56, v47
	v_mul_f32_e32 v57, v52, v46
	v_fmac_f32_e32 v55, v58, v49
	v_add_f32_e32 v3, v3, v71
	v_fma_f32 v56, v51, v43, -v50
	s_delay_alu instid0(VALU_DEP_4) | instskip(SKIP_1) | instid1(VALU_DEP_1)
	v_fma_f32 v51, v51, v45, -v57
	s_waitcnt lgkmcnt(1)
	v_dual_add_f32 v2, v2, v51 :: v_dual_mul_f32 v73, v60, v44
	v_mul_f32_e32 v44, v59, v44
	v_mul_f32_e32 v52, v60, v46
	;; [unrolled: 1-line block ×3, first 2 shown]
	s_delay_alu instid0(VALU_DEP_4) | instskip(NEXT) | instid1(VALU_DEP_4)
	v_fma_f32 v51, v59, v43, -v73
	v_dual_fmac_f32 v44, v60, v43 :: v_dual_add_f32 v1, v1, v48
	ds_load_2addr_b64 v[47:50], v0 offset0:160 offset1:176
	v_fma_f32 v43, v59, v45, -v52
	v_fmac_f32_e32 v71, v60, v45
	v_add_f32_e32 v51, v69, v51
	v_add_f32_e32 v1, v1, v44
	s_delay_alu instid0(VALU_DEP_4) | instskip(SKIP_3) | instid1(VALU_DEP_2)
	v_add_f32_e32 v59, v70, v43
	s_waitcnt lgkmcnt(0)
	v_mul_f32_e32 v46, v54, v48
	v_dual_mul_f32 v52, v53, v48 :: v_dual_mul_f32 v69, v54, v50
	v_fma_f32 v60, v53, v47, -v46
	ds_load_2addr_b64 v[43:46], v0 offset0:192 offset1:208
	v_fmac_f32_e32 v52, v54, v47
	s_delay_alu instid0(VALU_DEP_1) | instskip(SKIP_3) | instid1(VALU_DEP_3)
	v_add_f32_e32 v3, v3, v52
	v_mul_f32_e32 v52, v62, v48
	v_add_f32_e32 v67, v67, v56
	v_mul_f32_e32 v48, v61, v48
	v_fma_f32 v52, v61, v47, -v52
	s_delay_alu instid0(VALU_DEP_3) | instskip(SKIP_1) | instid1(VALU_DEP_3)
	v_dual_add_f32 v60, v67, v60 :: v_dual_mul_f32 v67, v53, v50
	v_fma_f32 v53, v53, v49, -v69
	v_dual_fmac_f32 v48, v62, v47 :: v_dual_add_f32 v51, v51, v52
	s_delay_alu instid0(VALU_DEP_3) | instskip(NEXT) | instid1(VALU_DEP_3)
	v_fmac_f32_e32 v67, v54, v49
	v_add_f32_e32 v2, v2, v53
	s_waitcnt lgkmcnt(0)
	v_dual_mul_f32 v53, v62, v50 :: v_dual_mul_f32 v52, v64, v44
	s_delay_alu instid0(VALU_DEP_3) | instskip(SKIP_1) | instid1(VALU_DEP_3)
	v_dual_add_f32 v1, v1, v48 :: v_dual_add_f32 v54, v68, v67
	v_mul_f32_e32 v67, v61, v50
	v_fma_f32 v47, v61, v49, -v53
	v_mul_f32_e32 v61, v63, v46
	s_delay_alu instid0(VALU_DEP_3) | instskip(NEXT) | instid1(VALU_DEP_3)
	v_fmac_f32_e32 v67, v62, v49
	v_add_f32_e32 v53, v59, v47
	ds_load_2addr_b64 v[47:50], v0 offset0:224 offset1:240
	v_fma_f32 v0, v63, v43, -v52
	v_dual_mul_f32 v52, v64, v46 :: v_dual_mul_f32 v59, v63, v44
	v_fmac_f32_e32 v61, v64, v45
	s_delay_alu instid0(VALU_DEP_3) | instskip(SKIP_2) | instid1(VALU_DEP_1)
	v_dual_add_f32 v60, v60, v0 :: v_dual_add_f32 v25, v25, v55
	ds_load_b128 v[55:58], v38 offset:4208
	v_fma_f32 v0, v63, v45, -v52
	v_dual_fmac_f32 v59, v64, v43 :: v_dual_add_f32 v2, v2, v0
	s_delay_alu instid0(VALU_DEP_1) | instskip(SKIP_4) | instid1(VALU_DEP_1)
	v_add_f32_e32 v3, v3, v59
	v_add_f32_e32 v59, v54, v61
	s_waitcnt lgkmcnt(1)
	v_mul_f32_e32 v64, v66, v50
	v_mul_f32_e32 v62, v65, v48
	v_fmac_f32_e32 v62, v66, v47
	s_waitcnt lgkmcnt(0)
	v_mul_f32_e32 v52, v56, v44
	v_mul_f32_e32 v44, v55, v44
	v_mul_f32_e32 v61, v55, v46
	v_add_f32_e32 v3, v3, v62
	s_delay_alu instid0(VALU_DEP_4) | instskip(SKIP_3) | instid1(VALU_DEP_4)
	v_fma_f32 v0, v55, v43, -v52
	v_mul_f32_e32 v52, v56, v46
	v_fmac_f32_e32 v44, v56, v43
	v_dual_mul_f32 v46, v66, v48 :: v_dual_fmac_f32 v61, v56, v45
	v_add_f32_e32 v63, v51, v0
	s_delay_alu instid0(VALU_DEP_4) | instskip(NEXT) | instid1(VALU_DEP_4)
	v_fma_f32 v43, v55, v45, -v52
	v_dual_add_f32 v1, v1, v44 :: v_dual_add_nc_u32 v0, 0x1000, v37
	s_delay_alu instid0(VALU_DEP_4) | instskip(NEXT) | instid1(VALU_DEP_3)
	v_fma_f32 v56, v65, v47, -v46
	v_add_f32_e32 v55, v53, v43
	ds_load_2addr_b64 v[43:46], v0 offset1:16
	ds_load_b128 v[51:54], v38 offset:128
	v_add_f32_e32 v56, v60, v56
	v_fma_f32 v60, v65, v49, -v64
	v_dual_mul_f32 v64, v58, v48 :: v_dual_add_f32 v25, v25, v71
	v_mul_f32_e32 v48, v57, v48
	s_delay_alu instid0(VALU_DEP_3) | instskip(NEXT) | instid1(VALU_DEP_3)
	v_add_f32_e32 v2, v2, v60
	v_fma_f32 v64, v57, v47, -v64
	s_delay_alu instid0(VALU_DEP_4) | instskip(NEXT) | instid1(VALU_DEP_4)
	v_add_f32_e32 v25, v25, v67
	v_fmac_f32_e32 v48, v58, v47
	s_delay_alu instid0(VALU_DEP_2)
	v_dual_add_f32 v68, v63, v64 :: v_dual_add_f32 v25, v25, v61
	v_mul_f32_e32 v61, v65, v50
	v_mul_f32_e32 v65, v58, v50
	s_waitcnt lgkmcnt(0)
	v_mul_f32_e32 v69, v51, v44
	v_mul_f32_e32 v72, v51, v46
	s_delay_alu instid0(VALU_DEP_3) | instskip(SKIP_1) | instid1(VALU_DEP_3)
	v_fma_f32 v47, v57, v49, -v65
	v_dual_mul_f32 v57, v57, v50 :: v_dual_mul_f32 v50, v52, v44
	v_fmac_f32_e32 v72, v52, v45
	s_delay_alu instid0(VALU_DEP_2) | instskip(NEXT) | instid1(VALU_DEP_3)
	v_dual_add_f32 v70, v55, v47 :: v_dual_fmac_f32 v57, v58, v49
	v_fma_f32 v55, v51, v43, -v50
	s_delay_alu instid0(VALU_DEP_2) | instskip(NEXT) | instid1(VALU_DEP_2)
	v_dual_mul_f32 v58, v52, v46 :: v_dual_add_f32 v25, v25, v57
	v_add_f32_e32 v71, v56, v55
	s_delay_alu instid0(VALU_DEP_2)
	v_fma_f32 v51, v51, v45, -v58
	ds_load_b128 v[55:58], v38 offset:4240
	v_fmac_f32_e32 v61, v66, v49
	v_add_f32_e32 v1, v1, v48
	ds_load_2addr_b64 v[47:50], v0 offset0:32 offset1:48
	ds_load_b128 v[63:66], v38 offset:144
	v_fmac_f32_e32 v69, v52, v43
	v_add_f32_e32 v67, v59, v61
	ds_load_b128 v[59:62], v38 offset:4224
	v_dual_add_f32 v2, v2, v51 :: v_dual_add_f32 v3, v3, v69
	s_waitcnt lgkmcnt(0)
	v_mul_f32_e32 v69, v60, v44
	v_dual_mul_f32 v44, v59, v44 :: v_dual_mul_f32 v51, v60, v46
	s_delay_alu instid0(VALU_DEP_2) | instskip(NEXT) | instid1(VALU_DEP_2)
	v_fma_f32 v52, v59, v43, -v69
	v_dual_fmac_f32 v44, v60, v43 :: v_dual_mul_f32 v69, v59, v46
	s_delay_alu instid0(VALU_DEP_3) | instskip(SKIP_1) | instid1(VALU_DEP_4)
	v_fma_f32 v43, v59, v45, -v51
	v_mul_f32_e32 v46, v54, v48
	v_add_f32_e32 v51, v68, v52
	s_delay_alu instid0(VALU_DEP_4) | instskip(NEXT) | instid1(VALU_DEP_4)
	v_add_f32_e32 v1, v1, v44
	v_dual_fmac_f32 v69, v60, v45 :: v_dual_add_f32 v52, v70, v43
	s_delay_alu instid0(VALU_DEP_4) | instskip(SKIP_4) | instid1(VALU_DEP_3)
	v_fma_f32 v60, v53, v47, -v46
	ds_load_2addr_b64 v[43:46], v0 offset0:64 offset1:80
	v_dual_mul_f32 v59, v53, v48 :: v_dual_mul_f32 v68, v54, v50
	v_add_f32_e32 v25, v25, v69
	v_dual_mul_f32 v69, v53, v50 :: v_dual_add_f32 v60, v71, v60
	v_fmac_f32_e32 v59, v54, v47
	s_delay_alu instid0(VALU_DEP_4) | instskip(SKIP_1) | instid1(VALU_DEP_4)
	v_fma_f32 v53, v53, v49, -v68
	v_mul_f32_e32 v68, v62, v48
	v_dual_mul_f32 v48, v61, v48 :: v_dual_fmac_f32 v69, v54, v49
	s_delay_alu instid0(VALU_DEP_3) | instskip(NEXT) | instid1(VALU_DEP_3)
	v_dual_add_f32 v3, v3, v59 :: v_dual_add_f32 v2, v2, v53
	v_fma_f32 v53, v61, v47, -v68
	s_delay_alu instid0(VALU_DEP_3) | instskip(SKIP_2) | instid1(VALU_DEP_4)
	v_fmac_f32_e32 v48, v62, v47
	v_mul_f32_e32 v47, v62, v50
	v_mul_f32_e32 v59, v61, v50
	v_add_f32_e32 v51, v51, v53
	s_delay_alu instid0(VALU_DEP_4) | instskip(NEXT) | instid1(VALU_DEP_4)
	v_add_f32_e32 v1, v1, v48
	v_fma_f32 v53, v61, v49, -v47
	s_waitcnt lgkmcnt(0)
	v_mul_f32_e32 v61, v64, v44
	v_fmac_f32_e32 v59, v62, v49
	ds_load_2addr_b64 v[47:50], v0 offset0:96 offset1:112
	v_dual_add_f32 v67, v67, v72 :: v_dual_add_f32 v52, v52, v53
	v_fma_f32 v53, v63, v43, -v61
	v_mul_f32_e32 v61, v64, v46
	s_delay_alu instid0(VALU_DEP_3) | instskip(SKIP_1) | instid1(VALU_DEP_4)
	v_dual_add_f32 v25, v25, v59 :: v_dual_add_f32 v54, v67, v69
	v_mul_f32_e32 v67, v63, v46
	v_add_f32_e32 v59, v60, v53
	s_delay_alu instid0(VALU_DEP_4) | instskip(SKIP_3) | instid1(VALU_DEP_4)
	v_fma_f32 v53, v63, v45, -v61
	v_mul_f32_e32 v62, v63, v44
	v_mul_f32_e32 v60, v56, v44
	v_dual_fmac_f32 v67, v64, v45 :: v_dual_mul_f32 v44, v55, v44
	v_dual_add_f32 v2, v2, v53 :: v_dual_mul_f32 v53, v56, v46
	s_delay_alu instid0(VALU_DEP_4) | instskip(NEXT) | instid1(VALU_DEP_3)
	v_fmac_f32_e32 v62, v64, v43
	v_add_f32_e32 v61, v54, v67
	v_fma_f32 v54, v55, v43, -v60
	v_fmac_f32_e32 v44, v56, v43
	v_mul_f32_e32 v60, v55, v46
	v_fma_f32 v43, v55, v45, -v53
	s_waitcnt lgkmcnt(0)
	v_dual_mul_f32 v46, v66, v48 :: v_dual_add_f32 v3, v3, v62
	v_add_f32_e32 v55, v51, v54
	v_dual_add_f32 v1, v1, v44 :: v_dual_fmac_f32 v60, v56, v45
	v_add_f32_e32 v56, v52, v43
	s_delay_alu instid0(VALU_DEP_4)
	v_fma_f32 v62, v65, v47, -v46
	ds_load_2addr_b64 v[43:46], v0 offset0:128 offset1:144
	ds_load_b128 v[51:54], v38 offset:160
	v_dual_mul_f32 v63, v65, v48 :: v_dual_mul_f32 v64, v66, v50
	v_add_f32_e32 v25, v25, v60
	v_mul_f32_e32 v60, v65, v50
	v_add_f32_e32 v67, v59, v62
	s_delay_alu instid0(VALU_DEP_4) | instskip(SKIP_3) | instid1(VALU_DEP_4)
	v_fmac_f32_e32 v63, v66, v47
	v_fma_f32 v64, v65, v49, -v64
	v_mul_f32_e32 v59, v58, v48
	v_fmac_f32_e32 v60, v66, v49
	v_dual_mul_f32 v48, v57, v48 :: v_dual_add_f32 v3, v3, v63
	s_delay_alu instid0(VALU_DEP_4) | instskip(NEXT) | instid1(VALU_DEP_4)
	v_add_f32_e32 v2, v2, v64
	v_fma_f32 v63, v57, v47, -v59
	v_mul_f32_e32 v64, v58, v50
	v_add_f32_e32 v68, v61, v60
	ds_load_b128 v[59:62], v38 offset:4256
	v_fmac_f32_e32 v48, v58, v47
	v_add_f32_e32 v69, v55, v63
	v_fma_f32 v47, v57, v49, -v64
	ds_load_b128 v[63:66], v38 offset:176
	s_waitcnt lgkmcnt(2)
	v_dual_mul_f32 v55, v57, v50 :: v_dual_mul_f32 v50, v52, v44
	v_dual_add_f32 v1, v1, v48 :: v_dual_add_f32 v70, v56, v47
	v_mul_f32_e32 v71, v51, v44
	s_delay_alu instid0(VALU_DEP_3) | instskip(NEXT) | instid1(VALU_DEP_4)
	v_fmac_f32_e32 v55, v58, v49
	v_fma_f32 v56, v51, v43, -v50
	ds_load_2addr_b64 v[47:50], v0 offset0:160 offset1:176
	v_mul_f32_e32 v57, v52, v46
	v_dual_fmac_f32 v71, v52, v43 :: v_dual_mul_f32 v72, v51, v46
	v_add_f32_e32 v67, v67, v56
	s_delay_alu instid0(VALU_DEP_3) | instskip(NEXT) | instid1(VALU_DEP_3)
	v_fma_f32 v51, v51, v45, -v57
	v_add_f32_e32 v3, v3, v71
	s_waitcnt lgkmcnt(2)
	v_mul_f32_e32 v73, v60, v44
	v_fmac_f32_e32 v72, v52, v45
	v_mul_f32_e32 v44, v59, v44
	v_add_f32_e32 v2, v2, v51
	v_mul_f32_e32 v52, v60, v46
	v_fma_f32 v51, v59, v43, -v73
	s_delay_alu instid0(VALU_DEP_4) | instskip(SKIP_1) | instid1(VALU_DEP_4)
	v_dual_mul_f32 v71, v59, v46 :: v_dual_fmac_f32 v44, v60, v43
	v_add_f32_e32 v68, v68, v72
	v_fma_f32 v43, v59, v45, -v52
	s_delay_alu instid0(VALU_DEP_4)
	v_add_f32_e32 v51, v69, v51
	s_waitcnt lgkmcnt(0)
	v_dual_fmac_f32 v71, v60, v45 :: v_dual_mul_f32 v46, v54, v48
	v_dual_mul_f32 v52, v53, v48 :: v_dual_mul_f32 v69, v54, v50
	v_add_f32_e32 v1, v1, v44
	v_add_f32_e32 v59, v70, v43
	s_delay_alu instid0(VALU_DEP_4) | instskip(NEXT) | instid1(VALU_DEP_4)
	v_fma_f32 v60, v53, v47, -v46
	v_fmac_f32_e32 v52, v54, v47
	ds_load_2addr_b64 v[43:46], v0 offset0:192 offset1:208
	v_dual_add_f32 v60, v67, v60 :: v_dual_mul_f32 v67, v53, v50
	v_fma_f32 v53, v53, v49, -v69
	v_add_f32_e32 v3, v3, v52
	v_mul_f32_e32 v52, v62, v48
	s_delay_alu instid0(VALU_DEP_4) | instskip(NEXT) | instid1(VALU_DEP_4)
	v_dual_mul_f32 v48, v61, v48 :: v_dual_fmac_f32 v67, v54, v49
	v_add_f32_e32 v2, v2, v53
	v_mul_f32_e32 v53, v62, v50
	s_delay_alu instid0(VALU_DEP_4) | instskip(NEXT) | instid1(VALU_DEP_4)
	v_fma_f32 v52, v61, v47, -v52
	v_fmac_f32_e32 v48, v62, v47
	v_dual_add_f32 v54, v68, v67 :: v_dual_mul_f32 v67, v61, v50
	s_delay_alu instid0(VALU_DEP_4) | instskip(NEXT) | instid1(VALU_DEP_4)
	v_fma_f32 v47, v61, v49, -v53
	v_add_f32_e32 v51, v51, v52
	s_delay_alu instid0(VALU_DEP_4) | instskip(NEXT) | instid1(VALU_DEP_4)
	v_add_f32_e32 v1, v1, v48
	v_fmac_f32_e32 v67, v62, v49
	s_delay_alu instid0(VALU_DEP_4)
	v_add_f32_e32 v53, v59, v47
	ds_load_2addr_b64 v[47:50], v0 offset0:224 offset1:240
	s_waitcnt lgkmcnt(1)
	v_mul_f32_e32 v52, v64, v44
	v_mul_f32_e32 v59, v63, v44
	;; [unrolled: 1-line block ×3, first 2 shown]
	s_delay_alu instid0(VALU_DEP_3) | instskip(SKIP_1) | instid1(VALU_DEP_4)
	v_fma_f32 v0, v63, v43, -v52
	v_mul_f32_e32 v52, v64, v46
	v_fmac_f32_e32 v59, v64, v43
	s_delay_alu instid0(VALU_DEP_4) | instskip(NEXT) | instid1(VALU_DEP_4)
	v_fmac_f32_e32 v61, v64, v45
	v_add_f32_e32 v60, v60, v0
	s_delay_alu instid0(VALU_DEP_4) | instskip(NEXT) | instid1(VALU_DEP_4)
	v_fma_f32 v0, v63, v45, -v52
	v_add_f32_e32 v3, v3, v59
	s_delay_alu instid0(VALU_DEP_4) | instskip(NEXT) | instid1(VALU_DEP_3)
	v_add_f32_e32 v59, v54, v61
	v_add_f32_e32 v2, v2, v0
	s_waitcnt lgkmcnt(0)
	v_dual_mul_f32 v64, v66, v50 :: v_dual_add_f32 v25, v25, v55
	ds_load_b128 v[55:58], v38 offset:4272
	v_mul_f32_e32 v62, v65, v48
	s_delay_alu instid0(VALU_DEP_1) | instskip(SKIP_4) | instid1(VALU_DEP_3)
	v_fmac_f32_e32 v62, v66, v47
	s_waitcnt lgkmcnt(0)
	v_mul_f32_e32 v52, v56, v44
	v_mul_f32_e32 v44, v55, v44
	;; [unrolled: 1-line block ×3, first 2 shown]
	v_fma_f32 v0, v55, v43, -v52
	v_mul_f32_e32 v52, v56, v46
	v_mul_f32_e32 v46, v66, v48
	v_fmac_f32_e32 v44, v56, v43
	v_fmac_f32_e32 v61, v56, v45
	v_add_f32_e32 v63, v51, v0
	v_fma_f32 v43, v55, v45, -v52
	v_fma_f32 v56, v65, v47, -v46
	v_dual_add_f32 v1, v1, v44 :: v_dual_add_nc_u32 v0, 0x1800, v37
	s_delay_alu instid0(VALU_DEP_2)
	v_dual_add_f32 v55, v53, v43 :: v_dual_add_f32 v56, v60, v56
	v_fma_f32 v60, v65, v49, -v64
	v_mul_f32_e32 v64, v58, v48
	ds_load_2addr_b64 v[43:46], v0 offset1:16
	ds_load_b128 v[51:54], v38 offset:192
	v_mul_f32_e32 v48, v57, v48
	v_add_f32_e32 v2, v2, v60
	v_fma_f32 v64, v57, v47, -v64
	s_delay_alu instid0(VALU_DEP_3) | instskip(NEXT) | instid1(VALU_DEP_2)
	v_fmac_f32_e32 v48, v58, v47
	v_dual_add_f32 v68, v63, v64 :: v_dual_add_f32 v25, v25, v71
	s_delay_alu instid0(VALU_DEP_2) | instskip(NEXT) | instid1(VALU_DEP_2)
	v_add_f32_e32 v1, v1, v48
	v_add_f32_e32 v25, v25, v67
	s_delay_alu instid0(VALU_DEP_1) | instskip(SKIP_4) | instid1(VALU_DEP_3)
	v_add_f32_e32 v25, v25, v61
	v_mul_f32_e32 v61, v65, v50
	v_mul_f32_e32 v65, v58, v50
	s_waitcnt lgkmcnt(0)
	v_mul_f32_e32 v69, v51, v44
	v_dual_mul_f32 v72, v51, v46 :: v_dual_fmac_f32 v61, v66, v49
	s_delay_alu instid0(VALU_DEP_3) | instskip(SKIP_1) | instid1(VALU_DEP_4)
	v_fma_f32 v47, v57, v49, -v65
	v_dual_mul_f32 v57, v57, v50 :: v_dual_mul_f32 v50, v52, v44
	v_fmac_f32_e32 v69, v52, v43
	s_delay_alu instid0(VALU_DEP_4) | instskip(NEXT) | instid1(VALU_DEP_3)
	v_add_f32_e32 v67, v59, v61
	v_dual_add_f32 v70, v55, v47 :: v_dual_fmac_f32 v57, v58, v49
	s_delay_alu instid0(VALU_DEP_4)
	v_fma_f32 v55, v51, v43, -v50
	v_mul_f32_e32 v58, v52, v46
	ds_load_2addr_b64 v[47:50], v0 offset0:32 offset1:48
	ds_load_b128 v[63:66], v38 offset:208
	v_add_f32_e32 v25, v25, v57
	v_add_f32_e32 v71, v56, v55
	v_fma_f32 v51, v51, v45, -v58
	ds_load_b128 v[55:58], v38 offset:4304
	v_add_f32_e32 v3, v3, v62
	ds_load_b128 v[59:62], v38 offset:4288
	v_fmac_f32_e32 v72, v52, v45
	v_dual_add_f32 v2, v2, v51 :: v_dual_add_f32 v3, v3, v69
	s_delay_alu instid0(VALU_DEP_2) | instskip(SKIP_3) | instid1(VALU_DEP_2)
	v_add_f32_e32 v67, v67, v72
	s_waitcnt lgkmcnt(0)
	v_mul_f32_e32 v69, v60, v44
	v_dual_mul_f32 v44, v59, v44 :: v_dual_mul_f32 v51, v60, v46
	v_fma_f32 v52, v59, v43, -v69
	s_delay_alu instid0(VALU_DEP_2) | instskip(NEXT) | instid1(VALU_DEP_3)
	v_dual_fmac_f32 v44, v60, v43 :: v_dual_mul_f32 v69, v59, v46
	v_fma_f32 v43, v59, v45, -v51
	v_mul_f32_e32 v46, v54, v48
	s_delay_alu instid0(VALU_DEP_4) | instskip(NEXT) | instid1(VALU_DEP_4)
	v_add_f32_e32 v51, v68, v52
	v_add_f32_e32 v1, v1, v44
	s_delay_alu instid0(VALU_DEP_4) | instskip(NEXT) | instid1(VALU_DEP_4)
	v_dual_fmac_f32 v69, v60, v45 :: v_dual_add_f32 v52, v70, v43
	v_fma_f32 v60, v53, v47, -v46
	ds_load_2addr_b64 v[43:46], v0 offset0:64 offset1:80
	v_dual_mul_f32 v59, v53, v48 :: v_dual_mul_f32 v68, v54, v50
	v_add_f32_e32 v25, v25, v69
	v_dual_mul_f32 v69, v53, v50 :: v_dual_add_f32 v60, v71, v60
	s_delay_alu instid0(VALU_DEP_3) | instskip(NEXT) | instid1(VALU_DEP_4)
	v_fmac_f32_e32 v59, v54, v47
	v_fma_f32 v53, v53, v49, -v68
	v_mul_f32_e32 v68, v62, v48
	s_delay_alu instid0(VALU_DEP_4) | instskip(NEXT) | instid1(VALU_DEP_3)
	v_dual_mul_f32 v48, v61, v48 :: v_dual_fmac_f32 v69, v54, v49
	v_dual_add_f32 v3, v3, v59 :: v_dual_add_f32 v2, v2, v53
	s_delay_alu instid0(VALU_DEP_3) | instskip(NEXT) | instid1(VALU_DEP_3)
	v_fma_f32 v53, v61, v47, -v68
	v_fmac_f32_e32 v48, v62, v47
	v_mul_f32_e32 v47, v62, v50
	v_dual_mul_f32 v59, v61, v50 :: v_dual_add_f32 v54, v67, v69
	s_delay_alu instid0(VALU_DEP_4) | instskip(NEXT) | instid1(VALU_DEP_4)
	v_add_f32_e32 v51, v51, v53
	v_add_f32_e32 v1, v1, v48
	s_delay_alu instid0(VALU_DEP_4)
	v_fma_f32 v53, v61, v49, -v47
	s_waitcnt lgkmcnt(0)
	v_mul_f32_e32 v61, v64, v44
	v_fmac_f32_e32 v59, v62, v49
	ds_load_2addr_b64 v[47:50], v0 offset0:96 offset1:112
	v_dual_mul_f32 v67, v63, v46 :: v_dual_add_f32 v52, v52, v53
	v_fma_f32 v53, v63, v43, -v61
	v_mul_f32_e32 v61, v64, v46
	v_dual_add_f32 v25, v25, v59 :: v_dual_mul_f32 v62, v63, v44
	s_delay_alu instid0(VALU_DEP_4) | instskip(NEXT) | instid1(VALU_DEP_4)
	v_fmac_f32_e32 v67, v64, v45
	v_add_f32_e32 v59, v60, v53
	s_delay_alu instid0(VALU_DEP_4)
	v_fma_f32 v53, v63, v45, -v61
	v_mul_f32_e32 v60, v56, v44
	v_mul_f32_e32 v44, v55, v44
	v_fmac_f32_e32 v62, v64, v43
	v_add_f32_e32 v61, v54, v67
	v_dual_add_f32 v2, v2, v53 :: v_dual_mul_f32 v53, v56, v46
	v_fma_f32 v54, v55, v43, -v60
	v_fmac_f32_e32 v44, v56, v43
	v_mul_f32_e32 v60, v55, v46
	v_add_f32_e32 v3, v3, v62
	v_fma_f32 v43, v55, v45, -v53
	s_waitcnt lgkmcnt(0)
	v_dual_mul_f32 v46, v66, v48 :: v_dual_add_f32 v55, v51, v54
	v_dual_add_f32 v1, v1, v44 :: v_dual_fmac_f32 v60, v56, v45
	s_delay_alu instid0(VALU_DEP_3) | instskip(NEXT) | instid1(VALU_DEP_3)
	v_add_f32_e32 v56, v52, v43
	v_fma_f32 v62, v65, v47, -v46
	ds_load_2addr_b64 v[43:46], v0 offset0:128 offset1:144
	ds_load_b128 v[51:54], v38 offset:224
	v_dual_mul_f32 v63, v65, v48 :: v_dual_mul_f32 v64, v66, v50
	v_add_f32_e32 v25, v25, v60
	v_mul_f32_e32 v60, v65, v50
	v_add_f32_e32 v67, v59, v62
	s_delay_alu instid0(VALU_DEP_4) | instskip(SKIP_3) | instid1(VALU_DEP_4)
	v_fmac_f32_e32 v63, v66, v47
	v_fma_f32 v64, v65, v49, -v64
	v_mul_f32_e32 v59, v58, v48
	v_fmac_f32_e32 v60, v66, v49
	v_dual_mul_f32 v48, v57, v48 :: v_dual_add_f32 v3, v3, v63
	s_delay_alu instid0(VALU_DEP_4) | instskip(NEXT) | instid1(VALU_DEP_4)
	v_add_f32_e32 v2, v2, v64
	v_fma_f32 v63, v57, v47, -v59
	v_mul_f32_e32 v64, v58, v50
	v_add_f32_e32 v68, v61, v60
	ds_load_b128 v[59:62], v38 offset:4320
	v_fmac_f32_e32 v48, v58, v47
	v_add_f32_e32 v69, v55, v63
	v_mul_f32_e32 v55, v57, v50
	v_fma_f32 v47, v57, v49, -v64
	ds_load_b128 v[63:66], v38 offset:240
	s_waitcnt lgkmcnt(2)
	v_mul_f32_e32 v50, v52, v44
	v_add_f32_e32 v1, v1, v48
	v_dual_fmac_f32 v55, v58, v49 :: v_dual_add_f32 v70, v56, v47
	v_mul_f32_e32 v71, v51, v44
	s_delay_alu instid0(VALU_DEP_4)
	v_fma_f32 v56, v51, v43, -v50
	ds_load_2addr_b64 v[47:50], v0 offset0:160 offset1:176
	v_mul_f32_e32 v57, v52, v46
	v_dual_mul_f32 v72, v51, v46 :: v_dual_fmac_f32 v71, v52, v43
	v_add_f32_e32 v67, v67, v56
	v_add_f32_e32 v25, v25, v55
	s_delay_alu instid0(VALU_DEP_4) | instskip(NEXT) | instid1(VALU_DEP_4)
	v_fma_f32 v51, v51, v45, -v57
	v_fmac_f32_e32 v72, v52, v45
	s_waitcnt lgkmcnt(2)
	v_mul_f32_e32 v73, v60, v44
	v_mul_f32_e32 v44, v59, v44
	v_dual_mul_f32 v52, v60, v46 :: v_dual_add_f32 v3, v3, v71
	v_add_f32_e32 v2, v2, v51
	s_delay_alu instid0(VALU_DEP_4) | instskip(NEXT) | instid1(VALU_DEP_4)
	v_fma_f32 v51, v59, v43, -v73
	v_dual_fmac_f32 v44, v60, v43 :: v_dual_mul_f32 v71, v59, v46
	s_delay_alu instid0(VALU_DEP_4)
	v_fma_f32 v43, v59, v45, -v52
	ds_load_b128 v[55:58], v38 offset:4336
	v_add_f32_e32 v51, v69, v51
	v_add_f32_e32 v1, v1, v44
	s_waitcnt lgkmcnt(1)
	v_dual_mul_f32 v46, v54, v48 :: v_dual_fmac_f32 v71, v60, v45
	v_dual_mul_f32 v52, v53, v48 :: v_dual_add_f32 v59, v70, v43
	v_mul_f32_e32 v69, v54, v50
	s_delay_alu instid0(VALU_DEP_3)
	v_fma_f32 v60, v53, v47, -v46
	ds_load_2addr_b64 v[43:46], v0 offset0:192 offset1:208
	v_fmac_f32_e32 v52, v54, v47
	v_dual_add_f32 v25, v25, v71 :: v_dual_add_f32 v68, v68, v72
	v_dual_add_f32 v60, v67, v60 :: v_dual_mul_f32 v67, v53, v50
	v_fma_f32 v53, v53, v49, -v69
	s_delay_alu instid0(VALU_DEP_4) | instskip(SKIP_1) | instid1(VALU_DEP_4)
	v_add_f32_e32 v52, v3, v52
	v_mul_f32_e32 v3, v62, v48
	v_dual_mul_f32 v48, v61, v48 :: v_dual_fmac_f32 v67, v54, v49
	s_delay_alu instid0(VALU_DEP_4) | instskip(SKIP_1) | instid1(VALU_DEP_4)
	v_add_f32_e32 v53, v2, v53
	v_mul_f32_e32 v2, v62, v50
	v_fma_f32 v3, v61, v47, -v3
	s_delay_alu instid0(VALU_DEP_4) | instskip(SKIP_1) | instid1(VALU_DEP_4)
	v_fmac_f32_e32 v48, v62, v47
	v_dual_mul_f32 v50, v61, v50 :: v_dual_add_f32 v47, v68, v67
	v_fma_f32 v2, v61, v49, -v2
	s_delay_alu instid0(VALU_DEP_3) | instskip(SKIP_2) | instid1(VALU_DEP_3)
	v_dual_add_f32 v51, v51, v3 :: v_dual_add_f32 v48, v1, v48
	s_waitcnt lgkmcnt(0)
	v_mul_f32_e32 v54, v64, v44
	v_dual_fmac_f32 v50, v62, v49 :: v_dual_add_f32 v49, v59, v2
	ds_load_2addr_b64 v[0:3], v0 offset0:224 offset1:240
	v_mul_f32_e32 v59, v63, v44
	v_fma_f32 v54, v63, v43, -v54
	v_add_f32_e32 v25, v25, v50
	v_mul_f32_e32 v50, v64, v46
	v_mul_f32_e32 v61, v63, v46
	v_fmac_f32_e32 v59, v64, v43
	v_add_f32_e32 v54, v60, v54
	v_mul_f32_e32 v60, v56, v44
	v_fma_f32 v50, v63, v45, -v50
	v_mul_f32_e32 v44, v55, v44
	v_add_f32_e32 v52, v52, v59
	v_fmac_f32_e32 v61, v64, v45
	v_fma_f32 v59, v55, v43, -v60
	v_add_f32_e32 v50, v53, v50
	v_mul_f32_e32 v53, v56, v46
	v_fmac_f32_e32 v44, v56, v43
	v_mul_f32_e32 v46, v55, v46
	v_add_f32_e32 v43, v51, v59
	v_add_f32_e32 v47, v47, v61
	v_fma_f32 v51, v55, v45, -v53
	s_waitcnt lgkmcnt(0)
	v_mul_f32_e32 v53, v66, v1
	v_mul_f32_e32 v55, v65, v1
	v_add_f32_e32 v59, v48, v44
	v_dual_fmac_f32 v46, v56, v45 :: v_dual_mul_f32 v45, v66, v3
	s_delay_alu instid0(VALU_DEP_4) | instskip(NEXT) | instid1(VALU_DEP_4)
	v_fma_f32 v44, v65, v0, -v53
	v_fmac_f32_e32 v55, v66, v0
	v_add_f32_e32 v51, v49, v51
	v_mul_f32_e32 v53, v65, v3
	s_delay_alu instid0(VALU_DEP_4) | instskip(NEXT) | instid1(VALU_DEP_4)
	v_dual_add_f32 v25, v25, v46 :: v_dual_add_f32 v48, v54, v44
	v_add_f32_e32 v49, v52, v55
	v_fma_f32 v44, v65, v2, -v45
	v_mul_f32_e32 v45, v58, v1
	v_dual_mul_f32 v1, v57, v1 :: v_dual_mul_f32 v52, v58, v3
	v_mul_f32_e32 v3, v57, v3
	v_fmac_f32_e32 v53, v66, v2
	v_add_f32_e32 v46, v50, v44
	v_fma_f32 v44, v57, v0, -v45
	v_fmac_f32_e32 v1, v58, v0
	v_fma_f32 v0, v57, v2, -v52
	v_fmac_f32_e32 v3, v58, v2
	v_add_f32_e32 v47, v47, v53
	v_add_f32_e32 v44, v43, v44
	;; [unrolled: 1-line block ×5, first 2 shown]
	s_barrier
	buffer_gl0_inv
	s_cbranch_scc1 .LBB74_55
.LBB74_7:                               ;   Parent Loop BB74_4 Depth=1
                                        ; =>  This Inner Loop Header: Depth=2
	v_add_co_u32 v0, s5, v4, s20
	s_delay_alu instid0(VALU_DEP_1) | instskip(SKIP_1) | instid1(VALU_DEP_2)
	v_add_co_ci_u32_e64 v1, s5, s21, v5, s5
	v_cmp_eq_u64_e64 s7, s[20:21], v[14:15]
	v_cmp_le_i64_e64 s6, s[12:13], v[0:1]
	v_cmp_lt_i64_e64 s5, v[0:1], v[6:7]
	s_delay_alu instid0(VALU_DEP_3) | instskip(NEXT) | instid1(VALU_DEP_1)
	s_and_b32 s24, s44, s7
	s_or_b32 s7, s6, s5
	s_delay_alu instid0(SALU_CYCLE_1) | instskip(SKIP_1) | instid1(VALU_DEP_1)
	s_or_b32 s8, s7, s24
	v_add_co_u32 v2, s7, v34, v22
	v_add_co_ci_u32_e64 v3, s7, v35, v23, s7
	s_or_b32 s7, s0, s8
	s_delay_alu instid0(SALU_CYCLE_1) | instskip(NEXT) | instid1(SALU_CYCLE_1)
	s_xor_b32 s7, s7, -1
	s_and_saveexec_b32 s8, s7
	s_delay_alu instid0(SALU_CYCLE_1)
	s_xor_b32 s7, exec_lo, s8
	s_cbranch_execz .LBB74_9
; %bb.8:                                ;   in Loop: Header=BB74_7 Depth=2
	global_load_b64 v[50:51], v[2:3], off
	s_waitcnt vmcnt(0)
	ds_store_b64 v39, v[50:51]
.LBB74_9:                               ;   in Loop: Header=BB74_7 Depth=2
	s_or_saveexec_b32 s7, s7
	s_xor_b32 s15, s24, -1
	s_xor_b32 exec_lo, exec_lo, s7
	s_cbranch_execz .LBB74_15
; %bb.10:                               ;   in Loop: Header=BB74_7 Depth=2
	s_and_saveexec_b32 s8, s15
	s_delay_alu instid0(SALU_CYCLE_1)
	s_xor_b32 s8, exec_lo, s8
	s_cbranch_execz .LBB74_12
; %bb.11:                               ;   in Loop: Header=BB74_7 Depth=2
	v_mov_b32_e32 v50, v27
	v_mov_b32_e32 v51, v27
	ds_store_b64 v39, v[50:51]
.LBB74_12:                              ;   in Loop: Header=BB74_7 Depth=2
	s_and_not1_saveexec_b32 s8, s8
	s_cbranch_execz .LBB74_14
; %bb.13:                               ;   in Loop: Header=BB74_7 Depth=2
	ds_store_b64 v39, v[26:27]
.LBB74_14:                              ;   in Loop: Header=BB74_7 Depth=2
	s_or_b32 exec_lo, exec_lo, s8
.LBB74_15:                              ;   in Loop: Header=BB74_7 Depth=2
	s_delay_alu instid0(SALU_CYCLE_1) | instskip(SKIP_2) | instid1(VALU_DEP_2)
	s_or_b32 exec_lo, exec_lo, s7
	v_cmp_eq_u64_e64 s7, s[20:21], v[18:19]
	v_cmp_gt_i64_e64 s8, v[10:11], v[0:1]
	s_and_b32 s7, s44, s7
	s_delay_alu instid0(VALU_DEP_1) | instskip(NEXT) | instid1(SALU_CYCLE_1)
	s_or_b32 s6, s6, s8
	s_or_b32 s6, s6, s7
	s_delay_alu instid0(SALU_CYCLE_1) | instskip(NEXT) | instid1(SALU_CYCLE_1)
	s_or_b32 s6, s1, s6
	s_xor_b32 s6, s6, -1
	s_delay_alu instid0(SALU_CYCLE_1) | instskip(NEXT) | instid1(SALU_CYCLE_1)
	s_and_saveexec_b32 s8, s6
	s_xor_b32 s6, exec_lo, s8
	s_cbranch_execz .LBB74_17
; %bb.16:                               ;   in Loop: Header=BB74_7 Depth=2
	global_load_b64 v[2:3], v[2:3], off offset:128
	s_waitcnt vmcnt(0)
	ds_store_b64 v39, v[2:3] offset:128
.LBB74_17:                              ;   in Loop: Header=BB74_7 Depth=2
	s_and_not1_saveexec_b32 s6, s6
	s_cbranch_execz .LBB74_23
; %bb.18:                               ;   in Loop: Header=BB74_7 Depth=2
	s_xor_b32 s7, s7, -1
	s_delay_alu instid0(SALU_CYCLE_1) | instskip(NEXT) | instid1(SALU_CYCLE_1)
	s_and_saveexec_b32 s8, s7
	s_xor_b32 s7, exec_lo, s8
	s_cbranch_execz .LBB74_20
; %bb.19:                               ;   in Loop: Header=BB74_7 Depth=2
	v_mov_b32_e32 v2, v27
	v_mov_b32_e32 v3, v27
	ds_store_b64 v39, v[2:3] offset:128
.LBB74_20:                              ;   in Loop: Header=BB74_7 Depth=2
	s_and_not1_saveexec_b32 s7, s7
	s_cbranch_execz .LBB74_22
; %bb.21:                               ;   in Loop: Header=BB74_7 Depth=2
	ds_store_b64 v39, v[26:27] offset:128
.LBB74_22:                              ;   in Loop: Header=BB74_7 Depth=2
	s_or_b32 exec_lo, exec_lo, s7
.LBB74_23:                              ;   in Loop: Header=BB74_7 Depth=2
	s_delay_alu instid0(SALU_CYCLE_1) | instskip(SKIP_1) | instid1(VALU_DEP_1)
	s_or_b32 exec_lo, exec_lo, s6
	v_add_co_u32 v0, s6, v0, 16
	v_add_co_ci_u32_e64 v1, s6, 0, v1, s6
	v_cmp_eq_u64_e64 s7, s[20:21], v[20:21]
	s_delay_alu instid0(VALU_DEP_2) | instskip(SKIP_1) | instid1(VALU_DEP_3)
	v_cmp_le_i64_e64 s6, s[12:13], v[0:1]
	v_cmp_lt_i64_e64 s8, v[0:1], v[6:7]
	s_and_b32 s25, s44, s7
	s_delay_alu instid0(VALU_DEP_1) | instskip(NEXT) | instid1(SALU_CYCLE_1)
	s_or_b32 s7, s6, s8
	s_or_b32 s7, s7, s25
	s_delay_alu instid0(SALU_CYCLE_1) | instskip(NEXT) | instid1(SALU_CYCLE_1)
	s_or_b32 s7, s0, s7
	s_xor_b32 s7, s7, -1
	s_delay_alu instid0(SALU_CYCLE_1) | instskip(NEXT) | instid1(SALU_CYCLE_1)
	s_and_saveexec_b32 s8, s7
	s_xor_b32 s8, exec_lo, s8
	s_cbranch_execz .LBB74_25
; %bb.24:                               ;   in Loop: Header=BB74_7 Depth=2
	v_add_co_u32 v0, s7, v32, v22
	s_delay_alu instid0(VALU_DEP_1)
	v_add_co_ci_u32_e64 v1, s7, v33, v23, s7
	global_load_b64 v[0:1], v[0:1], off
	s_waitcnt vmcnt(0)
	ds_store_b64 v39, v[0:1] offset:4096
.LBB74_25:                              ;   in Loop: Header=BB74_7 Depth=2
	s_and_not1_saveexec_b32 s7, s8
	s_cbranch_execz .LBB74_31
; %bb.26:                               ;   in Loop: Header=BB74_7 Depth=2
	s_xor_b32 s8, s25, -1
	s_delay_alu instid0(SALU_CYCLE_1) | instskip(NEXT) | instid1(SALU_CYCLE_1)
	s_and_saveexec_b32 s25, s8
	s_xor_b32 s8, exec_lo, s25
	s_cbranch_execz .LBB74_28
; %bb.27:                               ;   in Loop: Header=BB74_7 Depth=2
	v_mov_b32_e32 v0, v27
	v_mov_b32_e32 v1, v27
	ds_store_b64 v39, v[0:1] offset:4096
.LBB74_28:                              ;   in Loop: Header=BB74_7 Depth=2
	s_and_not1_saveexec_b32 s8, s8
	s_cbranch_execz .LBB74_30
; %bb.29:                               ;   in Loop: Header=BB74_7 Depth=2
	ds_store_b64 v39, v[26:27] offset:4096
.LBB74_30:                              ;   in Loop: Header=BB74_7 Depth=2
	s_or_b32 exec_lo, exec_lo, s8
.LBB74_31:                              ;   in Loop: Header=BB74_7 Depth=2
	s_delay_alu instid0(SALU_CYCLE_1) | instskip(SKIP_1) | instid1(SALU_CYCLE_1)
	s_or_b32 exec_lo, exec_lo, s7
	s_or_b32 s5, s6, s5
	s_or_b32 s5, s5, s24
	s_delay_alu instid0(SALU_CYCLE_1) | instskip(NEXT) | instid1(SALU_CYCLE_1)
	s_or_b32 s5, s1, s5
	s_xor_b32 s5, s5, -1
	s_delay_alu instid0(SALU_CYCLE_1) | instskip(NEXT) | instid1(SALU_CYCLE_1)
	s_and_saveexec_b32 s6, s5
	s_xor_b32 s6, exec_lo, s6
	s_cbranch_execz .LBB74_33
; %bb.32:                               ;   in Loop: Header=BB74_7 Depth=2
	v_add_co_u32 v0, s5, v32, v22
	s_delay_alu instid0(VALU_DEP_1)
	v_add_co_ci_u32_e64 v1, s5, v33, v23, s5
	global_load_b64 v[0:1], v[0:1], off offset:128
	s_waitcnt vmcnt(0)
	ds_store_b64 v39, v[0:1] offset:4224
.LBB74_33:                              ;   in Loop: Header=BB74_7 Depth=2
	s_and_not1_saveexec_b32 s5, s6
	s_cbranch_execz .LBB74_39
; %bb.34:                               ;   in Loop: Header=BB74_7 Depth=2
	s_and_saveexec_b32 s6, s15
	s_delay_alu instid0(SALU_CYCLE_1)
	s_xor_b32 s6, exec_lo, s6
	s_cbranch_execz .LBB74_36
; %bb.35:                               ;   in Loop: Header=BB74_7 Depth=2
	v_mov_b32_e32 v0, v27
	v_mov_b32_e32 v1, v27
	ds_store_b64 v39, v[0:1] offset:4224
.LBB74_36:                              ;   in Loop: Header=BB74_7 Depth=2
	s_and_not1_saveexec_b32 s6, s6
	s_cbranch_execz .LBB74_38
; %bb.37:                               ;   in Loop: Header=BB74_7 Depth=2
	ds_store_b64 v39, v[26:27] offset:4224
.LBB74_38:                              ;   in Loop: Header=BB74_7 Depth=2
	s_or_b32 exec_lo, exec_lo, s6
.LBB74_39:                              ;   in Loop: Header=BB74_7 Depth=2
	s_delay_alu instid0(SALU_CYCLE_1) | instskip(SKIP_1) | instid1(VALU_DEP_1)
	s_or_b32 exec_lo, exec_lo, s5
	v_add_co_u32 v0, s5, v6, s20
	v_add_co_ci_u32_e64 v1, s5, s21, v7, s5
	s_delay_alu instid0(VALU_DEP_1) | instskip(NEXT) | instid1(VALU_DEP_1)
	v_cmp_gt_i64_e64 s5, s[12:13], v[0:1]
	s_and_b32 s6, vcc_lo, s5
	s_delay_alu instid0(SALU_CYCLE_1) | instskip(NEXT) | instid1(SALU_CYCLE_1)
	s_xor_b32 s6, s6, -1
	s_and_saveexec_b32 s7, s6
	s_delay_alu instid0(SALU_CYCLE_1)
	s_xor_b32 s6, exec_lo, s7
	s_cbranch_execz .LBB74_41
; %bb.40:                               ;   in Loop: Header=BB74_7 Depth=2
	v_mov_b32_e32 v2, v27
	v_mov_b32_e32 v3, v27
	ds_store_b64 v40, v[2:3]
.LBB74_41:                              ;   in Loop: Header=BB74_7 Depth=2
	s_or_saveexec_b32 s7, s6
	v_add_co_u32 v2, s6, v28, v22
	s_delay_alu instid0(VALU_DEP_1)
	v_add_co_ci_u32_e64 v3, s6, v29, v23, s6
	s_xor_b32 exec_lo, exec_lo, s7
	s_cbranch_execz .LBB74_43
; %bb.42:                               ;   in Loop: Header=BB74_7 Depth=2
	global_load_b64 v[50:51], v[2:3], off offset:-128
	s_waitcnt vmcnt(0)
	ds_store_b64 v40, v[50:51]
.LBB74_43:                              ;   in Loop: Header=BB74_7 Depth=2
	s_or_b32 exec_lo, exec_lo, s7
	v_cmp_gt_i64_e64 s6, s[22:23], v[0:1]
	s_delay_alu instid0(VALU_DEP_1) | instskip(NEXT) | instid1(SALU_CYCLE_1)
	s_and_b32 s7, vcc_lo, s6
	s_xor_b32 s7, s7, -1
	s_delay_alu instid0(SALU_CYCLE_1) | instskip(NEXT) | instid1(SALU_CYCLE_1)
	s_and_saveexec_b32 s8, s7
	s_xor_b32 s7, exec_lo, s8
	s_cbranch_execz .LBB74_45
; %bb.44:                               ;   in Loop: Header=BB74_7 Depth=2
	v_mov_b32_e32 v0, v27
	v_mov_b32_e32 v1, v27
                                        ; implicit-def: $vgpr2_vgpr3
	ds_store_b64 v40, v[0:1] offset:128
.LBB74_45:                              ;   in Loop: Header=BB74_7 Depth=2
	s_and_not1_saveexec_b32 s7, s7
	s_cbranch_execz .LBB74_47
; %bb.46:                               ;   in Loop: Header=BB74_7 Depth=2
	global_load_b64 v[0:1], v[2:3], off
	s_waitcnt vmcnt(0)
	ds_store_b64 v40, v[0:1] offset:128
.LBB74_47:                              ;   in Loop: Header=BB74_7 Depth=2
	s_or_b32 exec_lo, exec_lo, s7
	s_and_b32 s5, s4, s5
	s_delay_alu instid0(SALU_CYCLE_1) | instskip(NEXT) | instid1(SALU_CYCLE_1)
	s_xor_b32 s5, s5, -1
	s_and_saveexec_b32 s7, s5
	s_delay_alu instid0(SALU_CYCLE_1)
	s_xor_b32 s5, exec_lo, s7
	s_cbranch_execz .LBB74_49
; %bb.48:                               ;   in Loop: Header=BB74_7 Depth=2
	v_mov_b32_e32 v0, v27
	v_mov_b32_e32 v1, v27
	ds_store_b64 v40, v[0:1] offset:4096
.LBB74_49:                              ;   in Loop: Header=BB74_7 Depth=2
	s_and_not1_saveexec_b32 s7, s5
	s_cbranch_execz .LBB74_51
; %bb.50:                               ;   in Loop: Header=BB74_7 Depth=2
	v_add_co_u32 v0, s5, v30, v22
	s_delay_alu instid0(VALU_DEP_1)
	v_add_co_ci_u32_e64 v1, s5, v31, v23, s5
	global_load_b64 v[0:1], v[0:1], off offset:-128
	s_waitcnt vmcnt(0)
	ds_store_b64 v40, v[0:1] offset:4096
.LBB74_51:                              ;   in Loop: Header=BB74_7 Depth=2
	s_or_b32 exec_lo, exec_lo, s7
	s_and_b32 s5, s4, s6
	s_delay_alu instid0(SALU_CYCLE_1) | instskip(NEXT) | instid1(SALU_CYCLE_1)
	s_xor_b32 s5, s5, -1
	s_and_saveexec_b32 s6, s5
	s_delay_alu instid0(SALU_CYCLE_1)
	s_xor_b32 s5, exec_lo, s6
	s_cbranch_execz .LBB74_53
; %bb.52:                               ;   in Loop: Header=BB74_7 Depth=2
	v_mov_b32_e32 v0, v27
	v_mov_b32_e32 v1, v27
	ds_store_b64 v40, v[0:1] offset:4224
.LBB74_53:                              ;   in Loop: Header=BB74_7 Depth=2
	s_and_not1_saveexec_b32 s6, s5
	s_cbranch_execz .LBB74_6
; %bb.54:                               ;   in Loop: Header=BB74_7 Depth=2
	v_add_co_u32 v0, s5, v30, v22
	s_delay_alu instid0(VALU_DEP_1)
	v_add_co_ci_u32_e64 v1, s5, v31, v23, s5
	global_load_b64 v[0:1], v[0:1], off
	s_waitcnt vmcnt(0)
	ds_store_b64 v40, v[0:1] offset:4224
	s_branch .LBB74_6
.LBB74_55:                              ;   in Loop: Header=BB74_4 Depth=1
	v_mul_lo_u32 v2, v42, s16
	v_mul_lo_u32 v3, v41, s17
	v_mad_u64_u32 v[0:1], null, v41, s16, 0
	v_cmp_gt_i32_e32 vcc_lo, s10, v41
	s_delay_alu instid0(VALU_DEP_2) | instskip(NEXT) | instid1(VALU_DEP_1)
	v_add3_u32 v1, v1, v3, v2
	v_lshlrev_b64 v[0:1], 3, v[0:1]
	s_delay_alu instid0(VALU_DEP_1) | instskip(NEXT) | instid1(VALU_DEP_1)
	v_add_co_u32 v0, s4, s40, v0
	v_add_co_ci_u32_e64 v1, s4, s41, v1, s4
	s_and_b32 s4, s2, vcc_lo
	s_delay_alu instid0(SALU_CYCLE_1)
	s_and_saveexec_b32 s5, s4
	s_cbranch_execz .LBB74_57
; %bb.56:                               ;   in Loop: Header=BB74_4 Depth=1
	v_add_co_u32 v2, s4, v0, v22
	s_delay_alu instid0(VALU_DEP_1) | instskip(SKIP_2) | instid1(VALU_DEP_1)
	v_add_co_ci_u32_e64 v3, s4, v1, v23, s4
	global_load_b64 v[28:29], v[2:3], off
	v_mul_f32_e32 v31, s34, v49
	v_dual_mul_f32 v30, s35, v49 :: v_dual_fmac_f32 v31, s35, v48
	s_delay_alu instid0(VALU_DEP_1) | instskip(SKIP_1) | instid1(VALU_DEP_1)
	v_fma_f32 v30, v48, s34, -v30
	s_waitcnt vmcnt(0)
	v_dual_add_f32 v28, v28, v30 :: v_dual_add_f32 v29, v29, v31
	global_store_b64 v[2:3], v[28:29], off
.LBB74_57:                              ;   in Loop: Header=BB74_4 Depth=1
	s_or_b32 exec_lo, exec_lo, s5
	s_and_b32 s5, s3, vcc_lo
	s_delay_alu instid0(SALU_CYCLE_1)
	s_and_saveexec_b32 s4, s5
	s_cbranch_execz .LBB74_59
; %bb.58:                               ;   in Loop: Header=BB74_4 Depth=1
	v_lshlrev_b64 v[2:3], 3, v[8:9]
	s_delay_alu instid0(VALU_DEP_1) | instskip(NEXT) | instid1(VALU_DEP_2)
	v_add_co_u32 v0, vcc_lo, v0, v2
	v_add_co_ci_u32_e32 v1, vcc_lo, v1, v3, vcc_lo
	global_load_b64 v[2:3], v[0:1], off
	v_mul_f32_e32 v29, s34, v47
	s_delay_alu instid0(VALU_DEP_1) | instskip(NEXT) | instid1(VALU_DEP_1)
	v_dual_mul_f32 v28, s35, v47 :: v_dual_fmac_f32 v29, s35, v46
	v_fma_f32 v28, v46, s34, -v28
	s_waitcnt vmcnt(0)
	s_delay_alu instid0(VALU_DEP_1)
	v_dual_add_f32 v2, v2, v28 :: v_dual_add_f32 v3, v3, v29
	global_store_b64 v[0:1], v[2:3], off
.LBB74_59:                              ;   in Loop: Header=BB74_4 Depth=1
	s_or_b32 exec_lo, exec_lo, s4
	v_add_nc_u32_e32 v2, 16, v41
	s_delay_alu instid0(VALU_DEP_1) | instskip(SKIP_3) | instid1(VALU_DEP_4)
	v_ashrrev_i32_e32 v3, 31, v2
	v_mul_lo_u32 v28, v2, s17
	v_mad_u64_u32 v[0:1], null, v2, s16, 0
	v_cmp_gt_i32_e32 vcc_lo, s10, v2
	v_mul_lo_u32 v3, v3, s16
	s_delay_alu instid0(VALU_DEP_1) | instskip(NEXT) | instid1(VALU_DEP_1)
	v_add3_u32 v1, v1, v28, v3
	v_lshlrev_b64 v[0:1], 3, v[0:1]
	s_delay_alu instid0(VALU_DEP_1) | instskip(NEXT) | instid1(VALU_DEP_1)
	v_add_co_u32 v0, s4, s40, v0
	v_add_co_ci_u32_e64 v1, s4, s41, v1, s4
	s_and_b32 s4, s2, vcc_lo
	s_delay_alu instid0(SALU_CYCLE_1)
	s_and_saveexec_b32 s5, s4
	s_cbranch_execz .LBB74_61
; %bb.60:                               ;   in Loop: Header=BB74_4 Depth=1
	v_add_co_u32 v2, s4, v0, v22
	s_delay_alu instid0(VALU_DEP_1) | instskip(SKIP_2) | instid1(VALU_DEP_1)
	v_add_co_ci_u32_e64 v3, s4, v1, v23, s4
	global_load_b64 v[28:29], v[2:3], off
	v_mul_f32_e32 v31, s34, v45
	v_dual_mul_f32 v30, s35, v45 :: v_dual_fmac_f32 v31, s35, v44
	s_delay_alu instid0(VALU_DEP_1) | instskip(SKIP_1) | instid1(VALU_DEP_1)
	v_fma_f32 v30, v44, s34, -v30
	s_waitcnt vmcnt(0)
	v_dual_add_f32 v28, v28, v30 :: v_dual_add_f32 v29, v29, v31
	global_store_b64 v[2:3], v[28:29], off
.LBB74_61:                              ;   in Loop: Header=BB74_4 Depth=1
	s_or_b32 exec_lo, exec_lo, s5
	s_and_b32 s5, s3, vcc_lo
	s_delay_alu instid0(SALU_CYCLE_1)
	s_and_saveexec_b32 s4, s5
	s_cbranch_execz .LBB74_3
; %bb.62:                               ;   in Loop: Header=BB74_4 Depth=1
	v_lshlrev_b64 v[2:3], 3, v[8:9]
	v_mul_f32_e32 v28, s35, v25
	s_delay_alu instid0(VALU_DEP_2) | instskip(NEXT) | instid1(VALU_DEP_3)
	v_add_co_u32 v0, vcc_lo, v0, v2
	v_add_co_ci_u32_e32 v1, vcc_lo, v1, v3, vcc_lo
	global_load_b64 v[2:3], v[0:1], off
	v_mul_f32_e32 v25, s34, v25
	s_delay_alu instid0(VALU_DEP_1) | instskip(SKIP_2) | instid1(VALU_DEP_1)
	v_fmac_f32_e32 v25, s35, v43
	v_fma_f32 v28, v43, s34, -v28
	s_waitcnt vmcnt(0)
	v_dual_add_f32 v2, v2, v28 :: v_dual_add_f32 v3, v3, v25
	global_store_b64 v[0:1], v[2:3], off
	s_branch .LBB74_3
.LBB74_63:
	s_nop 0
	s_sendmsg sendmsg(MSG_DEALLOC_VGPRS)
	s_endpgm
	.section	.rodata,"a",@progbits
	.p2align	6, 0x0
	.amdhsa_kernel _ZL30rocblas_trmm_outofplace_kernelI19rocblas_complex_numIfELi32ELi2ELb1ELb1ELb0ELb0EPKS1_S2_S1_Ev17rocblas_diagonal_iiT6_lPT7_lllS7_lllPT8_llli
		.amdhsa_group_segment_fixed_size 16384
		.amdhsa_private_segment_fixed_size 0
		.amdhsa_kernarg_size 392
		.amdhsa_user_sgpr_count 13
		.amdhsa_user_sgpr_dispatch_ptr 0
		.amdhsa_user_sgpr_queue_ptr 0
		.amdhsa_user_sgpr_kernarg_segment_ptr 1
		.amdhsa_user_sgpr_dispatch_id 0
		.amdhsa_user_sgpr_private_segment_size 0
		.amdhsa_wavefront_size32 1
		.amdhsa_uses_dynamic_stack 0
		.amdhsa_enable_private_segment 0
		.amdhsa_system_sgpr_workgroup_id_x 1
		.amdhsa_system_sgpr_workgroup_id_y 1
		.amdhsa_system_sgpr_workgroup_id_z 1
		.amdhsa_system_sgpr_workgroup_info 0
		.amdhsa_system_vgpr_workitem_id 1
		.amdhsa_next_free_vgpr 84
		.amdhsa_next_free_sgpr 46
		.amdhsa_reserve_vcc 1
		.amdhsa_float_round_mode_32 0
		.amdhsa_float_round_mode_16_64 0
		.amdhsa_float_denorm_mode_32 3
		.amdhsa_float_denorm_mode_16_64 3
		.amdhsa_dx10_clamp 1
		.amdhsa_ieee_mode 1
		.amdhsa_fp16_overflow 0
		.amdhsa_workgroup_processor_mode 1
		.amdhsa_memory_ordered 1
		.amdhsa_forward_progress 0
		.amdhsa_shared_vgpr_count 0
		.amdhsa_exception_fp_ieee_invalid_op 0
		.amdhsa_exception_fp_denorm_src 0
		.amdhsa_exception_fp_ieee_div_zero 0
		.amdhsa_exception_fp_ieee_overflow 0
		.amdhsa_exception_fp_ieee_underflow 0
		.amdhsa_exception_fp_ieee_inexact 0
		.amdhsa_exception_int_div_zero 0
	.end_amdhsa_kernel
	.section	.text._ZL30rocblas_trmm_outofplace_kernelI19rocblas_complex_numIfELi32ELi2ELb1ELb1ELb0ELb0EPKS1_S2_S1_Ev17rocblas_diagonal_iiT6_lPT7_lllS7_lllPT8_llli,"axG",@progbits,_ZL30rocblas_trmm_outofplace_kernelI19rocblas_complex_numIfELi32ELi2ELb1ELb1ELb0ELb0EPKS1_S2_S1_Ev17rocblas_diagonal_iiT6_lPT7_lllS7_lllPT8_llli,comdat
.Lfunc_end74:
	.size	_ZL30rocblas_trmm_outofplace_kernelI19rocblas_complex_numIfELi32ELi2ELb1ELb1ELb0ELb0EPKS1_S2_S1_Ev17rocblas_diagonal_iiT6_lPT7_lllS7_lllPT8_llli, .Lfunc_end74-_ZL30rocblas_trmm_outofplace_kernelI19rocblas_complex_numIfELi32ELi2ELb1ELb1ELb0ELb0EPKS1_S2_S1_Ev17rocblas_diagonal_iiT6_lPT7_lllS7_lllPT8_llli
                                        ; -- End function
	.section	.AMDGPU.csdata,"",@progbits
; Kernel info:
; codeLenInByte = 7488
; NumSgprs: 48
; NumVgprs: 84
; ScratchSize: 0
; MemoryBound: 1
; FloatMode: 240
; IeeeMode: 1
; LDSByteSize: 16384 bytes/workgroup (compile time only)
; SGPRBlocks: 5
; VGPRBlocks: 10
; NumSGPRsForWavesPerEU: 48
; NumVGPRsForWavesPerEU: 84
; Occupancy: 16
; WaveLimiterHint : 0
; COMPUTE_PGM_RSRC2:SCRATCH_EN: 0
; COMPUTE_PGM_RSRC2:USER_SGPR: 13
; COMPUTE_PGM_RSRC2:TRAP_HANDLER: 0
; COMPUTE_PGM_RSRC2:TGID_X_EN: 1
; COMPUTE_PGM_RSRC2:TGID_Y_EN: 1
; COMPUTE_PGM_RSRC2:TGID_Z_EN: 1
; COMPUTE_PGM_RSRC2:TIDIG_COMP_CNT: 1
	.section	.text._ZL30rocblas_trmm_outofplace_kernelI19rocblas_complex_numIfELi32ELi2ELb1ELb1ELb0ELb0ES1_KS1_S1_Ev17rocblas_diagonal_iiT6_lPT7_lllS6_lllPT8_llli,"axG",@progbits,_ZL30rocblas_trmm_outofplace_kernelI19rocblas_complex_numIfELi32ELi2ELb1ELb1ELb0ELb0ES1_KS1_S1_Ev17rocblas_diagonal_iiT6_lPT7_lllS6_lllPT8_llli,comdat
	.globl	_ZL30rocblas_trmm_outofplace_kernelI19rocblas_complex_numIfELi32ELi2ELb1ELb1ELb0ELb0ES1_KS1_S1_Ev17rocblas_diagonal_iiT6_lPT7_lllS6_lllPT8_llli ; -- Begin function _ZL30rocblas_trmm_outofplace_kernelI19rocblas_complex_numIfELi32ELi2ELb1ELb1ELb0ELb0ES1_KS1_S1_Ev17rocblas_diagonal_iiT6_lPT7_lllS6_lllPT8_llli
	.p2align	8
	.type	_ZL30rocblas_trmm_outofplace_kernelI19rocblas_complex_numIfELi32ELi2ELb1ELb1ELb0ELb0ES1_KS1_S1_Ev17rocblas_diagonal_iiT6_lPT7_lllS6_lllPT8_llli,@function
_ZL30rocblas_trmm_outofplace_kernelI19rocblas_complex_numIfELi32ELi2ELb1ELb1ELb0ELb0ES1_KS1_S1_Ev17rocblas_diagonal_iiT6_lPT7_lllS6_lllPT8_llli: ; @_ZL30rocblas_trmm_outofplace_kernelI19rocblas_complex_numIfELi32ELi2ELb1ELb1ELb0ELb0ES1_KS1_S1_Ev17rocblas_diagonal_iiT6_lPT7_lllS6_lllPT8_llli
; %bb.0:
	s_clause 0x1
	s_load_b128 s[8:11], s[0:1], 0x0
	s_load_b32 s33, s[0:1], 0x10
	s_waitcnt lgkmcnt(0)
	s_or_b32 s2, s11, s33
	s_delay_alu instid0(SALU_CYCLE_1) | instskip(NEXT) | instid1(SALU_CYCLE_1)
	s_bitset0_b32 s2, 31
	s_cmp_eq_u32 s2, 0
	s_cbranch_scc1 .LBB75_63
; %bb.1:
	s_add_i32 s2, s10, -1
	s_delay_alu instid0(SALU_CYCLE_1) | instskip(NEXT) | instid1(SALU_CYCLE_1)
	s_ashr_i32 s3, s2, 31
	s_lshr_b32 s3, s3, 27
	s_delay_alu instid0(SALU_CYCLE_1) | instskip(NEXT) | instid1(SALU_CYCLE_1)
	s_add_i32 s2, s2, s3
	s_ashr_i32 s34, s2, 5
	s_delay_alu instid0(SALU_CYCLE_1)
	s_cmp_gt_i32 s14, s34
	s_cbranch_scc1 .LBB75_63
; %bb.2:
	s_clause 0x2
	s_load_b512 s[16:31], s[0:1], 0x20
	s_load_b256 s[36:43], s[0:1], 0x60
	s_load_b32 s35, s[0:1], 0x8c
	v_bfe_u32 v36, v0, 10, 10
	v_dual_mov_b32 v27, 0 :: v_dual_and_b32 v0, 0x3ff, v0
	v_mov_b32_e32 v26, 1.0
	s_mov_b32 s12, s9
	s_delay_alu instid0(VALU_DEP_3) | instskip(NEXT) | instid1(VALU_DEP_3)
	v_lshlrev_b32_e32 v1, 8, v36
	v_lshlrev_b32_e32 v37, 3, v0
	v_lshl_add_u32 v24, s14, 5, v36
	s_delay_alu instid0(VALU_DEP_3) | instskip(NEXT) | instid1(VALU_DEP_3)
	v_add_nc_u32_e32 v38, 0x2000, v1
	v_add_nc_u32_e32 v39, v37, v1
	s_delay_alu instid0(VALU_DEP_2)
	v_add_nc_u32_e32 v40, v38, v37
	s_waitcnt lgkmcnt(0)
	s_mul_i32 s1, s15, s23
	s_mul_hi_u32 s2, s15, s22
	s_mul_i32 s0, s15, s22
	s_add_i32 s1, s2, s1
	s_mul_i32 s2, s15, s43
	s_lshl_b64 s[4:5], s[0:1], 3
	s_mul_hi_u32 s1, s15, s42
	s_add_u32 s3, s16, s4
	s_addc_u32 s22, s17, s5
	s_lshl_b64 s[6:7], s[18:19], 3
	s_mul_i32 s0, s15, s42
	s_add_u32 s44, s3, s6
	s_addc_u32 s45, s22, s7
	s_add_i32 s1, s1, s2
	s_mul_i32 s42, s30, s15
	s_lshl_b64 s[0:1], s[0:1], 3
	s_delay_alu instid0(SALU_CYCLE_1)
	s_add_u32 s2, s36, s0
	s_addc_u32 s3, s37, s1
	s_lshl_b64 s[0:1], s[38:39], 3
	s_mul_i32 s39, s31, s15
	s_add_u32 s31, s2, s0
	s_addc_u32 s36, s3, s1
	s_lshl_b32 s0, s13, 5
	s_mul_hi_u32 s2, s30, s15
	v_add_nc_u32_e32 v4, s0, v36
	v_add_nc_u32_e32 v6, s0, v0
	s_sub_i32 s37, s9, s0
	s_delay_alu instid0(SALU_CYCLE_1) | instskip(NEXT) | instid1(VALU_DEP_2)
	s_cmp_gt_i32 s37, 0
	v_ashrrev_i32_e32 v5, 31, v4
	v_mul_lo_u32 v2, v4, s21
	v_mad_u64_u32 v[0:1], null, v4, s20, 0
	v_ashrrev_i32_e32 v7, 31, v6
	s_delay_alu instid0(VALU_DEP_4)
	v_mul_lo_u32 v3, v5, s20
	s_cselect_b32 s15, -1, 0
	s_cmpk_eq_i32 s8, 0x84
	v_add_nc_u32_e32 v8, 16, v6
	v_add_co_u32 v10, vcc_lo, v6, 16
	s_cselect_b32 s30, -1, 0
	s_ashr_i32 s13, s9, 31
	s_delay_alu instid0(VALU_DEP_3)
	v_add3_u32 v1, v1, v2, v3
	s_ashr_i32 s38, s10, 31
	s_lshl_b64 s[18:19], s[20:21], 8
	s_add_u32 s22, s9, -16
	v_add_co_ci_u32_e32 v11, vcc_lo, 0, v7, vcc_lo
	v_lshlrev_b64 v[0:1], 3, v[0:1]
	s_addc_u32 s23, s13, -1
	s_add_i32 s43, s2, s39
	v_cmp_le_i32_e64 s0, s9, v6
	v_cmp_gt_i32_e64 s1, s9, v6
	v_cmp_gt_i32_e64 s2, s9, v8
	v_add_co_u32 v12, vcc_lo, s44, v0
	v_add_co_ci_u32_e32 v13, vcc_lo, s45, v1, vcc_lo
	s_lshl_b64 s[8:9], s[42:43], 3
	s_lshl_b64 s[26:27], s[26:27], 3
	v_lshlrev_b64 v[0:1], 3, v[4:5]
	s_add_u32 s8, s8, s26
	v_sub_co_u32 v14, vcc_lo, v6, v4
	s_addc_u32 s9, s9, s27
	s_add_u32 s8, s8, s24
	v_sub_co_ci_u32_e32 v15, vcc_lo, v7, v5, vcc_lo
	s_addc_u32 s9, s9, s25
	s_add_u32 s24, s8, 0x80
	v_add_co_u32 v0, vcc_lo, 0x80, v0
	s_addc_u32 s25, s9, 0
	s_lshl_b64 s[26:27], s[28:29], 3
	s_lshl_b32 s9, s35, 5
	v_add_co_ci_u32_e32 v1, vcc_lo, 0, v1, vcc_lo
	s_add_u32 s6, s16, s6
	s_addc_u32 s7, s17, s7
	s_add_u32 s4, s6, s4
	s_addc_u32 s5, s7, s5
	v_mul_lo_u32 v1, s20, v1
	v_mad_u64_u32 v[16:17], null, s20, v0, s[4:5]
	v_mul_lo_u32 v0, s21, v0
	v_add_co_u32 v18, vcc_lo, v14, 16
	v_add_co_ci_u32_e32 v19, vcc_lo, 0, v15, vcc_lo
	v_add_co_u32 v20, vcc_lo, v14, -16
	v_cmp_le_i64_e64 s3, s[12:13], v[10:11]
	v_lshlrev_b64 v[22:23], 3, v[6:7]
	v_ashrrev_i32_e32 v9, 31, v8
	v_add_co_ci_u32_e32 v21, vcc_lo, -1, v15, vcc_lo
	v_add3_u32 v17, v0, v17, v1
	s_mov_b32 s20, s10
	s_branch .LBB75_4
.LBB75_3:                               ;   in Loop: Header=BB75_4 Depth=1
	s_or_b32 exec_lo, exec_lo, s4
	v_add_nc_u32_e32 v24, s9, v24
	s_add_i32 s14, s35, s14
	s_delay_alu instid0(SALU_CYCLE_1)
	s_cmp_le_i32 s14, s34
	s_cbranch_scc0 .LBB75_63
.LBB75_4:                               ; =>This Loop Header: Depth=1
                                        ;     Child Loop BB75_7 Depth 2
	v_lshl_add_u32 v41, s14, 5, v36
	v_mov_b32_e32 v48, v27
	v_mov_b32_e32 v49, v27
	;; [unrolled: 1-line block ×4, first 2 shown]
	v_ashrrev_i32_e32 v42, 31, v41
	v_mov_b32_e32 v44, v27
	v_mov_b32_e32 v45, v27
	;; [unrolled: 1-line block ×4, first 2 shown]
	s_and_not1_b32 vcc_lo, exec_lo, s15
	s_cbranch_vccnz .LBB75_55
; %bb.5:                                ;   in Loop: Header=BB75_4 Depth=1
	v_ashrrev_i32_e32 v25, 31, v24
	v_mad_u64_u32 v[28:29], null, s26, v24, s[24:25]
	v_mul_lo_u32 v2, s27, v24
	v_mov_b32_e32 v33, v17
	s_delay_alu instid0(VALU_DEP_4)
	v_lshlrev_b64 v[0:1], 3, v[24:25]
	v_mul_lo_u32 v43, s26, v25
	v_mov_b32_e32 v35, v13
	v_dual_mov_b32 v25, 0 :: v_dual_mov_b32 v32, v16
	v_mov_b32_e32 v34, v12
	v_add_co_u32 v3, vcc_lo, 0x80, v0
	v_add_co_ci_u32_e32 v30, vcc_lo, 0, v1, vcc_lo
	v_sub_co_u32 v0, vcc_lo, s20, v41
	s_delay_alu instid0(VALU_DEP_3) | instskip(NEXT) | instid1(VALU_DEP_3)
	v_mul_lo_u32 v45, s29, v3
	v_mul_lo_u32 v44, s28, v30
	v_mad_u64_u32 v[30:31], null, s28, v3, s[24:25]
	v_sub_co_ci_u32_e32 v1, vcc_lo, s38, v42, vcc_lo
	v_add3_u32 v29, v2, v29, v43
	v_dual_mov_b32 v43, 0 :: v_dual_mov_b32 v46, 0
	s_delay_alu instid0(VALU_DEP_3)
	v_cmp_lt_i64_e32 vcc_lo, 0, v[0:1]
	v_cmp_lt_i64_e64 s4, 16, v[0:1]
	v_add3_u32 v31, v45, v31, v44
	v_dual_mov_b32 v45, 0 :: v_dual_mov_b32 v48, 0
	v_dual_mov_b32 v44, 0 :: v_dual_mov_b32 v47, 0
	v_mov_b32_e32 v49, 0
	s_mov_b64 s[16:17], 0
	s_branch .LBB75_7
.LBB75_6:                               ;   in Loop: Header=BB75_7 Depth=2
	s_or_b32 exec_lo, exec_lo, s6
	s_waitcnt lgkmcnt(0)
	s_waitcnt_vscnt null, 0x0
	s_barrier
	buffer_gl0_inv
	ds_load_2addr_b64 v[50:53], v37 offset1:16
	ds_load_b128 v[54:57], v38
	ds_load_b128 v[58:61], v38 offset:4096
	ds_load_b128 v[62:65], v38 offset:16
	;; [unrolled: 1-line block ×4, first 2 shown]
	ds_load_2addr_b64 v[70:73], v37 offset0:32 offset1:48
	ds_load_b128 v[74:77], v38 offset:4112
	v_add_co_u32 v28, s5, 0x100, v28
	s_delay_alu instid0(VALU_DEP_1) | instskip(SKIP_1) | instid1(VALU_DEP_1)
	v_add_co_ci_u32_e64 v29, s5, 0, v29, s5
	v_add_co_u32 v34, s5, v34, s18
	v_add_co_ci_u32_e64 v35, s5, s19, v35, s5
	v_add_co_u32 v32, s5, v32, s18
	s_delay_alu instid0(VALU_DEP_1)
	v_add_co_ci_u32_e64 v33, s5, s19, v33, s5
	v_add_co_u32 v30, s5, 0x100, v30
	s_waitcnt lgkmcnt(6)
	v_dual_mul_f32 v78, v55, v51 :: v_dual_mul_f32 v81, v54, v53
	v_dual_mul_f32 v79, v54, v51 :: v_dual_mul_f32 v80, v55, v53
	s_waitcnt lgkmcnt(5)
	v_mul_f32_e32 v82, v59, v51
	s_delay_alu instid0(VALU_DEP_3)
	v_fma_f32 v78, v54, v50, -v78
	v_mul_f32_e32 v51, v58, v51
	v_fmac_f32_e32 v79, v55, v50
	v_fma_f32 v54, v54, v52, -v80
	v_mul_f32_e32 v83, v59, v53
	v_mul_f32_e32 v53, v58, v53
	v_fmac_f32_e32 v81, v55, v52
	v_fma_f32 v55, v58, v50, -v82
	v_add_f32_e32 v48, v48, v78
	v_fmac_f32_e32 v51, v59, v50
	v_add_f32_e32 v54, v46, v54
	v_fma_f32 v50, v58, v52, -v83
	s_waitcnt lgkmcnt(1)
	v_mul_f32_e32 v58, v57, v71
	v_add_f32_e32 v49, v49, v79
	v_add_co_ci_u32_e64 v31, s5, 0, v31, s5
	v_add_f32_e32 v50, v43, v50
	s_delay_alu instid0(VALU_DEP_4) | instskip(SKIP_2) | instid1(VALU_DEP_3)
	v_fma_f32 v58, v56, v70, -v58
	v_dual_fmac_f32 v53, v59, v52 :: v_dual_mul_f32 v52, v56, v71
	v_mul_f32_e32 v59, v57, v73
	v_dual_add_f32 v47, v47, v81 :: v_dual_add_f32 v58, v48, v58
	s_delay_alu instid0(VALU_DEP_3) | instskip(NEXT) | instid1(VALU_DEP_4)
	v_add_f32_e32 v25, v25, v53
	v_dual_fmac_f32 v52, v57, v70 :: v_dual_add_f32 v55, v44, v55
	v_mul_f32_e32 v53, v56, v73
	v_fma_f32 v48, v56, v72, -v59
	v_mul_f32_e32 v56, v61, v71
	v_add_f32_e32 v51, v45, v51
	ds_load_2addr_b64 v[43:46], v37 offset0:64 offset1:80
	v_add_f32_e32 v52, v49, v52
	v_add_f32_e32 v54, v54, v48
	v_fmac_f32_e32 v53, v57, v72
	v_mul_f32_e32 v49, v60, v71
	v_fma_f32 v48, v60, v70, -v56
	v_mul_f32_e32 v56, v61, v73
	v_mul_f32_e32 v57, v60, v73
	v_add_f32_e32 v53, v47, v53
	v_fmac_f32_e32 v49, v61, v70
	s_add_u32 s16, s16, 32
	v_fma_f32 v47, v60, v72, -v56
	s_addc_u32 s17, s17, 0
	s_cmp_ge_i32 s16, s37
	s_delay_alu instid0(VALU_DEP_1) | instskip(SKIP_2) | instid1(VALU_DEP_1)
	v_add_f32_e32 v59, v50, v47
	s_waitcnt lgkmcnt(0)
	v_mul_f32_e32 v56, v62, v44
	v_fmac_f32_e32 v56, v63, v43
	s_delay_alu instid0(VALU_DEP_1)
	v_add_f32_e32 v52, v52, v56
	v_add_f32_e32 v55, v55, v48
	v_mul_f32_e32 v48, v63, v44
	v_mul_f32_e32 v56, v75, v44
	;; [unrolled: 1-line block ×3, first 2 shown]
	v_fmac_f32_e32 v57, v61, v72
	v_mul_f32_e32 v61, v63, v46
	v_fma_f32 v60, v62, v43, -v48
	v_fma_f32 v56, v74, v43, -v56
	s_delay_alu instid0(VALU_DEP_4) | instskip(NEXT) | instid1(VALU_DEP_3)
	v_dual_fmac_f32 v44, v75, v43 :: v_dual_add_f32 v25, v25, v57
	v_add_f32_e32 v57, v58, v60
	v_fma_f32 v60, v62, v45, -v61
	v_add_f32_e32 v51, v51, v49
	ds_load_2addr_b64 v[47:50], v37 offset0:96 offset1:112
	v_mul_f32_e32 v58, v62, v46
	v_add_f32_e32 v54, v54, v60
	v_mul_f32_e32 v60, v75, v46
	s_delay_alu instid0(VALU_DEP_3) | instskip(NEXT) | instid1(VALU_DEP_2)
	v_dual_mul_f32 v61, v74, v46 :: v_dual_fmac_f32 v58, v63, v45
	v_fma_f32 v43, v74, v45, -v60
	s_delay_alu instid0(VALU_DEP_2) | instskip(SKIP_2) | instid1(VALU_DEP_3)
	v_dual_add_f32 v58, v53, v58 :: v_dual_add_f32 v55, v55, v56
	v_add_f32_e32 v56, v51, v44
	s_waitcnt lgkmcnt(0)
	v_dual_add_f32 v59, v59, v43 :: v_dual_mul_f32 v60, v65, v50
	v_mul_f32_e32 v51, v65, v48
	v_mul_f32_e32 v53, v64, v48
	s_delay_alu instid0(VALU_DEP_3) | instskip(SKIP_4) | instid1(VALU_DEP_1)
	v_fma_f32 v60, v64, v49, -v60
	v_fmac_f32_e32 v61, v75, v45
	ds_load_2addr_b64 v[43:46], v37 offset0:128 offset1:144
	v_dual_add_f32 v60, v54, v60 :: v_dual_add_f32 v25, v25, v61
	v_mul_f32_e32 v61, v64, v50
	v_fmac_f32_e32 v61, v65, v49
	s_delay_alu instid0(VALU_DEP_1)
	v_dual_add_f32 v61, v58, v61 :: v_dual_mul_f32 v58, v76, v50
	v_fma_f32 v51, v64, v47, -v51
	v_mul_f32_e32 v64, v77, v50
	s_waitcnt lgkmcnt(0)
	v_mul_f32_e32 v50, v67, v44
	v_fmac_f32_e32 v58, v77, v49
	v_add_f32_e32 v57, v57, v51
	v_mul_f32_e32 v51, v77, v48
	v_dual_mul_f32 v48, v76, v48 :: v_dual_mul_f32 v71, v66, v46
	s_delay_alu instid0(VALU_DEP_2) | instskip(NEXT) | instid1(VALU_DEP_2)
	v_fma_f32 v63, v76, v47, -v51
	v_fmac_f32_e32 v48, v77, v47
	v_fmac_f32_e32 v53, v65, v47
	v_fma_f32 v47, v76, v49, -v64
	s_delay_alu instid0(VALU_DEP_3) | instskip(NEXT) | instid1(VALU_DEP_3)
	v_dual_add_f32 v63, v55, v63 :: v_dual_add_f32 v64, v56, v48
	v_add_f32_e32 v62, v52, v53
	ds_load_b128 v[51:54], v38 offset:4128
	v_fma_f32 v55, v66, v43, -v50
	v_dual_mul_f32 v56, v67, v46 :: v_dual_mul_f32 v65, v66, v44
	v_add_f32_e32 v25, v25, v58
	s_delay_alu instid0(VALU_DEP_3) | instskip(NEXT) | instid1(VALU_DEP_3)
	v_add_f32_e32 v70, v57, v55
	v_fma_f32 v66, v66, v45, -v56
	ds_load_b128 v[55:58], v38 offset:4144
	v_add_f32_e32 v59, v59, v47
	ds_load_2addr_b64 v[47:50], v37 offset0:160 offset1:176
	v_dual_fmac_f32 v71, v67, v45 :: v_dual_add_f32 v60, v60, v66
	s_waitcnt lgkmcnt(2)
	v_mul_f32_e32 v72, v52, v44
	v_mul_f32_e32 v44, v51, v44
	v_mul_f32_e32 v66, v52, v46
	s_delay_alu instid0(VALU_DEP_2) | instskip(SKIP_3) | instid1(VALU_DEP_2)
	v_fmac_f32_e32 v44, v52, v43
	v_fmac_f32_e32 v65, v67, v43
	s_waitcnt lgkmcnt(0)
	v_dual_mul_f32 v67, v51, v46 :: v_dual_mul_f32 v46, v69, v48
	v_add_f32_e32 v62, v62, v65
	s_delay_alu instid0(VALU_DEP_2) | instskip(SKIP_4) | instid1(VALU_DEP_4)
	v_fmac_f32_e32 v67, v52, v45
	v_mul_f32_e32 v52, v68, v48
	v_fma_f32 v65, v51, v43, -v72
	v_fma_f32 v43, v51, v45, -v66
	v_mul_f32_e32 v66, v68, v50
	v_dual_add_f32 v51, v64, v44 :: v_dual_fmac_f32 v52, v69, v47
	s_delay_alu instid0(VALU_DEP_4) | instskip(NEXT) | instid1(VALU_DEP_4)
	v_add_f32_e32 v63, v63, v65
	v_add_f32_e32 v59, v59, v43
	v_fma_f32 v64, v68, v47, -v46
	s_delay_alu instid0(VALU_DEP_4) | instskip(SKIP_2) | instid1(VALU_DEP_4)
	v_dual_add_f32 v61, v61, v71 :: v_dual_add_f32 v52, v62, v52
	v_mul_f32_e32 v62, v54, v48
	v_mul_f32_e32 v48, v53, v48
	v_dual_add_f32 v64, v70, v64 :: v_dual_mul_f32 v65, v69, v50
	ds_load_2addr_b64 v[43:46], v37 offset0:192 offset1:208
	v_fmac_f32_e32 v66, v69, v49
	v_fmac_f32_e32 v48, v54, v47
	v_fma_f32 v62, v53, v47, -v62
	v_fma_f32 v65, v68, v49, -v65
	v_add_f32_e32 v25, v25, v67
	v_add_f32_e32 v61, v61, v66
	v_dual_mul_f32 v66, v53, v50 :: v_dual_add_f32 v51, v51, v48
	s_delay_alu instid0(VALU_DEP_4) | instskip(NEXT) | instid1(VALU_DEP_2)
	v_dual_add_f32 v60, v60, v65 :: v_dual_mul_f32 v65, v54, v50
	v_fmac_f32_e32 v66, v54, v49
	s_delay_alu instid0(VALU_DEP_2) | instskip(SKIP_1) | instid1(VALU_DEP_2)
	v_fma_f32 v47, v53, v49, -v65
	v_add_f32_e32 v53, v63, v62
	v_dual_add_f32 v25, v25, v66 :: v_dual_add_f32 v54, v59, v47
	s_waitcnt lgkmcnt(0)
	v_mul_f32_e32 v59, v0, v44
	ds_load_2addr_b64 v[47:50], v37 offset0:224 offset1:240
	v_mul_f32_e32 v62, v1, v44
	v_mul_f32_e32 v63, v1, v46
	;; [unrolled: 1-line block ×3, first 2 shown]
	s_delay_alu instid0(VALU_DEP_3) | instskip(NEXT) | instid1(VALU_DEP_3)
	v_fma_f32 v62, v0, v43, -v62
	v_fma_f32 v0, v0, v45, -v63
	v_mul_f32_e32 v63, v56, v44
	s_delay_alu instid0(VALU_DEP_3) | instskip(NEXT) | instid1(VALU_DEP_3)
	v_dual_fmac_f32 v59, v1, v43 :: v_dual_add_f32 v62, v64, v62
	v_add_f32_e32 v60, v60, v0
	s_waitcnt lgkmcnt(0)
	v_mul_f32_e32 v66, v3, v50
	v_fma_f32 v0, v55, v43, -v63
	s_delay_alu instid0(VALU_DEP_1) | instskip(SKIP_3) | instid1(VALU_DEP_3)
	v_dual_mul_f32 v63, v55, v46 :: v_dual_add_f32 v64, v53, v0
	v_fmac_f32_e32 v65, v1, v45
	v_dual_mul_f32 v1, v55, v44 :: v_dual_mul_f32 v44, v56, v46
	v_add_nc_u32_e32 v0, 0x800, v37
	v_add_f32_e32 v61, v61, v65
	s_delay_alu instid0(VALU_DEP_3) | instskip(NEXT) | instid1(VALU_DEP_4)
	v_fmac_f32_e32 v1, v56, v43
	v_fma_f32 v43, v55, v45, -v44
	s_delay_alu instid0(VALU_DEP_1) | instskip(SKIP_1) | instid1(VALU_DEP_2)
	v_dual_mul_f32 v44, v3, v48 :: v_dual_add_f32 v55, v54, v43
	v_fmac_f32_e32 v63, v56, v45
	v_fma_f32 v56, v2, v47, -v44
	v_add_f32_e32 v59, v52, v59
	s_delay_alu instid0(VALU_DEP_3) | instskip(SKIP_1) | instid1(VALU_DEP_4)
	v_add_f32_e32 v25, v25, v63
	v_mul_f32_e32 v63, v2, v50
	v_add_f32_e32 v56, v62, v56
	s_delay_alu instid0(VALU_DEP_2)
	v_dual_mul_f32 v62, v58, v48 :: v_dual_fmac_f32 v63, v3, v49
	v_add_f32_e32 v1, v51, v1
	ds_load_2addr_b64 v[43:46], v0 offset1:16
	ds_load_b128 v[51:54], v38 offset:64
	v_add_f32_e32 v68, v61, v63
	s_waitcnt lgkmcnt(0)
	v_dual_mul_f32 v72, v51, v46 :: v_dual_mul_f32 v65, v2, v48
	v_fma_f32 v2, v2, v49, -v66
	s_delay_alu instid0(VALU_DEP_2) | instskip(NEXT) | instid1(VALU_DEP_2)
	v_dual_fmac_f32 v72, v52, v45 :: v_dual_fmac_f32 v65, v3, v47
	v_dual_mul_f32 v3, v57, v48 :: v_dual_add_f32 v2, v60, v2
	v_fma_f32 v48, v57, v47, -v62
	s_delay_alu instid0(VALU_DEP_3)
	v_add_f32_e32 v67, v59, v65
	ds_load_b128 v[59:62], v38 offset:4160
	v_mul_f32_e32 v65, v58, v50
	v_fmac_f32_e32 v3, v58, v47
	v_add_f32_e32 v69, v64, v48
	v_mul_f32_e32 v48, v52, v44
	s_delay_alu instid0(VALU_DEP_4)
	v_fma_f32 v47, v57, v49, -v65
	v_mul_f32_e32 v57, v57, v50
	ds_load_b128 v[63:66], v38 offset:80
	v_add_f32_e32 v1, v1, v3
	v_dual_fmac_f32 v57, v58, v49 :: v_dual_mul_f32 v58, v52, v46
	v_add_f32_e32 v70, v55, v47
	v_fma_f32 v55, v51, v43, -v48
	ds_load_2addr_b64 v[47:50], v0 offset0:32 offset1:48
	v_mul_f32_e32 v3, v51, v44
	v_fma_f32 v51, v51, v45, -v58
	s_delay_alu instid0(VALU_DEP_2) | instskip(SKIP_1) | instid1(VALU_DEP_2)
	v_fmac_f32_e32 v3, v52, v43
	s_waitcnt lgkmcnt(2)
	v_dual_add_f32 v2, v2, v51 :: v_dual_mul_f32 v51, v60, v46
	s_delay_alu instid0(VALU_DEP_2) | instskip(SKIP_2) | instid1(VALU_DEP_2)
	v_add_f32_e32 v3, v67, v3
	v_mul_f32_e32 v67, v60, v44
	v_dual_mul_f32 v44, v59, v44 :: v_dual_add_f32 v25, v25, v57
	v_fma_f32 v52, v59, v43, -v67
	v_dual_add_f32 v67, v68, v72 :: v_dual_mul_f32 v68, v59, v46
	s_delay_alu instid0(VALU_DEP_3) | instskip(SKIP_4) | instid1(VALU_DEP_2)
	v_fmac_f32_e32 v44, v60, v43
	v_fma_f32 v43, v59, v45, -v51
	s_waitcnt lgkmcnt(0)
	v_mul_f32_e32 v46, v54, v48
	v_dual_mul_f32 v59, v53, v48 :: v_dual_fmac_f32 v68, v60, v45
	v_fma_f32 v60, v53, v47, -v46
	s_delay_alu instid0(VALU_DEP_2) | instskip(NEXT) | instid1(VALU_DEP_3)
	v_fmac_f32_e32 v59, v54, v47
	v_add_f32_e32 v25, v25, v68
	v_mul_f32_e32 v68, v53, v50
	v_add_f32_e32 v51, v69, v52
	v_mul_f32_e32 v69, v54, v50
	v_add_f32_e32 v52, v70, v43
	s_delay_alu instid0(VALU_DEP_4) | instskip(NEXT) | instid1(VALU_DEP_3)
	v_fmac_f32_e32 v68, v54, v49
	v_fma_f32 v53, v53, v49, -v69
	v_mul_f32_e32 v69, v62, v48
	v_mul_f32_e32 v48, v61, v48
	s_delay_alu instid0(VALU_DEP_4) | instskip(NEXT) | instid1(VALU_DEP_4)
	v_add_f32_e32 v54, v67, v68
	v_dual_add_f32 v2, v2, v53 :: v_dual_add_f32 v1, v1, v44
	ds_load_2addr_b64 v[43:46], v0 offset0:64 offset1:80
	v_add_f32_e32 v71, v56, v55
	ds_load_b128 v[55:58], v38 offset:4176
	v_fma_f32 v53, v61, v47, -v69
	v_fmac_f32_e32 v48, v62, v47
	v_dual_mul_f32 v47, v62, v50 :: v_dual_add_f32 v60, v71, v60
	s_delay_alu instid0(VALU_DEP_3) | instskip(NEXT) | instid1(VALU_DEP_2)
	v_add_f32_e32 v51, v51, v53
	v_fma_f32 v53, v61, v49, -v47
	s_delay_alu instid0(VALU_DEP_1) | instskip(SKIP_4) | instid1(VALU_DEP_3)
	v_dual_add_f32 v52, v52, v53 :: v_dual_add_f32 v3, v3, v59
	v_mul_f32_e32 v59, v61, v50
	s_waitcnt lgkmcnt(1)
	v_mul_f32_e32 v61, v64, v44
	v_mul_f32_e32 v67, v63, v46
	v_dual_fmac_f32 v59, v62, v49 :: v_dual_mul_f32 v62, v63, v44
	s_delay_alu instid0(VALU_DEP_3) | instskip(SKIP_1) | instid1(VALU_DEP_3)
	v_fma_f32 v53, v63, v43, -v61
	v_mul_f32_e32 v61, v64, v46
	v_add_f32_e32 v25, v25, v59
	s_delay_alu instid0(VALU_DEP_4)
	v_fmac_f32_e32 v62, v64, v43
	v_fmac_f32_e32 v67, v64, v45
	v_add_f32_e32 v59, v60, v53
	s_waitcnt lgkmcnt(0)
	v_mul_f32_e32 v60, v56, v44
	v_mul_f32_e32 v44, v55, v44
	v_fma_f32 v53, v63, v45, -v61
	v_add_f32_e32 v61, v54, v67
	s_delay_alu instid0(VALU_DEP_4) | instskip(NEXT) | instid1(VALU_DEP_4)
	v_fma_f32 v54, v55, v43, -v60
	v_dual_fmac_f32 v44, v56, v43 :: v_dual_add_f32 v1, v1, v48
	ds_load_2addr_b64 v[47:50], v0 offset0:96 offset1:112
	v_dual_add_f32 v2, v2, v53 :: v_dual_mul_f32 v53, v56, v46
	v_mul_f32_e32 v60, v55, v46
	s_delay_alu instid0(VALU_DEP_2) | instskip(NEXT) | instid1(VALU_DEP_2)
	v_fma_f32 v43, v55, v45, -v53
	v_fmac_f32_e32 v60, v56, v45
	s_delay_alu instid0(VALU_DEP_2) | instskip(SKIP_4) | instid1(VALU_DEP_3)
	v_add_f32_e32 v56, v52, v43
	s_waitcnt lgkmcnt(0)
	v_mul_f32_e32 v64, v66, v50
	v_dual_mul_f32 v46, v66, v48 :: v_dual_add_f32 v3, v3, v62
	v_mul_f32_e32 v63, v65, v48
	v_fma_f32 v64, v65, v49, -v64
	s_delay_alu instid0(VALU_DEP_3) | instskip(NEXT) | instid1(VALU_DEP_2)
	v_fma_f32 v62, v65, v47, -v46
	v_dual_add_f32 v2, v2, v64 :: v_dual_add_f32 v55, v51, v54
	v_dual_mul_f32 v64, v58, v50 :: v_dual_add_f32 v1, v1, v44
	ds_load_2addr_b64 v[43:46], v0 offset0:128 offset1:144
	ds_load_b128 v[51:54], v38 offset:96
	v_fmac_f32_e32 v63, v66, v47
	v_add_f32_e32 v67, v59, v62
	s_waitcnt lgkmcnt(0)
	v_dual_mul_f32 v72, v51, v46 :: v_dual_add_f32 v25, v25, v60
	v_dual_mul_f32 v60, v65, v50 :: v_dual_mul_f32 v71, v51, v44
	s_delay_alu instid0(VALU_DEP_2) | instskip(NEXT) | instid1(VALU_DEP_2)
	v_dual_fmac_f32 v72, v52, v45 :: v_dual_add_f32 v3, v3, v63
	v_dual_fmac_f32 v60, v66, v49 :: v_dual_fmac_f32 v71, v52, v43
	s_delay_alu instid0(VALU_DEP_1) | instskip(NEXT) | instid1(VALU_DEP_1)
	v_add_f32_e32 v68, v61, v60
	v_add_f32_e32 v68, v68, v72
	v_mul_f32_e32 v59, v58, v48
	v_mul_f32_e32 v48, v57, v48
	s_delay_alu instid0(VALU_DEP_2)
	v_fma_f32 v63, v57, v47, -v59
	ds_load_b128 v[59:62], v38 offset:4192
	v_fmac_f32_e32 v48, v58, v47
	v_fma_f32 v47, v57, v49, -v64
	v_add_f32_e32 v69, v55, v63
	v_mul_f32_e32 v55, v57, v50
	ds_load_b128 v[63:66], v38 offset:112
	v_mul_f32_e32 v50, v52, v44
	v_add_f32_e32 v70, v56, v47
	v_mul_f32_e32 v57, v52, v46
	v_fmac_f32_e32 v55, v58, v49
	v_add_f32_e32 v3, v3, v71
	v_fma_f32 v56, v51, v43, -v50
	s_delay_alu instid0(VALU_DEP_4) | instskip(SKIP_1) | instid1(VALU_DEP_1)
	v_fma_f32 v51, v51, v45, -v57
	s_waitcnt lgkmcnt(1)
	v_dual_add_f32 v2, v2, v51 :: v_dual_mul_f32 v73, v60, v44
	v_mul_f32_e32 v44, v59, v44
	v_mul_f32_e32 v52, v60, v46
	;; [unrolled: 1-line block ×3, first 2 shown]
	s_delay_alu instid0(VALU_DEP_4) | instskip(NEXT) | instid1(VALU_DEP_4)
	v_fma_f32 v51, v59, v43, -v73
	v_dual_fmac_f32 v44, v60, v43 :: v_dual_add_f32 v1, v1, v48
	ds_load_2addr_b64 v[47:50], v0 offset0:160 offset1:176
	v_fma_f32 v43, v59, v45, -v52
	v_fmac_f32_e32 v71, v60, v45
	v_add_f32_e32 v51, v69, v51
	v_add_f32_e32 v1, v1, v44
	s_delay_alu instid0(VALU_DEP_4) | instskip(SKIP_3) | instid1(VALU_DEP_2)
	v_add_f32_e32 v59, v70, v43
	s_waitcnt lgkmcnt(0)
	v_mul_f32_e32 v46, v54, v48
	v_dual_mul_f32 v52, v53, v48 :: v_dual_mul_f32 v69, v54, v50
	v_fma_f32 v60, v53, v47, -v46
	ds_load_2addr_b64 v[43:46], v0 offset0:192 offset1:208
	v_fmac_f32_e32 v52, v54, v47
	s_delay_alu instid0(VALU_DEP_1) | instskip(SKIP_3) | instid1(VALU_DEP_3)
	v_add_f32_e32 v3, v3, v52
	v_mul_f32_e32 v52, v62, v48
	v_add_f32_e32 v67, v67, v56
	v_mul_f32_e32 v48, v61, v48
	v_fma_f32 v52, v61, v47, -v52
	s_delay_alu instid0(VALU_DEP_3) | instskip(SKIP_1) | instid1(VALU_DEP_3)
	v_dual_add_f32 v60, v67, v60 :: v_dual_mul_f32 v67, v53, v50
	v_fma_f32 v53, v53, v49, -v69
	v_dual_fmac_f32 v48, v62, v47 :: v_dual_add_f32 v51, v51, v52
	s_delay_alu instid0(VALU_DEP_3) | instskip(NEXT) | instid1(VALU_DEP_3)
	v_fmac_f32_e32 v67, v54, v49
	v_add_f32_e32 v2, v2, v53
	s_waitcnt lgkmcnt(0)
	v_dual_mul_f32 v53, v62, v50 :: v_dual_mul_f32 v52, v64, v44
	s_delay_alu instid0(VALU_DEP_3) | instskip(SKIP_1) | instid1(VALU_DEP_3)
	v_dual_add_f32 v1, v1, v48 :: v_dual_add_f32 v54, v68, v67
	v_mul_f32_e32 v67, v61, v50
	v_fma_f32 v47, v61, v49, -v53
	v_mul_f32_e32 v61, v63, v46
	s_delay_alu instid0(VALU_DEP_3) | instskip(NEXT) | instid1(VALU_DEP_3)
	v_fmac_f32_e32 v67, v62, v49
	v_add_f32_e32 v53, v59, v47
	ds_load_2addr_b64 v[47:50], v0 offset0:224 offset1:240
	v_fma_f32 v0, v63, v43, -v52
	v_dual_mul_f32 v52, v64, v46 :: v_dual_mul_f32 v59, v63, v44
	v_fmac_f32_e32 v61, v64, v45
	s_delay_alu instid0(VALU_DEP_3) | instskip(SKIP_2) | instid1(VALU_DEP_1)
	v_dual_add_f32 v60, v60, v0 :: v_dual_add_f32 v25, v25, v55
	ds_load_b128 v[55:58], v38 offset:4208
	v_fma_f32 v0, v63, v45, -v52
	v_dual_fmac_f32 v59, v64, v43 :: v_dual_add_f32 v2, v2, v0
	s_delay_alu instid0(VALU_DEP_1) | instskip(SKIP_4) | instid1(VALU_DEP_1)
	v_add_f32_e32 v3, v3, v59
	v_add_f32_e32 v59, v54, v61
	s_waitcnt lgkmcnt(1)
	v_mul_f32_e32 v64, v66, v50
	v_mul_f32_e32 v62, v65, v48
	v_fmac_f32_e32 v62, v66, v47
	s_waitcnt lgkmcnt(0)
	v_mul_f32_e32 v52, v56, v44
	v_mul_f32_e32 v44, v55, v44
	;; [unrolled: 1-line block ×3, first 2 shown]
	v_add_f32_e32 v3, v3, v62
	s_delay_alu instid0(VALU_DEP_4) | instskip(SKIP_3) | instid1(VALU_DEP_4)
	v_fma_f32 v0, v55, v43, -v52
	v_mul_f32_e32 v52, v56, v46
	v_fmac_f32_e32 v44, v56, v43
	v_dual_mul_f32 v46, v66, v48 :: v_dual_fmac_f32 v61, v56, v45
	v_add_f32_e32 v63, v51, v0
	s_delay_alu instid0(VALU_DEP_4) | instskip(NEXT) | instid1(VALU_DEP_4)
	v_fma_f32 v43, v55, v45, -v52
	v_dual_add_f32 v1, v1, v44 :: v_dual_add_nc_u32 v0, 0x1000, v37
	s_delay_alu instid0(VALU_DEP_4) | instskip(NEXT) | instid1(VALU_DEP_3)
	v_fma_f32 v56, v65, v47, -v46
	v_add_f32_e32 v55, v53, v43
	ds_load_2addr_b64 v[43:46], v0 offset1:16
	ds_load_b128 v[51:54], v38 offset:128
	v_add_f32_e32 v56, v60, v56
	v_fma_f32 v60, v65, v49, -v64
	v_dual_mul_f32 v64, v58, v48 :: v_dual_add_f32 v25, v25, v71
	v_mul_f32_e32 v48, v57, v48
	s_delay_alu instid0(VALU_DEP_3) | instskip(NEXT) | instid1(VALU_DEP_3)
	v_add_f32_e32 v2, v2, v60
	v_fma_f32 v64, v57, v47, -v64
	s_delay_alu instid0(VALU_DEP_4) | instskip(NEXT) | instid1(VALU_DEP_4)
	v_add_f32_e32 v25, v25, v67
	v_fmac_f32_e32 v48, v58, v47
	s_delay_alu instid0(VALU_DEP_2)
	v_dual_add_f32 v68, v63, v64 :: v_dual_add_f32 v25, v25, v61
	v_mul_f32_e32 v61, v65, v50
	v_mul_f32_e32 v65, v58, v50
	s_waitcnt lgkmcnt(0)
	v_mul_f32_e32 v69, v51, v44
	v_mul_f32_e32 v72, v51, v46
	s_delay_alu instid0(VALU_DEP_3) | instskip(SKIP_1) | instid1(VALU_DEP_3)
	v_fma_f32 v47, v57, v49, -v65
	v_dual_mul_f32 v57, v57, v50 :: v_dual_mul_f32 v50, v52, v44
	v_fmac_f32_e32 v72, v52, v45
	s_delay_alu instid0(VALU_DEP_2) | instskip(NEXT) | instid1(VALU_DEP_3)
	v_dual_add_f32 v70, v55, v47 :: v_dual_fmac_f32 v57, v58, v49
	v_fma_f32 v55, v51, v43, -v50
	s_delay_alu instid0(VALU_DEP_2) | instskip(NEXT) | instid1(VALU_DEP_2)
	v_dual_mul_f32 v58, v52, v46 :: v_dual_add_f32 v25, v25, v57
	v_add_f32_e32 v71, v56, v55
	s_delay_alu instid0(VALU_DEP_2)
	v_fma_f32 v51, v51, v45, -v58
	ds_load_b128 v[55:58], v38 offset:4240
	v_fmac_f32_e32 v61, v66, v49
	v_add_f32_e32 v1, v1, v48
	ds_load_2addr_b64 v[47:50], v0 offset0:32 offset1:48
	ds_load_b128 v[63:66], v38 offset:144
	v_fmac_f32_e32 v69, v52, v43
	v_add_f32_e32 v67, v59, v61
	ds_load_b128 v[59:62], v38 offset:4224
	v_dual_add_f32 v2, v2, v51 :: v_dual_add_f32 v3, v3, v69
	s_waitcnt lgkmcnt(0)
	v_mul_f32_e32 v69, v60, v44
	v_dual_mul_f32 v44, v59, v44 :: v_dual_mul_f32 v51, v60, v46
	s_delay_alu instid0(VALU_DEP_2) | instskip(NEXT) | instid1(VALU_DEP_2)
	v_fma_f32 v52, v59, v43, -v69
	v_dual_fmac_f32 v44, v60, v43 :: v_dual_mul_f32 v69, v59, v46
	s_delay_alu instid0(VALU_DEP_3) | instskip(SKIP_1) | instid1(VALU_DEP_4)
	v_fma_f32 v43, v59, v45, -v51
	v_mul_f32_e32 v46, v54, v48
	v_add_f32_e32 v51, v68, v52
	s_delay_alu instid0(VALU_DEP_4) | instskip(NEXT) | instid1(VALU_DEP_4)
	v_add_f32_e32 v1, v1, v44
	v_dual_fmac_f32 v69, v60, v45 :: v_dual_add_f32 v52, v70, v43
	s_delay_alu instid0(VALU_DEP_4) | instskip(SKIP_4) | instid1(VALU_DEP_3)
	v_fma_f32 v60, v53, v47, -v46
	ds_load_2addr_b64 v[43:46], v0 offset0:64 offset1:80
	v_dual_mul_f32 v59, v53, v48 :: v_dual_mul_f32 v68, v54, v50
	v_add_f32_e32 v25, v25, v69
	v_dual_mul_f32 v69, v53, v50 :: v_dual_add_f32 v60, v71, v60
	v_fmac_f32_e32 v59, v54, v47
	s_delay_alu instid0(VALU_DEP_4) | instskip(SKIP_1) | instid1(VALU_DEP_4)
	v_fma_f32 v53, v53, v49, -v68
	v_mul_f32_e32 v68, v62, v48
	v_dual_mul_f32 v48, v61, v48 :: v_dual_fmac_f32 v69, v54, v49
	s_delay_alu instid0(VALU_DEP_3) | instskip(NEXT) | instid1(VALU_DEP_3)
	v_dual_add_f32 v3, v3, v59 :: v_dual_add_f32 v2, v2, v53
	v_fma_f32 v53, v61, v47, -v68
	s_delay_alu instid0(VALU_DEP_3) | instskip(SKIP_2) | instid1(VALU_DEP_4)
	v_fmac_f32_e32 v48, v62, v47
	v_mul_f32_e32 v47, v62, v50
	v_mul_f32_e32 v59, v61, v50
	v_add_f32_e32 v51, v51, v53
	s_delay_alu instid0(VALU_DEP_4) | instskip(NEXT) | instid1(VALU_DEP_4)
	v_add_f32_e32 v1, v1, v48
	v_fma_f32 v53, v61, v49, -v47
	s_waitcnt lgkmcnt(0)
	v_mul_f32_e32 v61, v64, v44
	v_fmac_f32_e32 v59, v62, v49
	ds_load_2addr_b64 v[47:50], v0 offset0:96 offset1:112
	v_dual_add_f32 v67, v67, v72 :: v_dual_add_f32 v52, v52, v53
	v_fma_f32 v53, v63, v43, -v61
	v_mul_f32_e32 v61, v64, v46
	s_delay_alu instid0(VALU_DEP_3) | instskip(SKIP_1) | instid1(VALU_DEP_4)
	v_dual_add_f32 v25, v25, v59 :: v_dual_add_f32 v54, v67, v69
	v_mul_f32_e32 v67, v63, v46
	v_add_f32_e32 v59, v60, v53
	s_delay_alu instid0(VALU_DEP_4) | instskip(SKIP_3) | instid1(VALU_DEP_4)
	v_fma_f32 v53, v63, v45, -v61
	v_mul_f32_e32 v62, v63, v44
	v_mul_f32_e32 v60, v56, v44
	v_dual_fmac_f32 v67, v64, v45 :: v_dual_mul_f32 v44, v55, v44
	v_dual_add_f32 v2, v2, v53 :: v_dual_mul_f32 v53, v56, v46
	s_delay_alu instid0(VALU_DEP_4) | instskip(NEXT) | instid1(VALU_DEP_3)
	v_fmac_f32_e32 v62, v64, v43
	v_add_f32_e32 v61, v54, v67
	v_fma_f32 v54, v55, v43, -v60
	v_fmac_f32_e32 v44, v56, v43
	v_mul_f32_e32 v60, v55, v46
	v_fma_f32 v43, v55, v45, -v53
	s_waitcnt lgkmcnt(0)
	v_dual_mul_f32 v46, v66, v48 :: v_dual_add_f32 v3, v3, v62
	v_add_f32_e32 v55, v51, v54
	v_dual_add_f32 v1, v1, v44 :: v_dual_fmac_f32 v60, v56, v45
	v_add_f32_e32 v56, v52, v43
	s_delay_alu instid0(VALU_DEP_4)
	v_fma_f32 v62, v65, v47, -v46
	ds_load_2addr_b64 v[43:46], v0 offset0:128 offset1:144
	ds_load_b128 v[51:54], v38 offset:160
	v_dual_mul_f32 v63, v65, v48 :: v_dual_mul_f32 v64, v66, v50
	v_add_f32_e32 v25, v25, v60
	v_mul_f32_e32 v60, v65, v50
	v_add_f32_e32 v67, v59, v62
	s_delay_alu instid0(VALU_DEP_4) | instskip(SKIP_3) | instid1(VALU_DEP_4)
	v_fmac_f32_e32 v63, v66, v47
	v_fma_f32 v64, v65, v49, -v64
	v_mul_f32_e32 v59, v58, v48
	v_fmac_f32_e32 v60, v66, v49
	v_dual_mul_f32 v48, v57, v48 :: v_dual_add_f32 v3, v3, v63
	s_delay_alu instid0(VALU_DEP_4) | instskip(NEXT) | instid1(VALU_DEP_4)
	v_add_f32_e32 v2, v2, v64
	v_fma_f32 v63, v57, v47, -v59
	v_mul_f32_e32 v64, v58, v50
	v_add_f32_e32 v68, v61, v60
	ds_load_b128 v[59:62], v38 offset:4256
	v_fmac_f32_e32 v48, v58, v47
	v_add_f32_e32 v69, v55, v63
	v_fma_f32 v47, v57, v49, -v64
	ds_load_b128 v[63:66], v38 offset:176
	s_waitcnt lgkmcnt(2)
	v_dual_mul_f32 v55, v57, v50 :: v_dual_mul_f32 v50, v52, v44
	v_dual_add_f32 v1, v1, v48 :: v_dual_add_f32 v70, v56, v47
	v_mul_f32_e32 v71, v51, v44
	s_delay_alu instid0(VALU_DEP_3) | instskip(NEXT) | instid1(VALU_DEP_4)
	v_fmac_f32_e32 v55, v58, v49
	v_fma_f32 v56, v51, v43, -v50
	ds_load_2addr_b64 v[47:50], v0 offset0:160 offset1:176
	v_mul_f32_e32 v57, v52, v46
	v_dual_fmac_f32 v71, v52, v43 :: v_dual_mul_f32 v72, v51, v46
	v_add_f32_e32 v67, v67, v56
	s_delay_alu instid0(VALU_DEP_3) | instskip(NEXT) | instid1(VALU_DEP_3)
	v_fma_f32 v51, v51, v45, -v57
	v_add_f32_e32 v3, v3, v71
	s_waitcnt lgkmcnt(2)
	v_mul_f32_e32 v73, v60, v44
	v_fmac_f32_e32 v72, v52, v45
	v_mul_f32_e32 v44, v59, v44
	v_add_f32_e32 v2, v2, v51
	v_mul_f32_e32 v52, v60, v46
	v_fma_f32 v51, v59, v43, -v73
	s_delay_alu instid0(VALU_DEP_4) | instskip(SKIP_1) | instid1(VALU_DEP_4)
	v_dual_mul_f32 v71, v59, v46 :: v_dual_fmac_f32 v44, v60, v43
	v_add_f32_e32 v68, v68, v72
	v_fma_f32 v43, v59, v45, -v52
	s_delay_alu instid0(VALU_DEP_4)
	v_add_f32_e32 v51, v69, v51
	s_waitcnt lgkmcnt(0)
	v_dual_fmac_f32 v71, v60, v45 :: v_dual_mul_f32 v46, v54, v48
	v_dual_mul_f32 v52, v53, v48 :: v_dual_mul_f32 v69, v54, v50
	v_add_f32_e32 v1, v1, v44
	v_add_f32_e32 v59, v70, v43
	s_delay_alu instid0(VALU_DEP_4) | instskip(NEXT) | instid1(VALU_DEP_4)
	v_fma_f32 v60, v53, v47, -v46
	v_fmac_f32_e32 v52, v54, v47
	ds_load_2addr_b64 v[43:46], v0 offset0:192 offset1:208
	v_dual_add_f32 v60, v67, v60 :: v_dual_mul_f32 v67, v53, v50
	v_fma_f32 v53, v53, v49, -v69
	v_add_f32_e32 v3, v3, v52
	v_mul_f32_e32 v52, v62, v48
	s_delay_alu instid0(VALU_DEP_4) | instskip(NEXT) | instid1(VALU_DEP_4)
	v_dual_mul_f32 v48, v61, v48 :: v_dual_fmac_f32 v67, v54, v49
	v_add_f32_e32 v2, v2, v53
	v_mul_f32_e32 v53, v62, v50
	s_delay_alu instid0(VALU_DEP_4) | instskip(NEXT) | instid1(VALU_DEP_4)
	v_fma_f32 v52, v61, v47, -v52
	v_fmac_f32_e32 v48, v62, v47
	v_dual_add_f32 v54, v68, v67 :: v_dual_mul_f32 v67, v61, v50
	s_delay_alu instid0(VALU_DEP_4) | instskip(NEXT) | instid1(VALU_DEP_4)
	v_fma_f32 v47, v61, v49, -v53
	v_add_f32_e32 v51, v51, v52
	s_delay_alu instid0(VALU_DEP_4) | instskip(NEXT) | instid1(VALU_DEP_4)
	v_add_f32_e32 v1, v1, v48
	v_fmac_f32_e32 v67, v62, v49
	s_delay_alu instid0(VALU_DEP_4)
	v_add_f32_e32 v53, v59, v47
	ds_load_2addr_b64 v[47:50], v0 offset0:224 offset1:240
	s_waitcnt lgkmcnt(1)
	v_mul_f32_e32 v52, v64, v44
	v_mul_f32_e32 v59, v63, v44
	;; [unrolled: 1-line block ×3, first 2 shown]
	s_delay_alu instid0(VALU_DEP_3) | instskip(SKIP_1) | instid1(VALU_DEP_4)
	v_fma_f32 v0, v63, v43, -v52
	v_mul_f32_e32 v52, v64, v46
	v_fmac_f32_e32 v59, v64, v43
	s_delay_alu instid0(VALU_DEP_4) | instskip(NEXT) | instid1(VALU_DEP_4)
	v_fmac_f32_e32 v61, v64, v45
	v_add_f32_e32 v60, v60, v0
	s_delay_alu instid0(VALU_DEP_4) | instskip(NEXT) | instid1(VALU_DEP_4)
	v_fma_f32 v0, v63, v45, -v52
	v_add_f32_e32 v3, v3, v59
	s_delay_alu instid0(VALU_DEP_4) | instskip(NEXT) | instid1(VALU_DEP_3)
	v_add_f32_e32 v59, v54, v61
	v_add_f32_e32 v2, v2, v0
	s_waitcnt lgkmcnt(0)
	v_dual_mul_f32 v64, v66, v50 :: v_dual_add_f32 v25, v25, v55
	ds_load_b128 v[55:58], v38 offset:4272
	v_mul_f32_e32 v62, v65, v48
	s_delay_alu instid0(VALU_DEP_1) | instskip(SKIP_4) | instid1(VALU_DEP_3)
	v_fmac_f32_e32 v62, v66, v47
	s_waitcnt lgkmcnt(0)
	v_mul_f32_e32 v52, v56, v44
	v_mul_f32_e32 v44, v55, v44
	;; [unrolled: 1-line block ×3, first 2 shown]
	v_fma_f32 v0, v55, v43, -v52
	v_mul_f32_e32 v52, v56, v46
	v_mul_f32_e32 v46, v66, v48
	v_fmac_f32_e32 v44, v56, v43
	v_fmac_f32_e32 v61, v56, v45
	v_add_f32_e32 v63, v51, v0
	v_fma_f32 v43, v55, v45, -v52
	v_fma_f32 v56, v65, v47, -v46
	v_dual_add_f32 v1, v1, v44 :: v_dual_add_nc_u32 v0, 0x1800, v37
	s_delay_alu instid0(VALU_DEP_2)
	v_dual_add_f32 v55, v53, v43 :: v_dual_add_f32 v56, v60, v56
	v_fma_f32 v60, v65, v49, -v64
	v_mul_f32_e32 v64, v58, v48
	ds_load_2addr_b64 v[43:46], v0 offset1:16
	ds_load_b128 v[51:54], v38 offset:192
	v_mul_f32_e32 v48, v57, v48
	v_add_f32_e32 v2, v2, v60
	v_fma_f32 v64, v57, v47, -v64
	s_delay_alu instid0(VALU_DEP_3) | instskip(NEXT) | instid1(VALU_DEP_2)
	v_fmac_f32_e32 v48, v58, v47
	v_dual_add_f32 v68, v63, v64 :: v_dual_add_f32 v25, v25, v71
	s_delay_alu instid0(VALU_DEP_2) | instskip(NEXT) | instid1(VALU_DEP_2)
	v_add_f32_e32 v1, v1, v48
	v_add_f32_e32 v25, v25, v67
	s_delay_alu instid0(VALU_DEP_1) | instskip(SKIP_4) | instid1(VALU_DEP_3)
	v_add_f32_e32 v25, v25, v61
	v_mul_f32_e32 v61, v65, v50
	v_mul_f32_e32 v65, v58, v50
	s_waitcnt lgkmcnt(0)
	v_mul_f32_e32 v69, v51, v44
	v_dual_mul_f32 v72, v51, v46 :: v_dual_fmac_f32 v61, v66, v49
	s_delay_alu instid0(VALU_DEP_3) | instskip(SKIP_1) | instid1(VALU_DEP_4)
	v_fma_f32 v47, v57, v49, -v65
	v_dual_mul_f32 v57, v57, v50 :: v_dual_mul_f32 v50, v52, v44
	v_fmac_f32_e32 v69, v52, v43
	s_delay_alu instid0(VALU_DEP_4) | instskip(NEXT) | instid1(VALU_DEP_3)
	v_add_f32_e32 v67, v59, v61
	v_dual_add_f32 v70, v55, v47 :: v_dual_fmac_f32 v57, v58, v49
	s_delay_alu instid0(VALU_DEP_4)
	v_fma_f32 v55, v51, v43, -v50
	v_mul_f32_e32 v58, v52, v46
	ds_load_2addr_b64 v[47:50], v0 offset0:32 offset1:48
	ds_load_b128 v[63:66], v38 offset:208
	v_add_f32_e32 v25, v25, v57
	v_add_f32_e32 v71, v56, v55
	v_fma_f32 v51, v51, v45, -v58
	ds_load_b128 v[55:58], v38 offset:4304
	v_add_f32_e32 v3, v3, v62
	ds_load_b128 v[59:62], v38 offset:4288
	v_fmac_f32_e32 v72, v52, v45
	v_dual_add_f32 v2, v2, v51 :: v_dual_add_f32 v3, v3, v69
	s_delay_alu instid0(VALU_DEP_2) | instskip(SKIP_3) | instid1(VALU_DEP_2)
	v_add_f32_e32 v67, v67, v72
	s_waitcnt lgkmcnt(0)
	v_mul_f32_e32 v69, v60, v44
	v_dual_mul_f32 v44, v59, v44 :: v_dual_mul_f32 v51, v60, v46
	v_fma_f32 v52, v59, v43, -v69
	s_delay_alu instid0(VALU_DEP_2) | instskip(NEXT) | instid1(VALU_DEP_3)
	v_dual_fmac_f32 v44, v60, v43 :: v_dual_mul_f32 v69, v59, v46
	v_fma_f32 v43, v59, v45, -v51
	v_mul_f32_e32 v46, v54, v48
	s_delay_alu instid0(VALU_DEP_4) | instskip(NEXT) | instid1(VALU_DEP_4)
	v_add_f32_e32 v51, v68, v52
	v_add_f32_e32 v1, v1, v44
	s_delay_alu instid0(VALU_DEP_4) | instskip(NEXT) | instid1(VALU_DEP_4)
	v_dual_fmac_f32 v69, v60, v45 :: v_dual_add_f32 v52, v70, v43
	v_fma_f32 v60, v53, v47, -v46
	ds_load_2addr_b64 v[43:46], v0 offset0:64 offset1:80
	v_dual_mul_f32 v59, v53, v48 :: v_dual_mul_f32 v68, v54, v50
	v_add_f32_e32 v25, v25, v69
	v_dual_mul_f32 v69, v53, v50 :: v_dual_add_f32 v60, v71, v60
	s_delay_alu instid0(VALU_DEP_3) | instskip(NEXT) | instid1(VALU_DEP_4)
	v_fmac_f32_e32 v59, v54, v47
	v_fma_f32 v53, v53, v49, -v68
	v_mul_f32_e32 v68, v62, v48
	s_delay_alu instid0(VALU_DEP_4) | instskip(NEXT) | instid1(VALU_DEP_3)
	v_dual_mul_f32 v48, v61, v48 :: v_dual_fmac_f32 v69, v54, v49
	v_dual_add_f32 v3, v3, v59 :: v_dual_add_f32 v2, v2, v53
	s_delay_alu instid0(VALU_DEP_3) | instskip(NEXT) | instid1(VALU_DEP_3)
	v_fma_f32 v53, v61, v47, -v68
	v_fmac_f32_e32 v48, v62, v47
	v_mul_f32_e32 v47, v62, v50
	v_dual_mul_f32 v59, v61, v50 :: v_dual_add_f32 v54, v67, v69
	s_delay_alu instid0(VALU_DEP_4) | instskip(NEXT) | instid1(VALU_DEP_4)
	v_add_f32_e32 v51, v51, v53
	v_add_f32_e32 v1, v1, v48
	s_delay_alu instid0(VALU_DEP_4)
	v_fma_f32 v53, v61, v49, -v47
	s_waitcnt lgkmcnt(0)
	v_mul_f32_e32 v61, v64, v44
	v_fmac_f32_e32 v59, v62, v49
	ds_load_2addr_b64 v[47:50], v0 offset0:96 offset1:112
	v_dual_mul_f32 v67, v63, v46 :: v_dual_add_f32 v52, v52, v53
	v_fma_f32 v53, v63, v43, -v61
	v_mul_f32_e32 v61, v64, v46
	v_dual_add_f32 v25, v25, v59 :: v_dual_mul_f32 v62, v63, v44
	s_delay_alu instid0(VALU_DEP_4) | instskip(NEXT) | instid1(VALU_DEP_4)
	v_fmac_f32_e32 v67, v64, v45
	v_add_f32_e32 v59, v60, v53
	s_delay_alu instid0(VALU_DEP_4)
	v_fma_f32 v53, v63, v45, -v61
	v_mul_f32_e32 v60, v56, v44
	v_mul_f32_e32 v44, v55, v44
	v_fmac_f32_e32 v62, v64, v43
	v_add_f32_e32 v61, v54, v67
	v_dual_add_f32 v2, v2, v53 :: v_dual_mul_f32 v53, v56, v46
	v_fma_f32 v54, v55, v43, -v60
	v_fmac_f32_e32 v44, v56, v43
	v_mul_f32_e32 v60, v55, v46
	v_add_f32_e32 v3, v3, v62
	v_fma_f32 v43, v55, v45, -v53
	s_waitcnt lgkmcnt(0)
	v_dual_mul_f32 v46, v66, v48 :: v_dual_add_f32 v55, v51, v54
	v_dual_add_f32 v1, v1, v44 :: v_dual_fmac_f32 v60, v56, v45
	s_delay_alu instid0(VALU_DEP_3) | instskip(NEXT) | instid1(VALU_DEP_3)
	v_add_f32_e32 v56, v52, v43
	v_fma_f32 v62, v65, v47, -v46
	ds_load_2addr_b64 v[43:46], v0 offset0:128 offset1:144
	ds_load_b128 v[51:54], v38 offset:224
	v_dual_mul_f32 v63, v65, v48 :: v_dual_mul_f32 v64, v66, v50
	v_add_f32_e32 v25, v25, v60
	v_mul_f32_e32 v60, v65, v50
	v_add_f32_e32 v67, v59, v62
	s_delay_alu instid0(VALU_DEP_4) | instskip(SKIP_3) | instid1(VALU_DEP_4)
	v_fmac_f32_e32 v63, v66, v47
	v_fma_f32 v64, v65, v49, -v64
	v_mul_f32_e32 v59, v58, v48
	v_fmac_f32_e32 v60, v66, v49
	v_dual_mul_f32 v48, v57, v48 :: v_dual_add_f32 v3, v3, v63
	s_delay_alu instid0(VALU_DEP_4) | instskip(NEXT) | instid1(VALU_DEP_4)
	v_add_f32_e32 v2, v2, v64
	v_fma_f32 v63, v57, v47, -v59
	v_mul_f32_e32 v64, v58, v50
	v_add_f32_e32 v68, v61, v60
	ds_load_b128 v[59:62], v38 offset:4320
	v_fmac_f32_e32 v48, v58, v47
	v_add_f32_e32 v69, v55, v63
	v_mul_f32_e32 v55, v57, v50
	v_fma_f32 v47, v57, v49, -v64
	ds_load_b128 v[63:66], v38 offset:240
	s_waitcnt lgkmcnt(2)
	v_mul_f32_e32 v50, v52, v44
	v_add_f32_e32 v1, v1, v48
	v_dual_fmac_f32 v55, v58, v49 :: v_dual_add_f32 v70, v56, v47
	v_mul_f32_e32 v71, v51, v44
	s_delay_alu instid0(VALU_DEP_4)
	v_fma_f32 v56, v51, v43, -v50
	ds_load_2addr_b64 v[47:50], v0 offset0:160 offset1:176
	v_mul_f32_e32 v57, v52, v46
	v_dual_mul_f32 v72, v51, v46 :: v_dual_fmac_f32 v71, v52, v43
	v_add_f32_e32 v67, v67, v56
	v_add_f32_e32 v25, v25, v55
	s_delay_alu instid0(VALU_DEP_4) | instskip(NEXT) | instid1(VALU_DEP_4)
	v_fma_f32 v51, v51, v45, -v57
	v_fmac_f32_e32 v72, v52, v45
	s_waitcnt lgkmcnt(2)
	v_mul_f32_e32 v73, v60, v44
	v_mul_f32_e32 v44, v59, v44
	v_dual_mul_f32 v52, v60, v46 :: v_dual_add_f32 v3, v3, v71
	v_add_f32_e32 v2, v2, v51
	s_delay_alu instid0(VALU_DEP_4) | instskip(NEXT) | instid1(VALU_DEP_4)
	v_fma_f32 v51, v59, v43, -v73
	v_dual_fmac_f32 v44, v60, v43 :: v_dual_mul_f32 v71, v59, v46
	s_delay_alu instid0(VALU_DEP_4)
	v_fma_f32 v43, v59, v45, -v52
	ds_load_b128 v[55:58], v38 offset:4336
	v_add_f32_e32 v51, v69, v51
	v_add_f32_e32 v1, v1, v44
	s_waitcnt lgkmcnt(1)
	v_dual_mul_f32 v46, v54, v48 :: v_dual_fmac_f32 v71, v60, v45
	v_dual_mul_f32 v52, v53, v48 :: v_dual_add_f32 v59, v70, v43
	v_mul_f32_e32 v69, v54, v50
	s_delay_alu instid0(VALU_DEP_3)
	v_fma_f32 v60, v53, v47, -v46
	ds_load_2addr_b64 v[43:46], v0 offset0:192 offset1:208
	v_fmac_f32_e32 v52, v54, v47
	v_dual_add_f32 v25, v25, v71 :: v_dual_add_f32 v68, v68, v72
	v_dual_add_f32 v60, v67, v60 :: v_dual_mul_f32 v67, v53, v50
	v_fma_f32 v53, v53, v49, -v69
	s_delay_alu instid0(VALU_DEP_4) | instskip(SKIP_1) | instid1(VALU_DEP_4)
	v_add_f32_e32 v52, v3, v52
	v_mul_f32_e32 v3, v62, v48
	v_dual_mul_f32 v48, v61, v48 :: v_dual_fmac_f32 v67, v54, v49
	s_delay_alu instid0(VALU_DEP_4) | instskip(SKIP_1) | instid1(VALU_DEP_4)
	v_add_f32_e32 v53, v2, v53
	v_mul_f32_e32 v2, v62, v50
	v_fma_f32 v3, v61, v47, -v3
	s_delay_alu instid0(VALU_DEP_4) | instskip(SKIP_1) | instid1(VALU_DEP_4)
	v_fmac_f32_e32 v48, v62, v47
	v_dual_mul_f32 v50, v61, v50 :: v_dual_add_f32 v47, v68, v67
	v_fma_f32 v2, v61, v49, -v2
	s_delay_alu instid0(VALU_DEP_3) | instskip(SKIP_2) | instid1(VALU_DEP_3)
	v_dual_add_f32 v51, v51, v3 :: v_dual_add_f32 v48, v1, v48
	s_waitcnt lgkmcnt(0)
	v_mul_f32_e32 v54, v64, v44
	v_dual_fmac_f32 v50, v62, v49 :: v_dual_add_f32 v49, v59, v2
	ds_load_2addr_b64 v[0:3], v0 offset0:224 offset1:240
	v_mul_f32_e32 v59, v63, v44
	v_fma_f32 v54, v63, v43, -v54
	v_add_f32_e32 v25, v25, v50
	v_mul_f32_e32 v50, v64, v46
	v_mul_f32_e32 v61, v63, v46
	v_fmac_f32_e32 v59, v64, v43
	v_add_f32_e32 v54, v60, v54
	v_mul_f32_e32 v60, v56, v44
	v_fma_f32 v50, v63, v45, -v50
	v_mul_f32_e32 v44, v55, v44
	v_add_f32_e32 v52, v52, v59
	v_fmac_f32_e32 v61, v64, v45
	v_fma_f32 v59, v55, v43, -v60
	v_add_f32_e32 v50, v53, v50
	v_mul_f32_e32 v53, v56, v46
	v_fmac_f32_e32 v44, v56, v43
	v_mul_f32_e32 v46, v55, v46
	v_add_f32_e32 v43, v51, v59
	v_add_f32_e32 v47, v47, v61
	v_fma_f32 v51, v55, v45, -v53
	s_waitcnt lgkmcnt(0)
	v_mul_f32_e32 v53, v66, v1
	v_mul_f32_e32 v55, v65, v1
	v_add_f32_e32 v59, v48, v44
	v_dual_fmac_f32 v46, v56, v45 :: v_dual_mul_f32 v45, v66, v3
	s_delay_alu instid0(VALU_DEP_4) | instskip(NEXT) | instid1(VALU_DEP_4)
	v_fma_f32 v44, v65, v0, -v53
	v_fmac_f32_e32 v55, v66, v0
	v_add_f32_e32 v51, v49, v51
	v_mul_f32_e32 v53, v65, v3
	s_delay_alu instid0(VALU_DEP_4) | instskip(NEXT) | instid1(VALU_DEP_4)
	v_dual_add_f32 v25, v25, v46 :: v_dual_add_f32 v48, v54, v44
	v_add_f32_e32 v49, v52, v55
	v_fma_f32 v44, v65, v2, -v45
	v_mul_f32_e32 v45, v58, v1
	v_dual_mul_f32 v1, v57, v1 :: v_dual_mul_f32 v52, v58, v3
	v_mul_f32_e32 v3, v57, v3
	v_fmac_f32_e32 v53, v66, v2
	v_add_f32_e32 v46, v50, v44
	v_fma_f32 v44, v57, v0, -v45
	v_fmac_f32_e32 v1, v58, v0
	v_fma_f32 v0, v57, v2, -v52
	v_fmac_f32_e32 v3, v58, v2
	v_add_f32_e32 v47, v47, v53
	v_add_f32_e32 v44, v43, v44
	;; [unrolled: 1-line block ×5, first 2 shown]
	s_barrier
	buffer_gl0_inv
	s_cbranch_scc1 .LBB75_55
.LBB75_7:                               ;   Parent Loop BB75_4 Depth=1
                                        ; =>  This Inner Loop Header: Depth=2
	v_add_co_u32 v0, s5, v4, s16
	s_delay_alu instid0(VALU_DEP_1) | instskip(SKIP_1) | instid1(VALU_DEP_2)
	v_add_co_ci_u32_e64 v1, s5, s17, v5, s5
	v_cmp_eq_u64_e64 s7, s[16:17], v[14:15]
	v_cmp_le_i64_e64 s6, s[12:13], v[0:1]
	v_cmp_lt_i64_e64 s5, v[0:1], v[6:7]
	s_delay_alu instid0(VALU_DEP_3) | instskip(NEXT) | instid1(VALU_DEP_1)
	s_and_b32 s39, s30, s7
	s_or_b32 s7, s6, s5
	s_delay_alu instid0(SALU_CYCLE_1) | instskip(SKIP_1) | instid1(VALU_DEP_1)
	s_or_b32 s8, s7, s39
	v_add_co_u32 v2, s7, v34, v22
	v_add_co_ci_u32_e64 v3, s7, v35, v23, s7
	s_or_b32 s7, s0, s8
	s_delay_alu instid0(SALU_CYCLE_1) | instskip(NEXT) | instid1(SALU_CYCLE_1)
	s_xor_b32 s7, s7, -1
	s_and_saveexec_b32 s8, s7
	s_delay_alu instid0(SALU_CYCLE_1)
	s_xor_b32 s7, exec_lo, s8
	s_cbranch_execz .LBB75_9
; %bb.8:                                ;   in Loop: Header=BB75_7 Depth=2
	global_load_b64 v[50:51], v[2:3], off
	s_waitcnt vmcnt(0)
	ds_store_b64 v39, v[50:51]
.LBB75_9:                               ;   in Loop: Header=BB75_7 Depth=2
	s_or_saveexec_b32 s7, s7
	s_xor_b32 s21, s39, -1
	s_xor_b32 exec_lo, exec_lo, s7
	s_cbranch_execz .LBB75_15
; %bb.10:                               ;   in Loop: Header=BB75_7 Depth=2
	s_and_saveexec_b32 s8, s21
	s_delay_alu instid0(SALU_CYCLE_1)
	s_xor_b32 s8, exec_lo, s8
	s_cbranch_execz .LBB75_12
; %bb.11:                               ;   in Loop: Header=BB75_7 Depth=2
	v_mov_b32_e32 v50, v27
	v_mov_b32_e32 v51, v27
	ds_store_b64 v39, v[50:51]
.LBB75_12:                              ;   in Loop: Header=BB75_7 Depth=2
	s_and_not1_saveexec_b32 s8, s8
	s_cbranch_execz .LBB75_14
; %bb.13:                               ;   in Loop: Header=BB75_7 Depth=2
	ds_store_b64 v39, v[26:27]
.LBB75_14:                              ;   in Loop: Header=BB75_7 Depth=2
	s_or_b32 exec_lo, exec_lo, s8
.LBB75_15:                              ;   in Loop: Header=BB75_7 Depth=2
	s_delay_alu instid0(SALU_CYCLE_1) | instskip(SKIP_2) | instid1(VALU_DEP_2)
	s_or_b32 exec_lo, exec_lo, s7
	v_cmp_eq_u64_e64 s7, s[16:17], v[18:19]
	v_cmp_gt_i64_e64 s8, v[10:11], v[0:1]
	s_and_b32 s7, s30, s7
	s_delay_alu instid0(VALU_DEP_1) | instskip(NEXT) | instid1(SALU_CYCLE_1)
	s_or_b32 s6, s6, s8
	s_or_b32 s6, s6, s7
	s_delay_alu instid0(SALU_CYCLE_1) | instskip(NEXT) | instid1(SALU_CYCLE_1)
	s_or_b32 s6, s3, s6
	s_xor_b32 s6, s6, -1
	s_delay_alu instid0(SALU_CYCLE_1) | instskip(NEXT) | instid1(SALU_CYCLE_1)
	s_and_saveexec_b32 s8, s6
	s_xor_b32 s6, exec_lo, s8
	s_cbranch_execz .LBB75_17
; %bb.16:                               ;   in Loop: Header=BB75_7 Depth=2
	global_load_b64 v[2:3], v[2:3], off offset:128
	s_waitcnt vmcnt(0)
	ds_store_b64 v39, v[2:3] offset:128
.LBB75_17:                              ;   in Loop: Header=BB75_7 Depth=2
	s_and_not1_saveexec_b32 s6, s6
	s_cbranch_execz .LBB75_23
; %bb.18:                               ;   in Loop: Header=BB75_7 Depth=2
	s_xor_b32 s7, s7, -1
	s_delay_alu instid0(SALU_CYCLE_1) | instskip(NEXT) | instid1(SALU_CYCLE_1)
	s_and_saveexec_b32 s8, s7
	s_xor_b32 s7, exec_lo, s8
	s_cbranch_execz .LBB75_20
; %bb.19:                               ;   in Loop: Header=BB75_7 Depth=2
	v_mov_b32_e32 v2, v27
	v_mov_b32_e32 v3, v27
	ds_store_b64 v39, v[2:3] offset:128
.LBB75_20:                              ;   in Loop: Header=BB75_7 Depth=2
	s_and_not1_saveexec_b32 s7, s7
	s_cbranch_execz .LBB75_22
; %bb.21:                               ;   in Loop: Header=BB75_7 Depth=2
	ds_store_b64 v39, v[26:27] offset:128
.LBB75_22:                              ;   in Loop: Header=BB75_7 Depth=2
	s_or_b32 exec_lo, exec_lo, s7
.LBB75_23:                              ;   in Loop: Header=BB75_7 Depth=2
	s_delay_alu instid0(SALU_CYCLE_1) | instskip(SKIP_1) | instid1(VALU_DEP_1)
	s_or_b32 exec_lo, exec_lo, s6
	v_add_co_u32 v0, s6, v0, 16
	v_add_co_ci_u32_e64 v1, s6, 0, v1, s6
	v_cmp_eq_u64_e64 s7, s[16:17], v[20:21]
	s_delay_alu instid0(VALU_DEP_2) | instskip(SKIP_1) | instid1(VALU_DEP_3)
	v_cmp_le_i64_e64 s6, s[12:13], v[0:1]
	v_cmp_lt_i64_e64 s8, v[0:1], v[6:7]
	s_and_b32 s42, s30, s7
	s_delay_alu instid0(VALU_DEP_1) | instskip(NEXT) | instid1(SALU_CYCLE_1)
	s_or_b32 s7, s6, s8
	s_or_b32 s7, s7, s42
	s_delay_alu instid0(SALU_CYCLE_1) | instskip(NEXT) | instid1(SALU_CYCLE_1)
	s_or_b32 s7, s0, s7
	s_xor_b32 s7, s7, -1
	s_delay_alu instid0(SALU_CYCLE_1) | instskip(NEXT) | instid1(SALU_CYCLE_1)
	s_and_saveexec_b32 s8, s7
	s_xor_b32 s8, exec_lo, s8
	s_cbranch_execz .LBB75_25
; %bb.24:                               ;   in Loop: Header=BB75_7 Depth=2
	v_add_co_u32 v0, s7, v32, v22
	s_delay_alu instid0(VALU_DEP_1)
	v_add_co_ci_u32_e64 v1, s7, v33, v23, s7
	global_load_b64 v[0:1], v[0:1], off
	s_waitcnt vmcnt(0)
	ds_store_b64 v39, v[0:1] offset:4096
.LBB75_25:                              ;   in Loop: Header=BB75_7 Depth=2
	s_and_not1_saveexec_b32 s7, s8
	s_cbranch_execz .LBB75_31
; %bb.26:                               ;   in Loop: Header=BB75_7 Depth=2
	s_xor_b32 s8, s42, -1
	s_delay_alu instid0(SALU_CYCLE_1) | instskip(NEXT) | instid1(SALU_CYCLE_1)
	s_and_saveexec_b32 s42, s8
	s_xor_b32 s8, exec_lo, s42
	s_cbranch_execz .LBB75_28
; %bb.27:                               ;   in Loop: Header=BB75_7 Depth=2
	v_mov_b32_e32 v0, v27
	v_mov_b32_e32 v1, v27
	ds_store_b64 v39, v[0:1] offset:4096
.LBB75_28:                              ;   in Loop: Header=BB75_7 Depth=2
	s_and_not1_saveexec_b32 s8, s8
	s_cbranch_execz .LBB75_30
; %bb.29:                               ;   in Loop: Header=BB75_7 Depth=2
	ds_store_b64 v39, v[26:27] offset:4096
.LBB75_30:                              ;   in Loop: Header=BB75_7 Depth=2
	s_or_b32 exec_lo, exec_lo, s8
.LBB75_31:                              ;   in Loop: Header=BB75_7 Depth=2
	s_delay_alu instid0(SALU_CYCLE_1) | instskip(SKIP_1) | instid1(SALU_CYCLE_1)
	s_or_b32 exec_lo, exec_lo, s7
	s_or_b32 s5, s6, s5
	s_or_b32 s5, s5, s39
	s_delay_alu instid0(SALU_CYCLE_1) | instskip(NEXT) | instid1(SALU_CYCLE_1)
	s_or_b32 s5, s3, s5
	s_xor_b32 s5, s5, -1
	s_delay_alu instid0(SALU_CYCLE_1) | instskip(NEXT) | instid1(SALU_CYCLE_1)
	s_and_saveexec_b32 s6, s5
	s_xor_b32 s6, exec_lo, s6
	s_cbranch_execz .LBB75_33
; %bb.32:                               ;   in Loop: Header=BB75_7 Depth=2
	v_add_co_u32 v0, s5, v32, v22
	s_delay_alu instid0(VALU_DEP_1)
	v_add_co_ci_u32_e64 v1, s5, v33, v23, s5
	global_load_b64 v[0:1], v[0:1], off offset:128
	s_waitcnt vmcnt(0)
	ds_store_b64 v39, v[0:1] offset:4224
.LBB75_33:                              ;   in Loop: Header=BB75_7 Depth=2
	s_and_not1_saveexec_b32 s5, s6
	s_cbranch_execz .LBB75_39
; %bb.34:                               ;   in Loop: Header=BB75_7 Depth=2
	s_and_saveexec_b32 s6, s21
	s_delay_alu instid0(SALU_CYCLE_1)
	s_xor_b32 s6, exec_lo, s6
	s_cbranch_execz .LBB75_36
; %bb.35:                               ;   in Loop: Header=BB75_7 Depth=2
	v_mov_b32_e32 v0, v27
	v_mov_b32_e32 v1, v27
	ds_store_b64 v39, v[0:1] offset:4224
.LBB75_36:                              ;   in Loop: Header=BB75_7 Depth=2
	s_and_not1_saveexec_b32 s6, s6
	s_cbranch_execz .LBB75_38
; %bb.37:                               ;   in Loop: Header=BB75_7 Depth=2
	ds_store_b64 v39, v[26:27] offset:4224
.LBB75_38:                              ;   in Loop: Header=BB75_7 Depth=2
	s_or_b32 exec_lo, exec_lo, s6
.LBB75_39:                              ;   in Loop: Header=BB75_7 Depth=2
	s_delay_alu instid0(SALU_CYCLE_1) | instskip(SKIP_1) | instid1(VALU_DEP_1)
	s_or_b32 exec_lo, exec_lo, s5
	v_add_co_u32 v0, s5, v6, s16
	v_add_co_ci_u32_e64 v1, s5, s17, v7, s5
	s_delay_alu instid0(VALU_DEP_1) | instskip(NEXT) | instid1(VALU_DEP_1)
	v_cmp_gt_i64_e64 s5, s[12:13], v[0:1]
	s_and_b32 s6, vcc_lo, s5
	s_delay_alu instid0(SALU_CYCLE_1) | instskip(NEXT) | instid1(SALU_CYCLE_1)
	s_xor_b32 s6, s6, -1
	s_and_saveexec_b32 s7, s6
	s_delay_alu instid0(SALU_CYCLE_1)
	s_xor_b32 s6, exec_lo, s7
	s_cbranch_execz .LBB75_41
; %bb.40:                               ;   in Loop: Header=BB75_7 Depth=2
	v_mov_b32_e32 v2, v27
	v_mov_b32_e32 v3, v27
	ds_store_b64 v40, v[2:3]
.LBB75_41:                              ;   in Loop: Header=BB75_7 Depth=2
	s_or_saveexec_b32 s7, s6
	v_add_co_u32 v2, s6, v28, v22
	s_delay_alu instid0(VALU_DEP_1)
	v_add_co_ci_u32_e64 v3, s6, v29, v23, s6
	s_xor_b32 exec_lo, exec_lo, s7
	s_cbranch_execz .LBB75_43
; %bb.42:                               ;   in Loop: Header=BB75_7 Depth=2
	global_load_b64 v[50:51], v[2:3], off offset:-128
	s_waitcnt vmcnt(0)
	ds_store_b64 v40, v[50:51]
.LBB75_43:                              ;   in Loop: Header=BB75_7 Depth=2
	s_or_b32 exec_lo, exec_lo, s7
	v_cmp_gt_i64_e64 s6, s[22:23], v[0:1]
	s_delay_alu instid0(VALU_DEP_1) | instskip(NEXT) | instid1(SALU_CYCLE_1)
	s_and_b32 s7, vcc_lo, s6
	s_xor_b32 s7, s7, -1
	s_delay_alu instid0(SALU_CYCLE_1) | instskip(NEXT) | instid1(SALU_CYCLE_1)
	s_and_saveexec_b32 s8, s7
	s_xor_b32 s7, exec_lo, s8
	s_cbranch_execz .LBB75_45
; %bb.44:                               ;   in Loop: Header=BB75_7 Depth=2
	v_mov_b32_e32 v0, v27
	v_mov_b32_e32 v1, v27
                                        ; implicit-def: $vgpr2_vgpr3
	ds_store_b64 v40, v[0:1] offset:128
.LBB75_45:                              ;   in Loop: Header=BB75_7 Depth=2
	s_and_not1_saveexec_b32 s7, s7
	s_cbranch_execz .LBB75_47
; %bb.46:                               ;   in Loop: Header=BB75_7 Depth=2
	global_load_b64 v[0:1], v[2:3], off
	s_waitcnt vmcnt(0)
	ds_store_b64 v40, v[0:1] offset:128
.LBB75_47:                              ;   in Loop: Header=BB75_7 Depth=2
	s_or_b32 exec_lo, exec_lo, s7
	s_and_b32 s5, s4, s5
	s_delay_alu instid0(SALU_CYCLE_1) | instskip(NEXT) | instid1(SALU_CYCLE_1)
	s_xor_b32 s5, s5, -1
	s_and_saveexec_b32 s7, s5
	s_delay_alu instid0(SALU_CYCLE_1)
	s_xor_b32 s5, exec_lo, s7
	s_cbranch_execz .LBB75_49
; %bb.48:                               ;   in Loop: Header=BB75_7 Depth=2
	v_mov_b32_e32 v0, v27
	v_mov_b32_e32 v1, v27
	ds_store_b64 v40, v[0:1] offset:4096
.LBB75_49:                              ;   in Loop: Header=BB75_7 Depth=2
	s_and_not1_saveexec_b32 s7, s5
	s_cbranch_execz .LBB75_51
; %bb.50:                               ;   in Loop: Header=BB75_7 Depth=2
	v_add_co_u32 v0, s5, v30, v22
	s_delay_alu instid0(VALU_DEP_1)
	v_add_co_ci_u32_e64 v1, s5, v31, v23, s5
	global_load_b64 v[0:1], v[0:1], off offset:-128
	s_waitcnt vmcnt(0)
	ds_store_b64 v40, v[0:1] offset:4096
.LBB75_51:                              ;   in Loop: Header=BB75_7 Depth=2
	s_or_b32 exec_lo, exec_lo, s7
	s_and_b32 s5, s4, s6
	s_delay_alu instid0(SALU_CYCLE_1) | instskip(NEXT) | instid1(SALU_CYCLE_1)
	s_xor_b32 s5, s5, -1
	s_and_saveexec_b32 s6, s5
	s_delay_alu instid0(SALU_CYCLE_1)
	s_xor_b32 s5, exec_lo, s6
	s_cbranch_execz .LBB75_53
; %bb.52:                               ;   in Loop: Header=BB75_7 Depth=2
	v_mov_b32_e32 v0, v27
	v_mov_b32_e32 v1, v27
	ds_store_b64 v40, v[0:1] offset:4224
.LBB75_53:                              ;   in Loop: Header=BB75_7 Depth=2
	s_and_not1_saveexec_b32 s6, s5
	s_cbranch_execz .LBB75_6
; %bb.54:                               ;   in Loop: Header=BB75_7 Depth=2
	v_add_co_u32 v0, s5, v30, v22
	s_delay_alu instid0(VALU_DEP_1)
	v_add_co_ci_u32_e64 v1, s5, v31, v23, s5
	global_load_b64 v[0:1], v[0:1], off
	s_waitcnt vmcnt(0)
	ds_store_b64 v40, v[0:1] offset:4224
	s_branch .LBB75_6
.LBB75_55:                              ;   in Loop: Header=BB75_4 Depth=1
	v_mul_lo_u32 v2, v42, s40
	v_mul_lo_u32 v3, v41, s41
	v_mad_u64_u32 v[0:1], null, v41, s40, 0
	v_cmp_gt_i32_e32 vcc_lo, s10, v41
	s_delay_alu instid0(VALU_DEP_2) | instskip(NEXT) | instid1(VALU_DEP_1)
	v_add3_u32 v1, v1, v3, v2
	v_lshlrev_b64 v[0:1], 3, v[0:1]
	s_delay_alu instid0(VALU_DEP_1) | instskip(NEXT) | instid1(VALU_DEP_1)
	v_add_co_u32 v0, s4, s31, v0
	v_add_co_ci_u32_e64 v1, s4, s36, v1, s4
	s_and_b32 s4, s1, vcc_lo
	s_delay_alu instid0(SALU_CYCLE_1)
	s_and_saveexec_b32 s5, s4
	s_cbranch_execz .LBB75_57
; %bb.56:                               ;   in Loop: Header=BB75_4 Depth=1
	v_add_co_u32 v2, s4, v0, v22
	s_delay_alu instid0(VALU_DEP_1) | instskip(SKIP_2) | instid1(VALU_DEP_1)
	v_add_co_ci_u32_e64 v3, s4, v1, v23, s4
	global_load_b64 v[28:29], v[2:3], off
	v_mul_f32_e32 v31, s11, v49
	v_dual_mul_f32 v30, s33, v49 :: v_dual_fmac_f32 v31, s33, v48
	s_delay_alu instid0(VALU_DEP_1) | instskip(SKIP_1) | instid1(VALU_DEP_1)
	v_fma_f32 v30, v48, s11, -v30
	s_waitcnt vmcnt(0)
	v_dual_add_f32 v28, v28, v30 :: v_dual_add_f32 v29, v29, v31
	global_store_b64 v[2:3], v[28:29], off
.LBB75_57:                              ;   in Loop: Header=BB75_4 Depth=1
	s_or_b32 exec_lo, exec_lo, s5
	s_and_b32 s5, s2, vcc_lo
	s_delay_alu instid0(SALU_CYCLE_1)
	s_and_saveexec_b32 s4, s5
	s_cbranch_execz .LBB75_59
; %bb.58:                               ;   in Loop: Header=BB75_4 Depth=1
	v_lshlrev_b64 v[2:3], 3, v[8:9]
	s_delay_alu instid0(VALU_DEP_1) | instskip(NEXT) | instid1(VALU_DEP_2)
	v_add_co_u32 v0, vcc_lo, v0, v2
	v_add_co_ci_u32_e32 v1, vcc_lo, v1, v3, vcc_lo
	global_load_b64 v[2:3], v[0:1], off
	v_mul_f32_e32 v29, s11, v47
	s_delay_alu instid0(VALU_DEP_1) | instskip(NEXT) | instid1(VALU_DEP_1)
	v_dual_mul_f32 v28, s33, v47 :: v_dual_fmac_f32 v29, s33, v46
	v_fma_f32 v28, v46, s11, -v28
	s_waitcnt vmcnt(0)
	s_delay_alu instid0(VALU_DEP_1)
	v_dual_add_f32 v2, v2, v28 :: v_dual_add_f32 v3, v3, v29
	global_store_b64 v[0:1], v[2:3], off
.LBB75_59:                              ;   in Loop: Header=BB75_4 Depth=1
	s_or_b32 exec_lo, exec_lo, s4
	v_add_nc_u32_e32 v2, 16, v41
	s_delay_alu instid0(VALU_DEP_1) | instskip(SKIP_3) | instid1(VALU_DEP_4)
	v_ashrrev_i32_e32 v3, 31, v2
	v_mul_lo_u32 v28, v2, s41
	v_mad_u64_u32 v[0:1], null, v2, s40, 0
	v_cmp_gt_i32_e32 vcc_lo, s10, v2
	v_mul_lo_u32 v3, v3, s40
	s_delay_alu instid0(VALU_DEP_1) | instskip(NEXT) | instid1(VALU_DEP_1)
	v_add3_u32 v1, v1, v28, v3
	v_lshlrev_b64 v[0:1], 3, v[0:1]
	s_delay_alu instid0(VALU_DEP_1) | instskip(NEXT) | instid1(VALU_DEP_1)
	v_add_co_u32 v0, s4, s31, v0
	v_add_co_ci_u32_e64 v1, s4, s36, v1, s4
	s_and_b32 s4, s1, vcc_lo
	s_delay_alu instid0(SALU_CYCLE_1)
	s_and_saveexec_b32 s5, s4
	s_cbranch_execz .LBB75_61
; %bb.60:                               ;   in Loop: Header=BB75_4 Depth=1
	v_add_co_u32 v2, s4, v0, v22
	s_delay_alu instid0(VALU_DEP_1) | instskip(SKIP_2) | instid1(VALU_DEP_1)
	v_add_co_ci_u32_e64 v3, s4, v1, v23, s4
	global_load_b64 v[28:29], v[2:3], off
	v_mul_f32_e32 v31, s11, v45
	v_dual_mul_f32 v30, s33, v45 :: v_dual_fmac_f32 v31, s33, v44
	s_delay_alu instid0(VALU_DEP_1) | instskip(SKIP_1) | instid1(VALU_DEP_1)
	v_fma_f32 v30, v44, s11, -v30
	s_waitcnt vmcnt(0)
	v_dual_add_f32 v28, v28, v30 :: v_dual_add_f32 v29, v29, v31
	global_store_b64 v[2:3], v[28:29], off
.LBB75_61:                              ;   in Loop: Header=BB75_4 Depth=1
	s_or_b32 exec_lo, exec_lo, s5
	s_and_b32 s5, s2, vcc_lo
	s_delay_alu instid0(SALU_CYCLE_1)
	s_and_saveexec_b32 s4, s5
	s_cbranch_execz .LBB75_3
; %bb.62:                               ;   in Loop: Header=BB75_4 Depth=1
	v_lshlrev_b64 v[2:3], 3, v[8:9]
	v_mul_f32_e32 v28, s33, v25
	s_delay_alu instid0(VALU_DEP_2) | instskip(NEXT) | instid1(VALU_DEP_3)
	v_add_co_u32 v0, vcc_lo, v0, v2
	v_add_co_ci_u32_e32 v1, vcc_lo, v1, v3, vcc_lo
	global_load_b64 v[2:3], v[0:1], off
	v_mul_f32_e32 v25, s11, v25
	s_delay_alu instid0(VALU_DEP_1) | instskip(SKIP_2) | instid1(VALU_DEP_1)
	v_fmac_f32_e32 v25, s33, v43
	v_fma_f32 v28, v43, s11, -v28
	s_waitcnt vmcnt(0)
	v_dual_add_f32 v2, v2, v28 :: v_dual_add_f32 v3, v3, v25
	global_store_b64 v[0:1], v[2:3], off
	s_branch .LBB75_3
.LBB75_63:
	s_nop 0
	s_sendmsg sendmsg(MSG_DEALLOC_VGPRS)
	s_endpgm
	.section	.rodata,"a",@progbits
	.p2align	6, 0x0
	.amdhsa_kernel _ZL30rocblas_trmm_outofplace_kernelI19rocblas_complex_numIfELi32ELi2ELb1ELb1ELb0ELb0ES1_KS1_S1_Ev17rocblas_diagonal_iiT6_lPT7_lllS6_lllPT8_llli
		.amdhsa_group_segment_fixed_size 16384
		.amdhsa_private_segment_fixed_size 0
		.amdhsa_kernarg_size 392
		.amdhsa_user_sgpr_count 13
		.amdhsa_user_sgpr_dispatch_ptr 0
		.amdhsa_user_sgpr_queue_ptr 0
		.amdhsa_user_sgpr_kernarg_segment_ptr 1
		.amdhsa_user_sgpr_dispatch_id 0
		.amdhsa_user_sgpr_private_segment_size 0
		.amdhsa_wavefront_size32 1
		.amdhsa_uses_dynamic_stack 0
		.amdhsa_enable_private_segment 0
		.amdhsa_system_sgpr_workgroup_id_x 1
		.amdhsa_system_sgpr_workgroup_id_y 1
		.amdhsa_system_sgpr_workgroup_id_z 1
		.amdhsa_system_sgpr_workgroup_info 0
		.amdhsa_system_vgpr_workitem_id 1
		.amdhsa_next_free_vgpr 84
		.amdhsa_next_free_sgpr 46
		.amdhsa_reserve_vcc 1
		.amdhsa_float_round_mode_32 0
		.amdhsa_float_round_mode_16_64 0
		.amdhsa_float_denorm_mode_32 3
		.amdhsa_float_denorm_mode_16_64 3
		.amdhsa_dx10_clamp 1
		.amdhsa_ieee_mode 1
		.amdhsa_fp16_overflow 0
		.amdhsa_workgroup_processor_mode 1
		.amdhsa_memory_ordered 1
		.amdhsa_forward_progress 0
		.amdhsa_shared_vgpr_count 0
		.amdhsa_exception_fp_ieee_invalid_op 0
		.amdhsa_exception_fp_denorm_src 0
		.amdhsa_exception_fp_ieee_div_zero 0
		.amdhsa_exception_fp_ieee_overflow 0
		.amdhsa_exception_fp_ieee_underflow 0
		.amdhsa_exception_fp_ieee_inexact 0
		.amdhsa_exception_int_div_zero 0
	.end_amdhsa_kernel
	.section	.text._ZL30rocblas_trmm_outofplace_kernelI19rocblas_complex_numIfELi32ELi2ELb1ELb1ELb0ELb0ES1_KS1_S1_Ev17rocblas_diagonal_iiT6_lPT7_lllS6_lllPT8_llli,"axG",@progbits,_ZL30rocblas_trmm_outofplace_kernelI19rocblas_complex_numIfELi32ELi2ELb1ELb1ELb0ELb0ES1_KS1_S1_Ev17rocblas_diagonal_iiT6_lPT7_lllS6_lllPT8_llli,comdat
.Lfunc_end75:
	.size	_ZL30rocblas_trmm_outofplace_kernelI19rocblas_complex_numIfELi32ELi2ELb1ELb1ELb0ELb0ES1_KS1_S1_Ev17rocblas_diagonal_iiT6_lPT7_lllS6_lllPT8_llli, .Lfunc_end75-_ZL30rocblas_trmm_outofplace_kernelI19rocblas_complex_numIfELi32ELi2ELb1ELb1ELb0ELb0ES1_KS1_S1_Ev17rocblas_diagonal_iiT6_lPT7_lllS6_lllPT8_llli
                                        ; -- End function
	.section	.AMDGPU.csdata,"",@progbits
; Kernel info:
; codeLenInByte = 7460
; NumSgprs: 48
; NumVgprs: 84
; ScratchSize: 0
; MemoryBound: 1
; FloatMode: 240
; IeeeMode: 1
; LDSByteSize: 16384 bytes/workgroup (compile time only)
; SGPRBlocks: 5
; VGPRBlocks: 10
; NumSGPRsForWavesPerEU: 48
; NumVGPRsForWavesPerEU: 84
; Occupancy: 16
; WaveLimiterHint : 0
; COMPUTE_PGM_RSRC2:SCRATCH_EN: 0
; COMPUTE_PGM_RSRC2:USER_SGPR: 13
; COMPUTE_PGM_RSRC2:TRAP_HANDLER: 0
; COMPUTE_PGM_RSRC2:TGID_X_EN: 1
; COMPUTE_PGM_RSRC2:TGID_Y_EN: 1
; COMPUTE_PGM_RSRC2:TGID_Z_EN: 1
; COMPUTE_PGM_RSRC2:TIDIG_COMP_CNT: 1
	.section	.text._ZL30rocblas_trmm_outofplace_kernelI19rocblas_complex_numIfELi32ELi2ELb1ELb0ELb1ELb0EPKS1_S2_S1_Ev17rocblas_diagonal_iiT6_lPT7_lllS7_lllPT8_llli,"axG",@progbits,_ZL30rocblas_trmm_outofplace_kernelI19rocblas_complex_numIfELi32ELi2ELb1ELb0ELb1ELb0EPKS1_S2_S1_Ev17rocblas_diagonal_iiT6_lPT7_lllS7_lllPT8_llli,comdat
	.globl	_ZL30rocblas_trmm_outofplace_kernelI19rocblas_complex_numIfELi32ELi2ELb1ELb0ELb1ELb0EPKS1_S2_S1_Ev17rocblas_diagonal_iiT6_lPT7_lllS7_lllPT8_llli ; -- Begin function _ZL30rocblas_trmm_outofplace_kernelI19rocblas_complex_numIfELi32ELi2ELb1ELb0ELb1ELb0EPKS1_S2_S1_Ev17rocblas_diagonal_iiT6_lPT7_lllS7_lllPT8_llli
	.p2align	8
	.type	_ZL30rocblas_trmm_outofplace_kernelI19rocblas_complex_numIfELi32ELi2ELb1ELb0ELb1ELb0EPKS1_S2_S1_Ev17rocblas_diagonal_iiT6_lPT7_lllS7_lllPT8_llli,@function
_ZL30rocblas_trmm_outofplace_kernelI19rocblas_complex_numIfELi32ELi2ELb1ELb0ELb1ELb0EPKS1_S2_S1_Ev17rocblas_diagonal_iiT6_lPT7_lllS7_lllPT8_llli: ; @_ZL30rocblas_trmm_outofplace_kernelI19rocblas_complex_numIfELi32ELi2ELb1ELb0ELb1ELb0EPKS1_S2_S1_Ev17rocblas_diagonal_iiT6_lPT7_lllS7_lllPT8_llli
; %bb.0:
	s_load_b512 s[16:31], s[0:1], 0x10
	s_waitcnt lgkmcnt(0)
	s_mul_i32 s2, s15, s19
	s_mul_hi_u32 s3, s15, s18
	s_delay_alu instid0(SALU_CYCLE_1) | instskip(SKIP_1) | instid1(SALU_CYCLE_1)
	s_add_i32 s3, s3, s2
	s_mul_i32 s2, s15, s18
	s_lshl_b64 s[2:3], s[2:3], 3
	s_delay_alu instid0(SALU_CYCLE_1) | instskip(SKIP_4) | instid1(SALU_CYCLE_1)
	s_add_u32 s2, s16, s2
	s_addc_u32 s3, s17, s3
	s_load_b64 s[34:35], s[2:3], 0x0
	s_waitcnt lgkmcnt(0)
	s_or_b32 s2, s34, s35
	s_bitset0_b32 s2, 31
	s_delay_alu instid0(SALU_CYCLE_1)
	s_cmp_eq_u32 s2, 0
	s_cbranch_scc1 .LBB76_63
; %bb.1:
	s_load_b128 s[8:11], s[0:1], 0x0
	s_waitcnt lgkmcnt(0)
	s_add_i32 s2, s10, -1
	s_delay_alu instid0(SALU_CYCLE_1) | instskip(NEXT) | instid1(SALU_CYCLE_1)
	s_ashr_i32 s3, s2, 31
	s_lshr_b32 s3, s3, 27
	s_delay_alu instid0(SALU_CYCLE_1) | instskip(NEXT) | instid1(SALU_CYCLE_1)
	s_add_i32 s2, s2, s3
	s_ashr_i32 s11, s2, 5
	s_delay_alu instid0(SALU_CYCLE_1)
	s_cmp_gt_i32 s14, s11
	s_cbranch_scc1 .LBB76_63
; %bb.2:
	s_clause 0x1
	s_load_b128 s[16:19], s[0:1], 0x70
	s_load_b256 s[36:43], s[0:1], 0x50
	s_mul_i32 s3, s15, s27
	s_mul_hi_u32 s4, s15, s26
	s_mul_i32 s2, s15, s26
	s_add_i32 s3, s4, s3
	s_load_b32 s26, s[0:1], 0x8c
	s_lshl_b64 s[4:5], s[2:3], 3
	v_bfe_u32 v30, v0, 10, 10
	s_add_u32 s2, s20, s4
	s_addc_u32 s3, s21, s5
	s_lshl_b64 s[6:7], s[22:23], 3
	v_dual_mov_b32 v25, 0 :: v_dual_and_b32 v0, 0x3ff, v0
	s_add_u32 s2, s2, s6
	s_addc_u32 s3, s3, s7
	v_dual_mov_b32 v24, 1.0 :: v_dual_lshlrev_b32 v1, 8, v30
	s_delay_alu instid0(VALU_DEP_2)
	v_lshlrev_b32_e32 v31, 3, v0
	s_waitcnt lgkmcnt(0)
	s_mul_i32 s1, s15, s19
	s_mul_hi_u32 s12, s15, s18
	s_mul_i32 s0, s15, s18
	s_add_i32 s1, s12, s1
	v_add_nc_u32_e32 v32, 0x2000, v1
	s_lshl_b64 s[0:1], s[0:1], 3
	v_add_nc_u32_e32 v33, v31, v1
	s_add_u32 s12, s40, s0
	s_addc_u32 s18, s41, s1
	s_lshl_b64 s[0:1], s[42:43], 3
	s_mul_hi_u32 s22, s38, s15
	s_add_u32 s27, s12, s0
	s_addc_u32 s33, s18, s1
	s_lshl_b32 s0, s13, 5
	s_mov_b32 s12, s9
	v_add_nc_u32_e32 v4, s0, v0
	v_add_nc_u32_e32 v6, s0, v30
	s_sub_i32 s40, s9, s0
	v_add_nc_u32_e32 v34, v32, v31
	s_cmp_gt_i32 s40, 0
	v_ashrrev_i32_e32 v5, 31, v4
	v_mul_lo_u32 v2, v4, s25
	v_mad_u64_u32 v[0:1], null, v4, s24, 0
	v_ashrrev_i32_e32 v7, 31, v6
	s_delay_alu instid0(VALU_DEP_4)
	v_mul_lo_u32 v3, v5, s24
	v_add_co_u32 v10, vcc_lo, v4, 16
	v_add_co_ci_u32_e32 v11, vcc_lo, 0, v5, vcc_lo
	v_add_nc_u32_e32 v8, 16, v4
	s_cselect_b32 s41, -1, 0
	s_cmpk_eq_i32 s8, 0x84
	s_delay_alu instid0(VALU_DEP_4)
	v_add3_u32 v1, v1, v2, v3
	v_lshlrev_b64 v[2:3], 3, v[6:7]
	s_cselect_b32 s42, -1, 0
	s_ashr_i32 s13, s9, 31
	s_ashr_i32 s43, s10, 31
	v_lshlrev_b64 v[0:1], 3, v[0:1]
	s_mul_i32 s8, s39, s15
	v_lshlrev_b64 v[12:13], 3, v[4:5]
	s_add_u32 s18, s9, -16
	v_cmp_le_i32_e64 s0, s9, v4
	s_addc_u32 s19, s13, -1
	v_add_co_u32 v0, vcc_lo, s2, v0
	v_add_co_ci_u32_e32 v1, vcc_lo, s3, v1, vcc_lo
	v_cmp_gt_i32_e64 s2, s9, v4
	s_delay_alu instid0(VALU_DEP_3) | instskip(NEXT) | instid1(VALU_DEP_3)
	v_add_co_u32 v35, vcc_lo, v0, v2
	v_add_co_ci_u32_e32 v36, vcc_lo, v1, v3, vcc_lo
	v_cmp_gt_i32_e64 s3, s9, v8
	s_add_i32 s9, s22, s8
	s_mul_i32 s8, s38, s15
	v_sub_co_u32 v14, vcc_lo, v4, v6
	s_lshl_b64 s[8:9], s[8:9], 3
	s_lshl_b64 s[22:23], s[30:31], 3
	v_sub_co_ci_u32_e32 v15, vcc_lo, v5, v7, vcc_lo
	s_add_u32 s8, s8, s22
	v_add_co_u32 v20, vcc_lo, 0x80, v12
	s_addc_u32 s9, s9, s23
	v_add_co_ci_u32_e32 v21, vcc_lo, 0, v13, vcc_lo
	s_add_u32 s8, s28, s8
	s_addc_u32 s15, s29, s9
	s_lshl_b64 s[22:23], s[36:37], 3
	s_lshl_b32 s9, s26, 5
	s_add_u32 s4, s6, s4
	s_addc_u32 s5, s7, s5
	v_mul_lo_u32 v22, s24, v21
	v_mul_lo_u32 v23, s25, v20
	v_mad_u64_u32 v[0:1], null, s24, v20, s[4:5]
	v_add_co_u32 v16, vcc_lo, v14, 16
	v_add_co_ci_u32_e32 v17, vcc_lo, 0, v15, vcc_lo
	v_add_co_u32 v18, vcc_lo, v14, -16
	v_add_co_ci_u32_e32 v19, vcc_lo, -1, v15, vcc_lo
	v_add3_u32 v1, v23, v1, v22
	v_add_co_u32 v20, vcc_lo, v20, s8
	v_add_co_ci_u32_e32 v21, vcc_lo, s15, v21, vcc_lo
	v_add_co_u32 v0, vcc_lo, v0, v2
	s_delay_alu instid0(VALU_DEP_4) | instskip(SKIP_1) | instid1(VALU_DEP_3)
	v_add_co_ci_u32_e32 v1, vcc_lo, v1, v3, vcc_lo
	v_cmp_le_i64_e64 s1, s[12:13], v[10:11]
	v_add_co_u32 v37, vcc_lo, s20, v0
	v_ashrrev_i32_e32 v9, 31, v8
	v_lshl_add_u32 v22, s14, 5, v30
	v_add_co_ci_u32_e32 v38, vcc_lo, s21, v1, vcc_lo
	s_branch .LBB76_4
.LBB76_3:                               ;   in Loop: Header=BB76_4 Depth=1
	s_or_b32 exec_lo, exec_lo, s4
	v_add_nc_u32_e32 v22, s9, v22
	s_add_i32 s14, s26, s14
	s_delay_alu instid0(SALU_CYCLE_1)
	s_cmp_le_i32 s14, s11
	s_cbranch_scc0 .LBB76_63
.LBB76_4:                               ; =>This Loop Header: Depth=1
                                        ;     Child Loop BB76_7 Depth 2
	v_lshl_add_u32 v39, s14, 5, v30
	v_mov_b32_e32 v46, v25
	v_mov_b32_e32 v47, v25
	v_mov_b32_e32 v44, v25
	v_mov_b32_e32 v45, v25
	v_ashrrev_i32_e32 v40, 31, v39
	v_mov_b32_e32 v43, v25
	v_mov_b32_e32 v42, v25
	;; [unrolled: 1-line block ×4, first 2 shown]
	s_and_not1_b32 vcc_lo, exec_lo, s41
	s_cbranch_vccnz .LBB76_55
; %bb.5:                                ;   in Loop: Header=BB76_4 Depth=1
	v_ashrrev_i32_e32 v23, 31, v22
	v_mad_u64_u32 v[26:27], null, s22, v22, v[20:21]
	v_mul_lo_u32 v2, s23, v22
	v_mov_b32_e32 v41, 0
	s_delay_alu instid0(VALU_DEP_4) | instskip(SKIP_4) | instid1(VALU_DEP_4)
	v_lshlrev_b64 v[0:1], 3, v[22:23]
	v_mul_lo_u32 v43, s22, v23
	v_dual_mov_b32 v23, 0 :: v_dual_mov_b32 v42, 0
	v_mov_b32_e32 v47, 0
	s_mov_b64 s[20:21], 0
	v_add_co_u32 v3, vcc_lo, 0x80, v0
	v_add_co_ci_u32_e32 v28, vcc_lo, 0, v1, vcc_lo
	v_sub_co_u32 v0, vcc_lo, s10, v39
	s_delay_alu instid0(VALU_DEP_3) | instskip(NEXT) | instid1(VALU_DEP_3)
	v_mul_lo_u32 v45, s37, v3
	v_mul_lo_u32 v44, s36, v28
	v_mad_u64_u32 v[28:29], null, s36, v3, v[20:21]
	v_sub_co_ci_u32_e32 v1, vcc_lo, s43, v40, vcc_lo
	v_add3_u32 v27, v2, v27, v43
	v_dual_mov_b32 v43, 0 :: v_dual_mov_b32 v46, 0
	s_delay_alu instid0(VALU_DEP_3)
	v_cmp_lt_i64_e32 vcc_lo, 0, v[0:1]
	v_cmp_lt_i64_e64 s4, 16, v[0:1]
	v_add3_u32 v29, v45, v29, v44
	v_dual_mov_b32 v45, 0 :: v_dual_mov_b32 v44, 0
	s_mov_b64 s[24:25], 0
	s_branch .LBB76_7
.LBB76_6:                               ;   in Loop: Header=BB76_7 Depth=2
	s_or_b32 exec_lo, exec_lo, s6
	s_waitcnt lgkmcnt(0)
	s_waitcnt_vscnt null, 0x0
	s_barrier
	buffer_gl0_inv
	ds_load_2addr_b64 v[48:51], v31 offset1:16
	ds_load_b128 v[52:55], v32
	ds_load_b128 v[56:59], v32 offset:4096
	ds_load_b128 v[60:63], v32 offset:16
	;; [unrolled: 1-line block ×4, first 2 shown]
	ds_load_2addr_b64 v[68:71], v31 offset0:32 offset1:48
	ds_load_b128 v[72:75], v32 offset:4112
	s_add_u32 s24, s24, 32
	s_addc_u32 s25, s25, 0
	s_add_u32 s20, s20, 0x100
	s_addc_u32 s21, s21, 0
	s_cmp_ge_i32 s24, s40
	s_waitcnt lgkmcnt(6)
	v_dual_mul_f32 v76, v53, v49 :: v_dual_mul_f32 v79, v52, v51
	v_dual_mul_f32 v77, v52, v49 :: v_dual_mul_f32 v78, v53, v51
	s_waitcnt lgkmcnt(5)
	v_mul_f32_e32 v80, v57, v49
	s_delay_alu instid0(VALU_DEP_3)
	v_fma_f32 v76, v52, v48, -v76
	v_mul_f32_e32 v49, v56, v49
	v_fmac_f32_e32 v77, v53, v48
	v_fma_f32 v52, v52, v50, -v78
	v_mul_f32_e32 v81, v57, v51
	v_mul_f32_e32 v51, v56, v51
	v_fmac_f32_e32 v79, v53, v50
	v_fma_f32 v53, v56, v48, -v80
	v_add_f32_e32 v46, v46, v76
	v_fmac_f32_e32 v49, v57, v48
	v_add_f32_e32 v52, v44, v52
	v_fma_f32 v48, v56, v50, -v81
	s_waitcnt lgkmcnt(1)
	v_dual_mul_f32 v56, v55, v69 :: v_dual_fmac_f32 v51, v57, v50
	v_dual_mul_f32 v50, v54, v69 :: v_dual_mul_f32 v57, v55, v71
	s_delay_alu instid0(VALU_DEP_3) | instskip(NEXT) | instid1(VALU_DEP_3)
	v_dual_add_f32 v47, v47, v77 :: v_dual_add_f32 v48, v41, v48
	v_fma_f32 v56, v54, v68, -v56
	s_delay_alu instid0(VALU_DEP_3)
	v_dual_add_f32 v45, v45, v79 :: v_dual_fmac_f32 v50, v55, v68
	v_add_f32_e32 v53, v43, v53
	v_add_f32_e32 v23, v23, v51
	v_mul_f32_e32 v51, v54, v71
	v_add_f32_e32 v56, v46, v56
	v_fma_f32 v46, v54, v70, -v57
	v_mul_f32_e32 v54, v59, v69
	v_dual_add_f32 v49, v42, v49 :: v_dual_add_f32 v50, v47, v50
	ds_load_2addr_b64 v[41:44], v31 offset0:64 offset1:80
	v_fmac_f32_e32 v51, v55, v70
	v_add_f32_e32 v52, v52, v46
	v_fma_f32 v46, v58, v68, -v54
	v_mul_f32_e32 v54, v59, v71
	v_mul_f32_e32 v55, v58, v71
	v_add_f32_e32 v51, v45, v51
	v_mul_f32_e32 v47, v58, v69
	s_delay_alu instid0(VALU_DEP_4) | instskip(NEXT) | instid1(VALU_DEP_4)
	v_fma_f32 v45, v58, v70, -v54
	v_fmac_f32_e32 v55, v59, v70
	s_delay_alu instid0(VALU_DEP_2) | instskip(SKIP_2) | instid1(VALU_DEP_1)
	v_add_f32_e32 v57, v48, v45
	s_waitcnt lgkmcnt(0)
	v_mul_f32_e32 v54, v60, v42
	v_fmac_f32_e32 v54, v61, v41
	s_delay_alu instid0(VALU_DEP_1) | instskip(SKIP_4) | instid1(VALU_DEP_3)
	v_add_f32_e32 v50, v50, v54
	v_add_f32_e32 v53, v53, v46
	v_dual_mul_f32 v46, v61, v42 :: v_dual_add_f32 v23, v23, v55
	v_mul_f32_e32 v54, v73, v42
	v_mul_f32_e32 v42, v72, v42
	v_fma_f32 v58, v60, v41, -v46
	s_delay_alu instid0(VALU_DEP_3) | instskip(NEXT) | instid1(VALU_DEP_2)
	v_fma_f32 v54, v72, v41, -v54
	v_dual_fmac_f32 v42, v73, v41 :: v_dual_add_f32 v55, v56, v58
	v_mul_f32_e32 v56, v60, v44
	v_fmac_f32_e32 v47, v59, v68
	v_mul_f32_e32 v59, v61, v44
	s_delay_alu instid0(VALU_DEP_3) | instskip(NEXT) | instid1(VALU_DEP_2)
	v_fmac_f32_e32 v56, v61, v43
	v_fma_f32 v58, v60, v43, -v59
	s_delay_alu instid0(VALU_DEP_4)
	v_add_f32_e32 v49, v49, v47
	ds_load_2addr_b64 v[45:48], v31 offset0:96 offset1:112
	v_dual_add_f32 v56, v51, v56 :: v_dual_add_f32 v53, v53, v54
	v_add_f32_e32 v52, v52, v58
	v_mul_f32_e32 v58, v73, v44
	v_dual_mul_f32 v59, v72, v44 :: v_dual_add_f32 v54, v49, v42
	s_delay_alu instid0(VALU_DEP_2) | instskip(SKIP_1) | instid1(VALU_DEP_1)
	v_fma_f32 v41, v72, v43, -v58
	s_waitcnt lgkmcnt(0)
	v_dual_add_f32 v57, v57, v41 :: v_dual_mul_f32 v58, v63, v48
	v_mul_f32_e32 v49, v63, v46
	v_mul_f32_e32 v51, v62, v46
	s_delay_alu instid0(VALU_DEP_3) | instskip(SKIP_4) | instid1(VALU_DEP_1)
	v_fma_f32 v58, v62, v47, -v58
	v_fmac_f32_e32 v59, v73, v43
	ds_load_2addr_b64 v[41:44], v31 offset0:128 offset1:144
	v_dual_add_f32 v58, v52, v58 :: v_dual_add_f32 v23, v23, v59
	v_mul_f32_e32 v59, v62, v48
	v_fmac_f32_e32 v59, v63, v47
	s_delay_alu instid0(VALU_DEP_1)
	v_dual_add_f32 v59, v56, v59 :: v_dual_mul_f32 v56, v74, v48
	v_fma_f32 v49, v62, v45, -v49
	v_mul_f32_e32 v62, v75, v48
	s_waitcnt lgkmcnt(0)
	v_mul_f32_e32 v48, v65, v42
	v_fmac_f32_e32 v56, v75, v47
	v_add_f32_e32 v55, v55, v49
	v_mul_f32_e32 v49, v75, v46
	v_dual_mul_f32 v46, v74, v46 :: v_dual_mul_f32 v69, v64, v44
	s_delay_alu instid0(VALU_DEP_2) | instskip(NEXT) | instid1(VALU_DEP_2)
	v_fma_f32 v61, v74, v45, -v49
	v_fmac_f32_e32 v46, v75, v45
	v_fmac_f32_e32 v51, v63, v45
	v_fma_f32 v45, v74, v47, -v62
	s_delay_alu instid0(VALU_DEP_3) | instskip(NEXT) | instid1(VALU_DEP_3)
	v_dual_add_f32 v61, v53, v61 :: v_dual_add_f32 v62, v54, v46
	v_add_f32_e32 v60, v50, v51
	ds_load_b128 v[49:52], v32 offset:4128
	v_fma_f32 v53, v64, v41, -v48
	v_dual_mul_f32 v54, v65, v44 :: v_dual_mul_f32 v63, v64, v42
	v_add_f32_e32 v23, v23, v56
	s_delay_alu instid0(VALU_DEP_3) | instskip(NEXT) | instid1(VALU_DEP_3)
	v_add_f32_e32 v68, v55, v53
	v_fma_f32 v64, v64, v43, -v54
	ds_load_b128 v[53:56], v32 offset:4144
	v_add_f32_e32 v57, v57, v45
	ds_load_2addr_b64 v[45:48], v31 offset0:160 offset1:176
	v_dual_fmac_f32 v69, v65, v43 :: v_dual_add_f32 v58, v58, v64
	s_waitcnt lgkmcnt(2)
	v_mul_f32_e32 v70, v50, v42
	v_mul_f32_e32 v42, v49, v42
	;; [unrolled: 1-line block ×3, first 2 shown]
	s_delay_alu instid0(VALU_DEP_2) | instskip(SKIP_3) | instid1(VALU_DEP_2)
	v_fmac_f32_e32 v42, v50, v41
	v_fmac_f32_e32 v63, v65, v41
	s_waitcnt lgkmcnt(0)
	v_dual_mul_f32 v65, v49, v44 :: v_dual_mul_f32 v44, v67, v46
	v_add_f32_e32 v60, v60, v63
	s_delay_alu instid0(VALU_DEP_2) | instskip(SKIP_4) | instid1(VALU_DEP_4)
	v_fmac_f32_e32 v65, v50, v43
	v_mul_f32_e32 v50, v66, v46
	v_fma_f32 v63, v49, v41, -v70
	v_fma_f32 v41, v49, v43, -v64
	v_mul_f32_e32 v64, v66, v48
	v_dual_add_f32 v49, v62, v42 :: v_dual_fmac_f32 v50, v67, v45
	s_delay_alu instid0(VALU_DEP_4) | instskip(NEXT) | instid1(VALU_DEP_4)
	v_add_f32_e32 v61, v61, v63
	v_add_f32_e32 v57, v57, v41
	v_fma_f32 v62, v66, v45, -v44
	s_delay_alu instid0(VALU_DEP_4) | instskip(SKIP_2) | instid1(VALU_DEP_4)
	v_dual_add_f32 v59, v59, v69 :: v_dual_add_f32 v50, v60, v50
	v_mul_f32_e32 v60, v52, v46
	v_mul_f32_e32 v46, v51, v46
	v_dual_add_f32 v62, v68, v62 :: v_dual_mul_f32 v63, v67, v48
	ds_load_2addr_b64 v[41:44], v31 offset0:192 offset1:208
	v_fmac_f32_e32 v64, v67, v47
	v_fmac_f32_e32 v46, v52, v45
	v_fma_f32 v60, v51, v45, -v60
	v_fma_f32 v63, v66, v47, -v63
	v_add_f32_e32 v23, v23, v65
	v_add_f32_e32 v59, v59, v64
	v_dual_mul_f32 v64, v51, v48 :: v_dual_add_f32 v49, v49, v46
	s_delay_alu instid0(VALU_DEP_4) | instskip(NEXT) | instid1(VALU_DEP_2)
	v_dual_add_f32 v58, v58, v63 :: v_dual_mul_f32 v63, v52, v48
	v_fmac_f32_e32 v64, v52, v47
	s_delay_alu instid0(VALU_DEP_2) | instskip(SKIP_1) | instid1(VALU_DEP_1)
	v_fma_f32 v45, v51, v47, -v63
	s_waitcnt lgkmcnt(0)
	v_dual_add_f32 v52, v57, v45 :: v_dual_mul_f32 v57, v0, v42
	ds_load_2addr_b64 v[45:48], v31 offset0:224 offset1:240
	v_add_f32_e32 v51, v61, v60
	v_mul_f32_e32 v60, v1, v42
	v_mul_f32_e32 v61, v1, v44
	;; [unrolled: 1-line block ×3, first 2 shown]
	s_delay_alu instid0(VALU_DEP_3) | instskip(SKIP_1) | instid1(VALU_DEP_4)
	v_fma_f32 v60, v0, v41, -v60
	v_fmac_f32_e32 v57, v1, v41
	v_fma_f32 v0, v0, v43, -v61
	v_mul_f32_e32 v61, v54, v42
	v_fmac_f32_e32 v63, v1, v43
	v_dual_mul_f32 v1, v53, v42 :: v_dual_mul_f32 v42, v54, v44
	s_delay_alu instid0(VALU_DEP_4) | instskip(NEXT) | instid1(VALU_DEP_4)
	v_add_f32_e32 v58, v58, v0
	v_fma_f32 v0, v53, v41, -v61
	v_mul_f32_e32 v61, v53, v44
	s_delay_alu instid0(VALU_DEP_4)
	v_fmac_f32_e32 v1, v54, v41
	v_fma_f32 v41, v53, v43, -v42
	v_add_f32_e32 v60, v62, v60
	s_waitcnt lgkmcnt(0)
	v_mul_f32_e32 v42, v3, v46
	v_add_f32_e32 v62, v51, v0
	v_dual_add_f32 v53, v52, v41 :: v_dual_add_nc_u32 v0, 0x800, v31
	v_fmac_f32_e32 v61, v54, v43
	s_delay_alu instid0(VALU_DEP_4)
	v_fma_f32 v54, v2, v45, -v42
	v_add_f32_e32 v23, v23, v64
	v_dual_add_f32 v57, v50, v57 :: v_dual_mul_f32 v64, v3, v48
	v_add_f32_e32 v1, v49, v1
	ds_load_2addr_b64 v[41:44], v0 offset1:16
	ds_load_b128 v[49:52], v32 offset:64
	v_dual_add_f32 v54, v60, v54 :: v_dual_add_f32 v23, v23, v61
	v_mul_f32_e32 v61, v2, v48
	v_dual_add_f32 v59, v59, v63 :: v_dual_mul_f32 v60, v56, v46
	s_delay_alu instid0(VALU_DEP_2) | instskip(SKIP_2) | instid1(VALU_DEP_3)
	v_fmac_f32_e32 v61, v3, v47
	v_mul_f32_e32 v63, v2, v46
	v_fma_f32 v2, v2, v47, -v64
	v_add_f32_e32 v66, v59, v61
	s_delay_alu instid0(VALU_DEP_3) | instskip(SKIP_1) | instid1(VALU_DEP_4)
	v_fmac_f32_e32 v63, v3, v45
	v_mul_f32_e32 v3, v55, v46
	v_add_f32_e32 v2, v58, v2
	v_fma_f32 v46, v55, v45, -v60
	s_delay_alu instid0(VALU_DEP_4)
	v_add_f32_e32 v65, v57, v63
	v_mul_f32_e32 v63, v56, v48
	v_fmac_f32_e32 v3, v56, v45
	ds_load_b128 v[57:60], v32 offset:4160
	s_waitcnt lgkmcnt(1)
	v_mul_f32_e32 v70, v49, v44
	v_fma_f32 v45, v55, v47, -v63
	s_delay_alu instid0(VALU_DEP_2) | instskip(NEXT) | instid1(VALU_DEP_2)
	v_dual_mul_f32 v55, v55, v48 :: v_dual_fmac_f32 v70, v50, v43
	v_dual_add_f32 v68, v53, v45 :: v_dual_add_f32 v67, v62, v46
	v_mul_f32_e32 v46, v50, v42
	ds_load_b128 v[61:64], v32 offset:80
	v_dual_fmac_f32 v55, v56, v47 :: v_dual_mul_f32 v56, v50, v44
	v_fma_f32 v53, v49, v41, -v46
	ds_load_2addr_b64 v[45:48], v0 offset0:32 offset1:48
	v_add_f32_e32 v1, v1, v3
	v_mul_f32_e32 v3, v49, v42
	v_fma_f32 v49, v49, v43, -v56
	s_delay_alu instid0(VALU_DEP_2) | instskip(NEXT) | instid1(VALU_DEP_2)
	v_fmac_f32_e32 v3, v50, v41
	v_add_f32_e32 v2, v2, v49
	s_waitcnt lgkmcnt(2)
	v_mul_f32_e32 v49, v58, v44
	s_delay_alu instid0(VALU_DEP_3) | instskip(SKIP_2) | instid1(VALU_DEP_2)
	v_add_f32_e32 v3, v65, v3
	v_mul_f32_e32 v65, v58, v42
	v_dual_mul_f32 v42, v57, v42 :: v_dual_add_f32 v23, v23, v55
	v_fma_f32 v50, v57, v41, -v65
	v_dual_add_f32 v65, v66, v70 :: v_dual_mul_f32 v66, v57, v44
	s_delay_alu instid0(VALU_DEP_3) | instskip(SKIP_1) | instid1(VALU_DEP_4)
	v_fmac_f32_e32 v42, v58, v41
	v_fma_f32 v41, v57, v43, -v49
	v_add_f32_e32 v49, v67, v50
	s_waitcnt lgkmcnt(0)
	v_mul_f32_e32 v44, v52, v46
	v_dual_fmac_f32 v66, v58, v43 :: v_dual_mul_f32 v67, v52, v48
	v_dual_mul_f32 v57, v51, v46 :: v_dual_add_f32 v50, v68, v41
	s_delay_alu instid0(VALU_DEP_3) | instskip(NEXT) | instid1(VALU_DEP_3)
	v_fma_f32 v58, v51, v45, -v44
	v_add_f32_e32 v23, v23, v66
	v_mul_f32_e32 v66, v51, v48
	v_fma_f32 v51, v51, v47, -v67
	v_mul_f32_e32 v67, v60, v46
	v_dual_mul_f32 v46, v59, v46 :: v_dual_fmac_f32 v57, v52, v45
	s_delay_alu instid0(VALU_DEP_4) | instskip(NEXT) | instid1(VALU_DEP_4)
	v_fmac_f32_e32 v66, v52, v47
	v_dual_add_f32 v2, v2, v51 :: v_dual_add_f32 v1, v1, v42
	ds_load_2addr_b64 v[41:44], v0 offset0:64 offset1:80
	v_fma_f32 v51, v59, v45, -v67
	v_fmac_f32_e32 v46, v60, v45
	v_mul_f32_e32 v45, v60, v48
	v_add_f32_e32 v69, v54, v53
	ds_load_b128 v[53:56], v32 offset:4176
	v_add_f32_e32 v3, v3, v57
	v_mul_f32_e32 v57, v59, v48
	v_add_f32_e32 v49, v49, v51
	v_fma_f32 v51, v59, v47, -v45
	v_add_f32_e32 v58, v69, v58
	s_delay_alu instid0(VALU_DEP_4) | instskip(NEXT) | instid1(VALU_DEP_1)
	v_dual_add_f32 v52, v65, v66 :: v_dual_fmac_f32 v57, v60, v47
	v_dual_add_f32 v50, v50, v51 :: v_dual_add_f32 v23, v23, v57
	s_waitcnt lgkmcnt(1)
	v_mul_f32_e32 v59, v62, v42
	v_mul_f32_e32 v65, v61, v44
	;; [unrolled: 1-line block ×3, first 2 shown]
	s_delay_alu instid0(VALU_DEP_3) | instskip(SKIP_1) | instid1(VALU_DEP_4)
	v_fma_f32 v51, v61, v41, -v59
	v_mul_f32_e32 v59, v62, v44
	v_fmac_f32_e32 v65, v62, v43
	s_delay_alu instid0(VALU_DEP_4) | instskip(NEXT) | instid1(VALU_DEP_4)
	v_fmac_f32_e32 v60, v62, v41
	v_add_f32_e32 v57, v58, v51
	s_delay_alu instid0(VALU_DEP_4) | instskip(SKIP_3) | instid1(VALU_DEP_3)
	v_fma_f32 v51, v61, v43, -v59
	s_waitcnt lgkmcnt(0)
	v_dual_mul_f32 v58, v54, v42 :: v_dual_add_f32 v59, v52, v65
	v_mul_f32_e32 v42, v53, v42
	v_dual_add_f32 v2, v2, v51 :: v_dual_add_f32 v1, v1, v46
	ds_load_2addr_b64 v[45:48], v0 offset0:96 offset1:112
	v_fma_f32 v52, v53, v41, -v58
	v_mul_f32_e32 v58, v53, v44
	v_mul_f32_e32 v51, v54, v44
	v_fmac_f32_e32 v42, v54, v41
	s_delay_alu instid0(VALU_DEP_3) | instskip(NEXT) | instid1(VALU_DEP_3)
	v_fmac_f32_e32 v58, v54, v43
	v_fma_f32 v41, v53, v43, -v51
	s_delay_alu instid0(VALU_DEP_1)
	v_dual_add_f32 v23, v23, v58 :: v_dual_add_f32 v54, v50, v41
	s_waitcnt lgkmcnt(0)
	v_mul_f32_e32 v44, v64, v46
	v_mul_f32_e32 v62, v64, v48
	;; [unrolled: 1-line block ×4, first 2 shown]
	s_delay_alu instid0(VALU_DEP_3) | instskip(NEXT) | instid1(VALU_DEP_3)
	v_fma_f32 v62, v63, v47, -v62
	v_dual_fmac_f32 v58, v64, v47 :: v_dual_add_f32 v3, v3, v60
	v_fma_f32 v60, v63, v45, -v44
	s_delay_alu instid0(VALU_DEP_3) | instskip(SKIP_1) | instid1(VALU_DEP_3)
	v_add_f32_e32 v2, v2, v62
	v_dual_mul_f32 v62, v56, v48 :: v_dual_add_f32 v1, v1, v42
	v_add_f32_e32 v65, v57, v60
	v_mul_f32_e32 v57, v56, v46
	v_dual_mul_f32 v46, v55, v46 :: v_dual_add_f32 v53, v49, v52
	ds_load_2addr_b64 v[41:44], v0 offset0:128 offset1:144
	ds_load_b128 v[49:52], v32 offset:96
	v_add_f32_e32 v66, v59, v58
	v_fmac_f32_e32 v46, v56, v45
	s_waitcnt lgkmcnt(0)
	v_mul_f32_e32 v70, v49, v44
	s_delay_alu instid0(VALU_DEP_1) | instskip(NEXT) | instid1(VALU_DEP_1)
	v_dual_mul_f32 v69, v49, v42 :: v_dual_fmac_f32 v70, v50, v43
	v_dual_fmac_f32 v61, v64, v45 :: v_dual_add_f32 v66, v66, v70
	s_delay_alu instid0(VALU_DEP_1)
	v_add_f32_e32 v3, v3, v61
	v_fma_f32 v61, v55, v45, -v57
	ds_load_b128 v[57:60], v32 offset:4192
	v_fma_f32 v45, v55, v47, -v62
	v_add_f32_e32 v67, v53, v61
	ds_load_b128 v[61:64], v32 offset:112
	v_dual_mul_f32 v53, v55, v48 :: v_dual_mul_f32 v48, v50, v42
	v_add_f32_e32 v68, v54, v45
	v_mul_f32_e32 v55, v50, v44
	v_fmac_f32_e32 v69, v50, v41
	s_delay_alu instid0(VALU_DEP_4) | instskip(SKIP_1) | instid1(VALU_DEP_4)
	v_fmac_f32_e32 v53, v56, v47
	v_fma_f32 v54, v49, v41, -v48
	v_fma_f32 v49, v49, v43, -v55
	s_delay_alu instid0(VALU_DEP_4) | instskip(NEXT) | instid1(VALU_DEP_2)
	v_add_f32_e32 v3, v3, v69
	v_add_f32_e32 v2, v2, v49
	s_waitcnt lgkmcnt(1)
	v_mul_f32_e32 v71, v58, v42
	v_mul_f32_e32 v42, v57, v42
	;; [unrolled: 1-line block ×4, first 2 shown]
	s_delay_alu instid0(VALU_DEP_4) | instskip(NEXT) | instid1(VALU_DEP_4)
	v_fma_f32 v49, v57, v41, -v71
	v_dual_fmac_f32 v42, v58, v41 :: v_dual_add_f32 v1, v1, v46
	ds_load_2addr_b64 v[45:48], v0 offset0:160 offset1:176
	v_fma_f32 v41, v57, v43, -v50
	v_fmac_f32_e32 v69, v58, v43
	v_add_f32_e32 v1, v1, v42
	s_delay_alu instid0(VALU_DEP_3) | instskip(SKIP_3) | instid1(VALU_DEP_2)
	v_add_f32_e32 v57, v68, v41
	s_waitcnt lgkmcnt(0)
	v_mul_f32_e32 v44, v52, v46
	v_mul_f32_e32 v50, v51, v46
	v_fma_f32 v58, v51, v45, -v44
	ds_load_2addr_b64 v[41:44], v0 offset0:192 offset1:208
	v_fmac_f32_e32 v50, v52, v45
	s_delay_alu instid0(VALU_DEP_1)
	v_add_f32_e32 v3, v3, v50
	v_mul_f32_e32 v50, v60, v46
	v_add_f32_e32 v65, v65, v54
	v_mul_f32_e32 v46, v59, v46
	;; [unrolled: 2-line block ×3, first 2 shown]
	v_fma_f32 v50, v59, v45, -v50
	v_dual_add_f32 v58, v65, v58 :: v_dual_mul_f32 v65, v51, v48
	v_fmac_f32_e32 v46, v60, v45
	s_delay_alu instid0(VALU_DEP_4) | instskip(NEXT) | instid1(VALU_DEP_4)
	v_fma_f32 v51, v51, v47, -v67
	v_add_f32_e32 v49, v49, v50
	s_waitcnt lgkmcnt(0)
	v_dual_fmac_f32 v65, v52, v47 :: v_dual_mul_f32 v50, v62, v42
	s_delay_alu instid0(VALU_DEP_3) | instskip(NEXT) | instid1(VALU_DEP_2)
	v_dual_add_f32 v2, v2, v51 :: v_dual_mul_f32 v51, v60, v48
	v_dual_add_f32 v1, v1, v46 :: v_dual_add_f32 v52, v66, v65
	v_mul_f32_e32 v65, v59, v48
	s_delay_alu instid0(VALU_DEP_3) | instskip(SKIP_1) | instid1(VALU_DEP_3)
	v_fma_f32 v45, v59, v47, -v51
	v_mul_f32_e32 v59, v61, v44
	v_fmac_f32_e32 v65, v60, v47
	s_delay_alu instid0(VALU_DEP_3) | instskip(SKIP_4) | instid1(VALU_DEP_3)
	v_add_f32_e32 v51, v57, v45
	ds_load_2addr_b64 v[45:48], v0 offset0:224 offset1:240
	v_fma_f32 v0, v61, v41, -v50
	v_dual_mul_f32 v50, v62, v44 :: v_dual_mul_f32 v57, v61, v42
	v_fmac_f32_e32 v59, v62, v43
	v_dual_add_f32 v58, v58, v0 :: v_dual_add_f32 v23, v23, v53
	ds_load_b128 v[53:56], v32 offset:4208
	v_fma_f32 v0, v61, v43, -v50
	v_fmac_f32_e32 v57, v62, v41
	s_delay_alu instid0(VALU_DEP_1) | instskip(SKIP_3) | instid1(VALU_DEP_2)
	v_dual_add_f32 v2, v2, v0 :: v_dual_add_f32 v3, v3, v57
	s_waitcnt lgkmcnt(1)
	v_dual_add_f32 v57, v52, v59 :: v_dual_mul_f32 v60, v63, v46
	v_mul_f32_e32 v62, v64, v48
	v_fmac_f32_e32 v60, v64, v45
	s_waitcnt lgkmcnt(0)
	v_mul_f32_e32 v50, v54, v42
	v_mul_f32_e32 v42, v53, v42
	;; [unrolled: 1-line block ×3, first 2 shown]
	v_add_f32_e32 v23, v23, v69
	s_delay_alu instid0(VALU_DEP_4) | instskip(SKIP_3) | instid1(VALU_DEP_4)
	v_fma_f32 v0, v53, v41, -v50
	v_mul_f32_e32 v50, v54, v44
	v_fmac_f32_e32 v42, v54, v41
	v_dual_mul_f32 v44, v64, v46 :: v_dual_fmac_f32 v59, v54, v43
	v_add_f32_e32 v61, v49, v0
	s_delay_alu instid0(VALU_DEP_4) | instskip(NEXT) | instid1(VALU_DEP_4)
	v_fma_f32 v41, v53, v43, -v50
	v_dual_add_f32 v1, v1, v42 :: v_dual_add_nc_u32 v0, 0x1000, v31
	s_delay_alu instid0(VALU_DEP_4) | instskip(NEXT) | instid1(VALU_DEP_3)
	v_fma_f32 v54, v63, v45, -v44
	v_add_f32_e32 v53, v51, v41
	ds_load_2addr_b64 v[41:44], v0 offset1:16
	ds_load_b128 v[49:52], v32 offset:128
	v_add_f32_e32 v54, v58, v54
	v_fma_f32 v58, v63, v47, -v62
	v_mul_f32_e32 v62, v56, v46
	v_mul_f32_e32 v46, v55, v46
	s_delay_alu instid0(VALU_DEP_3) | instskip(NEXT) | instid1(VALU_DEP_3)
	v_add_f32_e32 v2, v2, v58
	v_fma_f32 v62, v55, v45, -v62
	s_delay_alu instid0(VALU_DEP_3) | instskip(NEXT) | instid1(VALU_DEP_2)
	v_fmac_f32_e32 v46, v56, v45
	v_add_f32_e32 v66, v61, v62
	s_delay_alu instid0(VALU_DEP_2) | instskip(SKIP_2) | instid1(VALU_DEP_1)
	v_add_f32_e32 v1, v1, v46
	s_waitcnt lgkmcnt(0)
	v_dual_mul_f32 v70, v49, v44 :: v_dual_add_f32 v23, v23, v65
	v_dual_mul_f32 v67, v49, v42 :: v_dual_fmac_f32 v70, v50, v43
	s_delay_alu instid0(VALU_DEP_2) | instskip(SKIP_2) | instid1(VALU_DEP_1)
	v_add_f32_e32 v23, v23, v59
	v_mul_f32_e32 v59, v63, v48
	v_mul_f32_e32 v63, v56, v48
	v_fma_f32 v45, v55, v47, -v63
	v_dual_mul_f32 v55, v55, v48 :: v_dual_mul_f32 v48, v50, v42
	s_delay_alu instid0(VALU_DEP_1) | instskip(NEXT) | instid1(VALU_DEP_2)
	v_dual_add_f32 v68, v53, v45 :: v_dual_fmac_f32 v55, v56, v47
	v_fma_f32 v53, v49, v41, -v48
	s_delay_alu instid0(VALU_DEP_2) | instskip(NEXT) | instid1(VALU_DEP_2)
	v_dual_mul_f32 v56, v50, v44 :: v_dual_add_f32 v23, v23, v55
	v_add_f32_e32 v69, v54, v53
	s_delay_alu instid0(VALU_DEP_2)
	v_fma_f32 v49, v49, v43, -v56
	ds_load_b128 v[53:56], v32 offset:4240
	v_fmac_f32_e32 v59, v64, v47
	v_add_f32_e32 v3, v3, v60
	ds_load_2addr_b64 v[45:48], v0 offset0:32 offset1:48
	ds_load_b128 v[61:64], v32 offset:144
	v_fmac_f32_e32 v67, v50, v41
	v_add_f32_e32 v65, v57, v59
	ds_load_b128 v[57:60], v32 offset:4224
	v_dual_add_f32 v2, v2, v49 :: v_dual_add_f32 v3, v3, v67
	v_add_f32_e32 v65, v65, v70
	s_waitcnt lgkmcnt(0)
	v_mul_f32_e32 v67, v58, v42
	v_dual_mul_f32 v42, v57, v42 :: v_dual_mul_f32 v49, v58, v44
	s_delay_alu instid0(VALU_DEP_2) | instskip(NEXT) | instid1(VALU_DEP_2)
	v_fma_f32 v50, v57, v41, -v67
	v_dual_fmac_f32 v42, v58, v41 :: v_dual_mul_f32 v67, v57, v44
	s_delay_alu instid0(VALU_DEP_3) | instskip(SKIP_1) | instid1(VALU_DEP_4)
	v_fma_f32 v41, v57, v43, -v49
	v_mul_f32_e32 v44, v52, v46
	v_add_f32_e32 v49, v66, v50
	s_delay_alu instid0(VALU_DEP_4) | instskip(NEXT) | instid1(VALU_DEP_4)
	v_add_f32_e32 v1, v1, v42
	v_dual_fmac_f32 v67, v58, v43 :: v_dual_add_f32 v50, v68, v41
	s_delay_alu instid0(VALU_DEP_4) | instskip(SKIP_4) | instid1(VALU_DEP_3)
	v_fma_f32 v58, v51, v45, -v44
	ds_load_2addr_b64 v[41:44], v0 offset0:64 offset1:80
	v_dual_mul_f32 v57, v51, v46 :: v_dual_mul_f32 v66, v52, v48
	v_add_f32_e32 v23, v23, v67
	v_dual_mul_f32 v67, v51, v48 :: v_dual_add_f32 v58, v69, v58
	v_fmac_f32_e32 v57, v52, v45
	s_delay_alu instid0(VALU_DEP_4) | instskip(SKIP_1) | instid1(VALU_DEP_4)
	v_fma_f32 v51, v51, v47, -v66
	v_mul_f32_e32 v66, v60, v46
	v_dual_mul_f32 v46, v59, v46 :: v_dual_fmac_f32 v67, v52, v47
	s_delay_alu instid0(VALU_DEP_3) | instskip(NEXT) | instid1(VALU_DEP_3)
	v_dual_add_f32 v3, v3, v57 :: v_dual_add_f32 v2, v2, v51
	v_fma_f32 v51, v59, v45, -v66
	s_delay_alu instid0(VALU_DEP_3) | instskip(SKIP_2) | instid1(VALU_DEP_4)
	v_fmac_f32_e32 v46, v60, v45
	v_mul_f32_e32 v45, v60, v48
	v_dual_mul_f32 v57, v59, v48 :: v_dual_add_f32 v52, v65, v67
	v_add_f32_e32 v49, v49, v51
	s_delay_alu instid0(VALU_DEP_4) | instskip(NEXT) | instid1(VALU_DEP_4)
	v_add_f32_e32 v1, v1, v46
	v_fma_f32 v51, v59, v47, -v45
	s_waitcnt lgkmcnt(0)
	v_mul_f32_e32 v59, v62, v42
	v_fmac_f32_e32 v57, v60, v47
	ds_load_2addr_b64 v[45:48], v0 offset0:96 offset1:112
	v_dual_mul_f32 v65, v61, v44 :: v_dual_add_f32 v50, v50, v51
	v_fma_f32 v51, v61, v41, -v59
	v_mul_f32_e32 v59, v62, v44
	v_dual_add_f32 v23, v23, v57 :: v_dual_mul_f32 v60, v61, v42
	s_delay_alu instid0(VALU_DEP_4) | instskip(NEXT) | instid1(VALU_DEP_4)
	v_fmac_f32_e32 v65, v62, v43
	v_add_f32_e32 v57, v58, v51
	s_delay_alu instid0(VALU_DEP_4) | instskip(SKIP_3) | instid1(VALU_DEP_4)
	v_fma_f32 v51, v61, v43, -v59
	v_mul_f32_e32 v58, v54, v42
	v_mul_f32_e32 v42, v53, v42
	v_fmac_f32_e32 v60, v62, v41
	v_dual_add_f32 v59, v52, v65 :: v_dual_add_f32 v2, v2, v51
	v_mul_f32_e32 v51, v54, v44
	v_fma_f32 v52, v53, v41, -v58
	v_fmac_f32_e32 v42, v54, v41
	v_mul_f32_e32 v58, v53, v44
	v_add_f32_e32 v3, v3, v60
	v_fma_f32 v41, v53, v43, -v51
	s_waitcnt lgkmcnt(0)
	v_dual_mul_f32 v44, v64, v46 :: v_dual_add_f32 v53, v49, v52
	v_dual_add_f32 v1, v1, v42 :: v_dual_fmac_f32 v58, v54, v43
	s_delay_alu instid0(VALU_DEP_3) | instskip(NEXT) | instid1(VALU_DEP_3)
	v_add_f32_e32 v54, v50, v41
	v_fma_f32 v60, v63, v45, -v44
	ds_load_2addr_b64 v[41:44], v0 offset0:128 offset1:144
	ds_load_b128 v[49:52], v32 offset:160
	v_dual_mul_f32 v61, v63, v46 :: v_dual_mul_f32 v62, v64, v48
	v_add_f32_e32 v23, v23, v58
	v_mul_f32_e32 v58, v63, v48
	v_add_f32_e32 v65, v57, v60
	s_delay_alu instid0(VALU_DEP_4) | instskip(SKIP_4) | instid1(VALU_DEP_4)
	v_fmac_f32_e32 v61, v64, v45
	v_fma_f32 v62, v63, v47, -v62
	v_mul_f32_e32 v57, v56, v46
	v_fmac_f32_e32 v58, v64, v47
	v_mul_f32_e32 v46, v55, v46
	v_dual_add_f32 v3, v3, v61 :: v_dual_add_f32 v2, v2, v62
	s_delay_alu instid0(VALU_DEP_4)
	v_fma_f32 v61, v55, v45, -v57
	v_mul_f32_e32 v62, v56, v48
	v_add_f32_e32 v66, v59, v58
	ds_load_b128 v[57:60], v32 offset:4256
	v_fmac_f32_e32 v46, v56, v45
	v_add_f32_e32 v67, v53, v61
	v_fma_f32 v45, v55, v47, -v62
	ds_load_b128 v[61:64], v32 offset:176
	s_waitcnt lgkmcnt(2)
	v_dual_mul_f32 v53, v55, v48 :: v_dual_mul_f32 v48, v50, v42
	v_mul_f32_e32 v55, v50, v44
	v_dual_add_f32 v68, v54, v45 :: v_dual_mul_f32 v69, v49, v42
	s_delay_alu instid0(VALU_DEP_3) | instskip(NEXT) | instid1(VALU_DEP_4)
	v_fmac_f32_e32 v53, v56, v47
	v_fma_f32 v54, v49, v41, -v48
	v_mul_f32_e32 v70, v49, v44
	v_fma_f32 v49, v49, v43, -v55
	v_fmac_f32_e32 v69, v50, v41
	v_add_f32_e32 v23, v23, v53
	v_add_f32_e32 v65, v65, v54
	ds_load_b128 v[53:56], v32 offset:4272
	v_add_f32_e32 v1, v1, v46
	ds_load_2addr_b64 v[45:48], v0 offset0:160 offset1:176
	s_waitcnt lgkmcnt(3)
	v_mul_f32_e32 v71, v58, v42
	v_dual_add_f32 v3, v3, v69 :: v_dual_fmac_f32 v70, v50, v43
	v_mul_f32_e32 v42, v57, v42
	v_add_f32_e32 v2, v2, v49
	s_delay_alu instid0(VALU_DEP_4) | instskip(SKIP_1) | instid1(VALU_DEP_4)
	v_fma_f32 v49, v57, v41, -v71
	v_mul_f32_e32 v50, v58, v44
	v_dual_mul_f32 v69, v57, v44 :: v_dual_fmac_f32 v42, v58, v41
	s_delay_alu instid0(VALU_DEP_3) | instskip(NEXT) | instid1(VALU_DEP_3)
	v_dual_add_f32 v66, v66, v70 :: v_dual_add_f32 v49, v67, v49
	v_fma_f32 v41, v57, v43, -v50
	s_delay_alu instid0(VALU_DEP_3) | instskip(NEXT) | instid1(VALU_DEP_4)
	v_fmac_f32_e32 v69, v58, v43
	v_add_f32_e32 v1, v1, v42
	s_delay_alu instid0(VALU_DEP_3) | instskip(SKIP_3) | instid1(VALU_DEP_2)
	v_add_f32_e32 v57, v68, v41
	s_waitcnt lgkmcnt(0)
	v_mul_f32_e32 v44, v52, v46
	v_dual_mul_f32 v50, v51, v46 :: v_dual_mul_f32 v67, v52, v48
	v_fma_f32 v58, v51, v45, -v44
	ds_load_2addr_b64 v[41:44], v0 offset0:192 offset1:208
	v_fmac_f32_e32 v50, v52, v45
	v_dual_add_f32 v58, v65, v58 :: v_dual_mul_f32 v65, v51, v48
	v_fma_f32 v51, v51, v47, -v67
	s_delay_alu instid0(VALU_DEP_3) | instskip(SKIP_1) | instid1(VALU_DEP_4)
	v_add_f32_e32 v3, v3, v50
	v_mul_f32_e32 v50, v60, v46
	v_dual_mul_f32 v46, v59, v46 :: v_dual_fmac_f32 v65, v52, v47
	s_delay_alu instid0(VALU_DEP_4) | instskip(NEXT) | instid1(VALU_DEP_3)
	v_dual_add_f32 v2, v2, v51 :: v_dual_mul_f32 v51, v60, v48
	v_fma_f32 v50, v59, v45, -v50
	s_delay_alu instid0(VALU_DEP_3) | instskip(NEXT) | instid1(VALU_DEP_4)
	v_fmac_f32_e32 v46, v60, v45
	v_dual_add_f32 v52, v66, v65 :: v_dual_mul_f32 v65, v59, v48
	s_delay_alu instid0(VALU_DEP_4) | instskip(NEXT) | instid1(VALU_DEP_4)
	v_fma_f32 v45, v59, v47, -v51
	v_add_f32_e32 v49, v49, v50
	s_delay_alu instid0(VALU_DEP_4)
	v_add_f32_e32 v1, v1, v46
	s_waitcnt lgkmcnt(0)
	v_dual_mul_f32 v50, v62, v42 :: v_dual_fmac_f32 v65, v60, v47
	v_add_f32_e32 v51, v57, v45
	ds_load_2addr_b64 v[45:48], v0 offset0:224 offset1:240
	v_mul_f32_e32 v57, v61, v42
	v_fma_f32 v0, v61, v41, -v50
	v_mul_f32_e32 v50, v62, v44
	v_mul_f32_e32 v59, v61, v44
	s_delay_alu instid0(VALU_DEP_4) | instskip(NEXT) | instid1(VALU_DEP_4)
	v_fmac_f32_e32 v57, v62, v41
	v_add_f32_e32 v58, v58, v0
	s_delay_alu instid0(VALU_DEP_4) | instskip(SKIP_3) | instid1(VALU_DEP_4)
	v_fma_f32 v0, v61, v43, -v50
	v_mul_f32_e32 v50, v54, v42
	v_fmac_f32_e32 v59, v62, v43
	v_dual_add_f32 v3, v3, v57 :: v_dual_mul_f32 v42, v53, v42
	v_add_f32_e32 v2, v2, v0
	s_delay_alu instid0(VALU_DEP_4) | instskip(NEXT) | instid1(VALU_DEP_4)
	v_fma_f32 v0, v53, v41, -v50
	v_dual_mul_f32 v50, v54, v44 :: v_dual_add_f32 v57, v52, v59
	s_delay_alu instid0(VALU_DEP_4) | instskip(SKIP_1) | instid1(VALU_DEP_3)
	v_dual_mul_f32 v59, v53, v44 :: v_dual_fmac_f32 v42, v54, v41
	s_waitcnt lgkmcnt(0)
	v_dual_add_f32 v61, v49, v0 :: v_dual_mul_f32 v44, v64, v46
	s_delay_alu instid0(VALU_DEP_2) | instskip(SKIP_2) | instid1(VALU_DEP_4)
	v_dual_mul_f32 v62, v64, v48 :: v_dual_fmac_f32 v59, v54, v43
	v_fma_f32 v41, v53, v43, -v50
	v_add_nc_u32_e32 v0, 0x1800, v31
	v_fma_f32 v54, v63, v45, -v44
	v_add_f32_e32 v1, v1, v42
	v_mul_f32_e32 v60, v63, v46
	v_add_f32_e32 v53, v51, v41
	ds_load_2addr_b64 v[41:44], v0 offset1:16
	ds_load_b128 v[49:52], v32 offset:192
	v_add_f32_e32 v54, v58, v54
	v_fma_f32 v58, v63, v47, -v62
	v_fmac_f32_e32 v60, v64, v45
	v_mul_f32_e32 v62, v56, v46
	v_mul_f32_e32 v46, v55, v46
	s_delay_alu instid0(VALU_DEP_4) | instskip(NEXT) | instid1(VALU_DEP_4)
	v_dual_add_f32 v2, v2, v58 :: v_dual_add_f32 v23, v23, v69
	v_add_f32_e32 v3, v3, v60
	s_delay_alu instid0(VALU_DEP_4) | instskip(NEXT) | instid1(VALU_DEP_4)
	v_fma_f32 v62, v55, v45, -v62
	v_fmac_f32_e32 v46, v56, v45
	s_delay_alu instid0(VALU_DEP_2) | instskip(NEXT) | instid1(VALU_DEP_2)
	v_dual_add_f32 v23, v23, v65 :: v_dual_add_f32 v66, v61, v62
	v_add_f32_e32 v1, v1, v46
	s_delay_alu instid0(VALU_DEP_2) | instskip(SKIP_4) | instid1(VALU_DEP_3)
	v_add_f32_e32 v23, v23, v59
	v_mul_f32_e32 v59, v63, v48
	v_mul_f32_e32 v63, v56, v48
	s_waitcnt lgkmcnt(0)
	v_mul_f32_e32 v67, v49, v42
	v_dual_mul_f32 v70, v49, v44 :: v_dual_fmac_f32 v59, v64, v47
	s_delay_alu instid0(VALU_DEP_3) | instskip(SKIP_1) | instid1(VALU_DEP_4)
	v_fma_f32 v45, v55, v47, -v63
	v_dual_mul_f32 v55, v55, v48 :: v_dual_mul_f32 v48, v50, v42
	v_fmac_f32_e32 v67, v50, v41
	s_delay_alu instid0(VALU_DEP_4)
	v_add_f32_e32 v65, v57, v59
	ds_load_b128 v[57:60], v32 offset:4288
	ds_load_b128 v[61:64], v32 offset:208
	v_dual_fmac_f32 v55, v56, v47 :: v_dual_add_f32 v68, v53, v45
	v_fma_f32 v53, v49, v41, -v48
	ds_load_2addr_b64 v[45:48], v0 offset0:32 offset1:48
	v_dual_mul_f32 v56, v50, v44 :: v_dual_add_f32 v3, v3, v67
	v_fmac_f32_e32 v70, v50, v43
	v_add_f32_e32 v23, v23, v55
	v_add_f32_e32 v69, v54, v53
	s_delay_alu instid0(VALU_DEP_4)
	v_fma_f32 v49, v49, v43, -v56
	ds_load_b128 v[53:56], v32 offset:4304
	v_dual_add_f32 v65, v65, v70 :: v_dual_add_f32 v2, v2, v49
	s_waitcnt lgkmcnt(3)
	v_mul_f32_e32 v67, v58, v42
	v_dual_mul_f32 v42, v57, v42 :: v_dual_mul_f32 v49, v58, v44
	s_delay_alu instid0(VALU_DEP_2) | instskip(NEXT) | instid1(VALU_DEP_2)
	v_fma_f32 v50, v57, v41, -v67
	v_dual_fmac_f32 v42, v58, v41 :: v_dual_mul_f32 v67, v57, v44
	s_delay_alu instid0(VALU_DEP_3)
	v_fma_f32 v41, v57, v43, -v49
	s_waitcnt lgkmcnt(1)
	v_mul_f32_e32 v44, v52, v46
	v_add_f32_e32 v49, v66, v50
	v_add_f32_e32 v1, v1, v42
	v_dual_fmac_f32 v67, v58, v43 :: v_dual_add_f32 v50, v68, v41
	s_delay_alu instid0(VALU_DEP_4) | instskip(SKIP_4) | instid1(VALU_DEP_3)
	v_fma_f32 v58, v51, v45, -v44
	ds_load_2addr_b64 v[41:44], v0 offset0:64 offset1:80
	v_dual_mul_f32 v57, v51, v46 :: v_dual_mul_f32 v66, v52, v48
	v_add_f32_e32 v23, v23, v67
	v_dual_mul_f32 v67, v51, v48 :: v_dual_add_f32 v58, v69, v58
	v_fmac_f32_e32 v57, v52, v45
	s_delay_alu instid0(VALU_DEP_4) | instskip(SKIP_1) | instid1(VALU_DEP_4)
	v_fma_f32 v51, v51, v47, -v66
	v_mul_f32_e32 v66, v60, v46
	v_dual_mul_f32 v46, v59, v46 :: v_dual_fmac_f32 v67, v52, v47
	s_delay_alu instid0(VALU_DEP_3) | instskip(NEXT) | instid1(VALU_DEP_3)
	v_dual_add_f32 v3, v3, v57 :: v_dual_add_f32 v2, v2, v51
	v_fma_f32 v51, v59, v45, -v66
	s_delay_alu instid0(VALU_DEP_3) | instskip(SKIP_2) | instid1(VALU_DEP_4)
	v_fmac_f32_e32 v46, v60, v45
	v_mul_f32_e32 v45, v60, v48
	v_dual_mul_f32 v57, v59, v48 :: v_dual_add_f32 v52, v65, v67
	v_add_f32_e32 v49, v49, v51
	s_delay_alu instid0(VALU_DEP_4) | instskip(NEXT) | instid1(VALU_DEP_4)
	v_add_f32_e32 v1, v1, v46
	v_fma_f32 v51, v59, v47, -v45
	s_waitcnt lgkmcnt(0)
	v_mul_f32_e32 v59, v62, v42
	v_fmac_f32_e32 v57, v60, v47
	ds_load_2addr_b64 v[45:48], v0 offset0:96 offset1:112
	v_dual_mul_f32 v65, v61, v44 :: v_dual_add_f32 v50, v50, v51
	v_fma_f32 v51, v61, v41, -v59
	v_mul_f32_e32 v59, v62, v44
	v_dual_add_f32 v23, v23, v57 :: v_dual_mul_f32 v60, v61, v42
	s_delay_alu instid0(VALU_DEP_4) | instskip(NEXT) | instid1(VALU_DEP_4)
	v_fmac_f32_e32 v65, v62, v43
	v_add_f32_e32 v57, v58, v51
	s_delay_alu instid0(VALU_DEP_4) | instskip(SKIP_3) | instid1(VALU_DEP_4)
	v_fma_f32 v51, v61, v43, -v59
	v_mul_f32_e32 v58, v54, v42
	v_mul_f32_e32 v42, v53, v42
	v_fmac_f32_e32 v60, v62, v41
	v_dual_add_f32 v59, v52, v65 :: v_dual_add_f32 v2, v2, v51
	v_mul_f32_e32 v51, v54, v44
	v_fma_f32 v52, v53, v41, -v58
	v_fmac_f32_e32 v42, v54, v41
	v_mul_f32_e32 v58, v53, v44
	v_add_f32_e32 v3, v3, v60
	v_fma_f32 v41, v53, v43, -v51
	s_waitcnt lgkmcnt(0)
	v_dual_mul_f32 v44, v64, v46 :: v_dual_add_f32 v53, v49, v52
	v_dual_add_f32 v1, v1, v42 :: v_dual_fmac_f32 v58, v54, v43
	s_delay_alu instid0(VALU_DEP_3) | instskip(NEXT) | instid1(VALU_DEP_3)
	v_add_f32_e32 v54, v50, v41
	v_fma_f32 v60, v63, v45, -v44
	ds_load_2addr_b64 v[41:44], v0 offset0:128 offset1:144
	ds_load_b128 v[49:52], v32 offset:224
	v_dual_mul_f32 v61, v63, v46 :: v_dual_mul_f32 v62, v64, v48
	v_add_f32_e32 v23, v23, v58
	v_mul_f32_e32 v58, v63, v48
	v_add_f32_e32 v65, v57, v60
	s_delay_alu instid0(VALU_DEP_4) | instskip(SKIP_4) | instid1(VALU_DEP_4)
	v_fmac_f32_e32 v61, v64, v45
	v_fma_f32 v62, v63, v47, -v62
	v_mul_f32_e32 v57, v56, v46
	v_fmac_f32_e32 v58, v64, v47
	v_mul_f32_e32 v46, v55, v46
	v_dual_add_f32 v3, v3, v61 :: v_dual_add_f32 v2, v2, v62
	s_delay_alu instid0(VALU_DEP_4)
	v_fma_f32 v61, v55, v45, -v57
	v_mul_f32_e32 v62, v56, v48
	v_add_f32_e32 v66, v59, v58
	ds_load_b128 v[57:60], v32 offset:4320
	v_fmac_f32_e32 v46, v56, v45
	v_add_f32_e32 v67, v53, v61
	v_mul_f32_e32 v53, v55, v48
	v_fma_f32 v45, v55, v47, -v62
	ds_load_b128 v[61:64], v32 offset:240
	s_waitcnt lgkmcnt(2)
	v_mul_f32_e32 v48, v50, v42
	v_add_f32_e32 v1, v1, v46
	v_dual_fmac_f32 v53, v56, v47 :: v_dual_add_f32 v68, v54, v45
	v_mul_f32_e32 v69, v49, v42
	s_delay_alu instid0(VALU_DEP_4)
	v_fma_f32 v54, v49, v41, -v48
	ds_load_2addr_b64 v[45:48], v0 offset0:160 offset1:176
	v_mul_f32_e32 v55, v50, v44
	v_dual_mul_f32 v70, v49, v44 :: v_dual_fmac_f32 v69, v50, v41
	v_add_f32_e32 v65, v65, v54
	v_add_f32_e32 v23, v23, v53
	s_delay_alu instid0(VALU_DEP_4) | instskip(NEXT) | instid1(VALU_DEP_4)
	v_fma_f32 v49, v49, v43, -v55
	v_fmac_f32_e32 v70, v50, v43
	s_waitcnt lgkmcnt(2)
	v_mul_f32_e32 v71, v58, v42
	v_mul_f32_e32 v42, v57, v42
	v_dual_mul_f32 v50, v58, v44 :: v_dual_add_f32 v3, v3, v69
	v_add_f32_e32 v2, v2, v49
	s_delay_alu instid0(VALU_DEP_4) | instskip(NEXT) | instid1(VALU_DEP_4)
	v_fma_f32 v49, v57, v41, -v71
	v_dual_fmac_f32 v42, v58, v41 :: v_dual_mul_f32 v69, v57, v44
	s_delay_alu instid0(VALU_DEP_4)
	v_fma_f32 v41, v57, v43, -v50
	ds_load_b128 v[53:56], v32 offset:4336
	v_add_f32_e32 v49, v67, v49
	v_add_f32_e32 v1, v1, v42
	s_waitcnt lgkmcnt(1)
	v_dual_mul_f32 v44, v52, v46 :: v_dual_fmac_f32 v69, v58, v43
	v_dual_mul_f32 v50, v51, v46 :: v_dual_add_f32 v57, v68, v41
	v_mul_f32_e32 v67, v52, v48
	s_delay_alu instid0(VALU_DEP_3)
	v_fma_f32 v58, v51, v45, -v44
	ds_load_2addr_b64 v[41:44], v0 offset0:192 offset1:208
	v_fmac_f32_e32 v50, v52, v45
	v_dual_add_f32 v23, v23, v69 :: v_dual_add_f32 v66, v66, v70
	v_dual_add_f32 v58, v65, v58 :: v_dual_mul_f32 v65, v51, v48
	v_fma_f32 v51, v51, v47, -v67
	s_delay_alu instid0(VALU_DEP_4) | instskip(SKIP_1) | instid1(VALU_DEP_4)
	v_add_f32_e32 v50, v3, v50
	v_mul_f32_e32 v3, v60, v46
	v_dual_mul_f32 v46, v59, v46 :: v_dual_fmac_f32 v65, v52, v47
	s_delay_alu instid0(VALU_DEP_4) | instskip(NEXT) | instid1(VALU_DEP_3)
	v_dual_add_f32 v51, v2, v51 :: v_dual_mul_f32 v2, v60, v48
	v_fma_f32 v3, v59, v45, -v3
	s_delay_alu instid0(VALU_DEP_3) | instskip(NEXT) | instid1(VALU_DEP_4)
	v_fmac_f32_e32 v46, v60, v45
	v_dual_mul_f32 v48, v59, v48 :: v_dual_add_f32 v45, v66, v65
	s_delay_alu instid0(VALU_DEP_4) | instskip(NEXT) | instid1(VALU_DEP_4)
	v_fma_f32 v2, v59, v47, -v2
	v_add_f32_e32 v49, v49, v3
	s_delay_alu instid0(VALU_DEP_4)
	v_add_f32_e32 v46, v1, v46
	s_waitcnt lgkmcnt(0)
	v_mul_f32_e32 v52, v62, v42
	v_dual_fmac_f32 v48, v60, v47 :: v_dual_add_f32 v47, v57, v2
	ds_load_2addr_b64 v[0:3], v0 offset0:224 offset1:240
	v_mul_f32_e32 v57, v61, v42
	v_fma_f32 v52, v61, v41, -v52
	v_add_f32_e32 v23, v23, v48
	v_mul_f32_e32 v48, v62, v44
	v_mul_f32_e32 v59, v61, v44
	v_fmac_f32_e32 v57, v62, v41
	v_add_f32_e32 v52, v58, v52
	v_mul_f32_e32 v58, v54, v42
	v_fma_f32 v48, v61, v43, -v48
	v_mul_f32_e32 v42, v53, v42
	v_add_f32_e32 v50, v50, v57
	v_fmac_f32_e32 v59, v62, v43
	v_fma_f32 v57, v53, v41, -v58
	v_add_f32_e32 v48, v51, v48
	v_mul_f32_e32 v51, v54, v44
	v_fmac_f32_e32 v42, v54, v41
	v_mul_f32_e32 v44, v53, v44
	v_add_f32_e32 v41, v49, v57
	v_add_f32_e32 v45, v45, v59
	v_fma_f32 v49, v53, v43, -v51
	s_waitcnt lgkmcnt(0)
	v_mul_f32_e32 v51, v64, v1
	v_dual_mul_f32 v53, v63, v1 :: v_dual_fmac_f32 v44, v54, v43
	s_delay_alu instid0(VALU_DEP_3) | instskip(NEXT) | instid1(VALU_DEP_3)
	v_dual_add_f32 v42, v46, v42 :: v_dual_add_f32 v49, v47, v49
	v_fma_f32 v43, v63, v0, -v51
	s_delay_alu instid0(VALU_DEP_3) | instskip(SKIP_2) | instid1(VALU_DEP_4)
	v_fmac_f32_e32 v53, v64, v0
	v_mul_f32_e32 v51, v64, v3
	v_mul_f32_e32 v54, v63, v3
	v_dual_add_f32 v23, v23, v44 :: v_dual_add_f32 v46, v52, v43
	s_delay_alu instid0(VALU_DEP_4) | instskip(NEXT) | instid1(VALU_DEP_4)
	v_add_f32_e32 v47, v50, v53
	v_fma_f32 v43, v63, v2, -v51
	v_mul_f32_e32 v50, v56, v1
	v_mul_f32_e32 v1, v55, v1
	;; [unrolled: 1-line block ×3, first 2 shown]
	v_dual_mul_f32 v3, v55, v3 :: v_dual_fmac_f32 v54, v64, v2
	v_add_f32_e32 v44, v48, v43
	v_fma_f32 v43, v55, v0, -v50
	v_fmac_f32_e32 v1, v56, v0
	v_fma_f32 v0, v55, v2, -v51
	v_fmac_f32_e32 v3, v56, v2
	v_add_f32_e32 v45, v45, v54
	s_delay_alu instid0(VALU_DEP_4) | instskip(NEXT) | instid1(VALU_DEP_4)
	v_dual_add_f32 v43, v41, v43 :: v_dual_add_f32 v42, v42, v1
	v_add_f32_e32 v41, v49, v0
	s_delay_alu instid0(VALU_DEP_4)
	v_add_f32_e32 v23, v23, v3
	s_barrier
	buffer_gl0_inv
	s_cbranch_scc1 .LBB76_55
.LBB76_7:                               ;   Parent Loop BB76_4 Depth=1
                                        ; =>  This Inner Loop Header: Depth=2
	v_add_co_u32 v2, s5, v6, s24
	s_delay_alu instid0(VALU_DEP_1) | instskip(SKIP_1) | instid1(VALU_DEP_2)
	v_add_co_ci_u32_e64 v3, s5, s25, v7, s5
	v_cmp_eq_u64_e64 s7, s[24:25], v[14:15]
	v_cmp_le_i64_e64 s6, s[12:13], v[2:3]
	v_cmp_lt_i64_e64 s5, v[2:3], v[4:5]
	s_delay_alu instid0(VALU_DEP_3) | instskip(NEXT) | instid1(VALU_DEP_1)
	s_and_b32 s28, s42, s7
	s_or_b32 s7, s6, s5
	s_delay_alu instid0(SALU_CYCLE_1) | instskip(SKIP_1) | instid1(VALU_DEP_1)
	s_or_b32 s8, s7, s28
	v_add_co_u32 v0, s7, v35, s20
	v_add_co_ci_u32_e64 v1, s7, s21, v36, s7
	s_or_b32 s7, s0, s8
	s_delay_alu instid0(SALU_CYCLE_1) | instskip(NEXT) | instid1(SALU_CYCLE_1)
	s_xor_b32 s7, s7, -1
	s_and_saveexec_b32 s8, s7
	s_delay_alu instid0(SALU_CYCLE_1)
	s_xor_b32 s7, exec_lo, s8
	s_cbranch_execz .LBB76_9
; %bb.8:                                ;   in Loop: Header=BB76_7 Depth=2
	global_load_b64 v[48:49], v[0:1], off
	s_waitcnt vmcnt(0)
	ds_store_b64 v33, v[48:49]
.LBB76_9:                               ;   in Loop: Header=BB76_7 Depth=2
	s_or_saveexec_b32 s7, s7
	s_xor_b32 s15, s28, -1
	s_xor_b32 exec_lo, exec_lo, s7
	s_cbranch_execz .LBB76_15
; %bb.10:                               ;   in Loop: Header=BB76_7 Depth=2
	s_and_saveexec_b32 s8, s15
	s_delay_alu instid0(SALU_CYCLE_1)
	s_xor_b32 s8, exec_lo, s8
	s_cbranch_execz .LBB76_12
; %bb.11:                               ;   in Loop: Header=BB76_7 Depth=2
	v_mov_b32_e32 v48, v25
	v_mov_b32_e32 v49, v25
	ds_store_b64 v33, v[48:49]
.LBB76_12:                              ;   in Loop: Header=BB76_7 Depth=2
	s_and_not1_saveexec_b32 s8, s8
	s_cbranch_execz .LBB76_14
; %bb.13:                               ;   in Loop: Header=BB76_7 Depth=2
	ds_store_b64 v33, v[24:25]
.LBB76_14:                              ;   in Loop: Header=BB76_7 Depth=2
	s_or_b32 exec_lo, exec_lo, s8
.LBB76_15:                              ;   in Loop: Header=BB76_7 Depth=2
	s_delay_alu instid0(SALU_CYCLE_1) | instskip(SKIP_2) | instid1(VALU_DEP_2)
	s_or_b32 exec_lo, exec_lo, s7
	v_cmp_eq_u64_e64 s7, s[24:25], v[16:17]
	v_cmp_gt_i64_e64 s8, v[10:11], v[2:3]
	s_and_b32 s7, s42, s7
	s_delay_alu instid0(VALU_DEP_1) | instskip(NEXT) | instid1(SALU_CYCLE_1)
	s_or_b32 s6, s6, s8
	s_or_b32 s6, s6, s7
	s_delay_alu instid0(SALU_CYCLE_1) | instskip(NEXT) | instid1(SALU_CYCLE_1)
	s_or_b32 s6, s1, s6
	s_xor_b32 s6, s6, -1
	s_delay_alu instid0(SALU_CYCLE_1) | instskip(NEXT) | instid1(SALU_CYCLE_1)
	s_and_saveexec_b32 s8, s6
	s_xor_b32 s8, exec_lo, s8
	s_cbranch_execz .LBB76_17
; %bb.16:                               ;   in Loop: Header=BB76_7 Depth=2
	v_add_co_u32 v48, s6, v37, s20
	s_delay_alu instid0(VALU_DEP_1)
	v_add_co_ci_u32_e64 v49, s6, s21, v38, s6
	global_load_b64 v[48:49], v[48:49], off
	s_waitcnt vmcnt(0)
	ds_store_b64 v33, v[48:49] offset:128
.LBB76_17:                              ;   in Loop: Header=BB76_7 Depth=2
	s_and_not1_saveexec_b32 s6, s8
	s_cbranch_execz .LBB76_23
; %bb.18:                               ;   in Loop: Header=BB76_7 Depth=2
	s_xor_b32 s7, s7, -1
	s_delay_alu instid0(SALU_CYCLE_1) | instskip(NEXT) | instid1(SALU_CYCLE_1)
	s_and_saveexec_b32 s8, s7
	s_xor_b32 s7, exec_lo, s8
	s_cbranch_execz .LBB76_20
; %bb.19:                               ;   in Loop: Header=BB76_7 Depth=2
	v_mov_b32_e32 v48, v25
	v_mov_b32_e32 v49, v25
	ds_store_b64 v33, v[48:49] offset:128
.LBB76_20:                              ;   in Loop: Header=BB76_7 Depth=2
	s_and_not1_saveexec_b32 s7, s7
	s_cbranch_execz .LBB76_22
; %bb.21:                               ;   in Loop: Header=BB76_7 Depth=2
	ds_store_b64 v33, v[24:25] offset:128
.LBB76_22:                              ;   in Loop: Header=BB76_7 Depth=2
	s_or_b32 exec_lo, exec_lo, s7
.LBB76_23:                              ;   in Loop: Header=BB76_7 Depth=2
	s_delay_alu instid0(SALU_CYCLE_1) | instskip(SKIP_1) | instid1(VALU_DEP_1)
	s_or_b32 exec_lo, exec_lo, s6
	v_add_co_u32 v2, s6, v2, 16
	v_add_co_ci_u32_e64 v3, s6, 0, v3, s6
	v_cmp_eq_u64_e64 s7, s[24:25], v[18:19]
	s_delay_alu instid0(VALU_DEP_2) | instskip(SKIP_1) | instid1(VALU_DEP_3)
	v_cmp_le_i64_e64 s6, s[12:13], v[2:3]
	v_cmp_lt_i64_e64 s8, v[2:3], v[4:5]
	s_and_b32 s29, s42, s7
	s_delay_alu instid0(VALU_DEP_1) | instskip(NEXT) | instid1(SALU_CYCLE_1)
	s_or_b32 s7, s6, s8
	s_or_b32 s7, s7, s29
	s_delay_alu instid0(SALU_CYCLE_1) | instskip(NEXT) | instid1(SALU_CYCLE_1)
	s_or_b32 s7, s0, s7
	s_xor_b32 s7, s7, -1
	s_delay_alu instid0(SALU_CYCLE_1) | instskip(NEXT) | instid1(SALU_CYCLE_1)
	s_and_saveexec_b32 s8, s7
	s_xor_b32 s7, exec_lo, s8
	s_cbranch_execz .LBB76_25
; %bb.24:                               ;   in Loop: Header=BB76_7 Depth=2
	global_load_b64 v[0:1], v[0:1], off offset:128
	s_waitcnt vmcnt(0)
	ds_store_b64 v33, v[0:1] offset:4096
.LBB76_25:                              ;   in Loop: Header=BB76_7 Depth=2
	s_and_not1_saveexec_b32 s7, s7
	s_cbranch_execz .LBB76_31
; %bb.26:                               ;   in Loop: Header=BB76_7 Depth=2
	s_xor_b32 s8, s29, -1
	s_delay_alu instid0(SALU_CYCLE_1) | instskip(NEXT) | instid1(SALU_CYCLE_1)
	s_and_saveexec_b32 s29, s8
	s_xor_b32 s8, exec_lo, s29
	s_cbranch_execz .LBB76_28
; %bb.27:                               ;   in Loop: Header=BB76_7 Depth=2
	v_mov_b32_e32 v0, v25
	v_mov_b32_e32 v1, v25
	ds_store_b64 v33, v[0:1] offset:4096
.LBB76_28:                              ;   in Loop: Header=BB76_7 Depth=2
	s_and_not1_saveexec_b32 s8, s8
	s_cbranch_execz .LBB76_30
; %bb.29:                               ;   in Loop: Header=BB76_7 Depth=2
	ds_store_b64 v33, v[24:25] offset:4096
.LBB76_30:                              ;   in Loop: Header=BB76_7 Depth=2
	s_or_b32 exec_lo, exec_lo, s8
.LBB76_31:                              ;   in Loop: Header=BB76_7 Depth=2
	s_delay_alu instid0(SALU_CYCLE_1) | instskip(SKIP_1) | instid1(SALU_CYCLE_1)
	s_or_b32 exec_lo, exec_lo, s7
	s_or_b32 s5, s6, s5
	s_or_b32 s5, s5, s28
	s_delay_alu instid0(SALU_CYCLE_1) | instskip(NEXT) | instid1(SALU_CYCLE_1)
	s_or_b32 s5, s1, s5
	s_xor_b32 s5, s5, -1
	s_delay_alu instid0(SALU_CYCLE_1) | instskip(NEXT) | instid1(SALU_CYCLE_1)
	s_and_saveexec_b32 s6, s5
	s_xor_b32 s6, exec_lo, s6
	s_cbranch_execz .LBB76_33
; %bb.32:                               ;   in Loop: Header=BB76_7 Depth=2
	v_add_co_u32 v0, s5, v37, s20
	s_delay_alu instid0(VALU_DEP_1)
	v_add_co_ci_u32_e64 v1, s5, s21, v38, s5
	global_load_b64 v[0:1], v[0:1], off offset:128
	s_waitcnt vmcnt(0)
	ds_store_b64 v33, v[0:1] offset:4224
.LBB76_33:                              ;   in Loop: Header=BB76_7 Depth=2
	s_and_not1_saveexec_b32 s5, s6
	s_cbranch_execz .LBB76_39
; %bb.34:                               ;   in Loop: Header=BB76_7 Depth=2
	s_and_saveexec_b32 s6, s15
	s_delay_alu instid0(SALU_CYCLE_1)
	s_xor_b32 s6, exec_lo, s6
	s_cbranch_execz .LBB76_36
; %bb.35:                               ;   in Loop: Header=BB76_7 Depth=2
	v_mov_b32_e32 v0, v25
	v_mov_b32_e32 v1, v25
	ds_store_b64 v33, v[0:1] offset:4224
.LBB76_36:                              ;   in Loop: Header=BB76_7 Depth=2
	s_and_not1_saveexec_b32 s6, s6
	s_cbranch_execz .LBB76_38
; %bb.37:                               ;   in Loop: Header=BB76_7 Depth=2
	ds_store_b64 v33, v[24:25] offset:4224
.LBB76_38:                              ;   in Loop: Header=BB76_7 Depth=2
	s_or_b32 exec_lo, exec_lo, s6
.LBB76_39:                              ;   in Loop: Header=BB76_7 Depth=2
	s_delay_alu instid0(SALU_CYCLE_1) | instskip(SKIP_1) | instid1(VALU_DEP_1)
	s_or_b32 exec_lo, exec_lo, s5
	v_add_co_u32 v0, s5, v4, s24
	v_add_co_ci_u32_e64 v1, s5, s25, v5, s5
	s_delay_alu instid0(VALU_DEP_1) | instskip(NEXT) | instid1(VALU_DEP_1)
	v_cmp_gt_i64_e64 s5, s[12:13], v[0:1]
	s_and_b32 s6, vcc_lo, s5
	s_delay_alu instid0(SALU_CYCLE_1) | instskip(NEXT) | instid1(SALU_CYCLE_1)
	s_xor_b32 s6, s6, -1
	s_and_saveexec_b32 s7, s6
	s_delay_alu instid0(SALU_CYCLE_1)
	s_xor_b32 s6, exec_lo, s7
	s_cbranch_execz .LBB76_41
; %bb.40:                               ;   in Loop: Header=BB76_7 Depth=2
	v_mov_b32_e32 v2, v25
	v_mov_b32_e32 v3, v25
	ds_store_b64 v34, v[2:3]
.LBB76_41:                              ;   in Loop: Header=BB76_7 Depth=2
	s_or_saveexec_b32 s7, s6
	v_add_co_u32 v2, s6, v26, s20
	s_delay_alu instid0(VALU_DEP_1)
	v_add_co_ci_u32_e64 v3, s6, s21, v27, s6
	s_xor_b32 exec_lo, exec_lo, s7
	s_cbranch_execz .LBB76_43
; %bb.42:                               ;   in Loop: Header=BB76_7 Depth=2
	global_load_b64 v[48:49], v[2:3], off offset:-128
	s_waitcnt vmcnt(0)
	ds_store_b64 v34, v[48:49]
.LBB76_43:                              ;   in Loop: Header=BB76_7 Depth=2
	s_or_b32 exec_lo, exec_lo, s7
	v_cmp_gt_i64_e64 s6, s[18:19], v[0:1]
	s_delay_alu instid0(VALU_DEP_1) | instskip(NEXT) | instid1(SALU_CYCLE_1)
	s_and_b32 s7, vcc_lo, s6
	s_xor_b32 s7, s7, -1
	s_delay_alu instid0(SALU_CYCLE_1) | instskip(NEXT) | instid1(SALU_CYCLE_1)
	s_and_saveexec_b32 s8, s7
	s_xor_b32 s7, exec_lo, s8
	s_cbranch_execz .LBB76_45
; %bb.44:                               ;   in Loop: Header=BB76_7 Depth=2
	v_mov_b32_e32 v0, v25
	v_mov_b32_e32 v1, v25
                                        ; implicit-def: $vgpr2_vgpr3
	ds_store_b64 v34, v[0:1] offset:128
.LBB76_45:                              ;   in Loop: Header=BB76_7 Depth=2
	s_and_not1_saveexec_b32 s7, s7
	s_cbranch_execz .LBB76_47
; %bb.46:                               ;   in Loop: Header=BB76_7 Depth=2
	global_load_b64 v[0:1], v[2:3], off
	s_waitcnt vmcnt(0)
	ds_store_b64 v34, v[0:1] offset:128
.LBB76_47:                              ;   in Loop: Header=BB76_7 Depth=2
	s_or_b32 exec_lo, exec_lo, s7
	s_and_b32 s5, s4, s5
	s_delay_alu instid0(SALU_CYCLE_1) | instskip(NEXT) | instid1(SALU_CYCLE_1)
	s_xor_b32 s5, s5, -1
	s_and_saveexec_b32 s7, s5
	s_delay_alu instid0(SALU_CYCLE_1)
	s_xor_b32 s5, exec_lo, s7
	s_cbranch_execz .LBB76_49
; %bb.48:                               ;   in Loop: Header=BB76_7 Depth=2
	v_mov_b32_e32 v0, v25
	v_mov_b32_e32 v1, v25
	ds_store_b64 v34, v[0:1] offset:4096
.LBB76_49:                              ;   in Loop: Header=BB76_7 Depth=2
	s_and_not1_saveexec_b32 s7, s5
	s_cbranch_execz .LBB76_51
; %bb.50:                               ;   in Loop: Header=BB76_7 Depth=2
	v_add_co_u32 v0, s5, v28, s20
	s_delay_alu instid0(VALU_DEP_1)
	v_add_co_ci_u32_e64 v1, s5, s21, v29, s5
	global_load_b64 v[0:1], v[0:1], off offset:-128
	s_waitcnt vmcnt(0)
	ds_store_b64 v34, v[0:1] offset:4096
.LBB76_51:                              ;   in Loop: Header=BB76_7 Depth=2
	s_or_b32 exec_lo, exec_lo, s7
	s_and_b32 s5, s4, s6
	s_delay_alu instid0(SALU_CYCLE_1) | instskip(NEXT) | instid1(SALU_CYCLE_1)
	s_xor_b32 s5, s5, -1
	s_and_saveexec_b32 s6, s5
	s_delay_alu instid0(SALU_CYCLE_1)
	s_xor_b32 s5, exec_lo, s6
	s_cbranch_execz .LBB76_53
; %bb.52:                               ;   in Loop: Header=BB76_7 Depth=2
	v_mov_b32_e32 v0, v25
	v_mov_b32_e32 v1, v25
	ds_store_b64 v34, v[0:1] offset:4224
.LBB76_53:                              ;   in Loop: Header=BB76_7 Depth=2
	s_and_not1_saveexec_b32 s6, s5
	s_cbranch_execz .LBB76_6
; %bb.54:                               ;   in Loop: Header=BB76_7 Depth=2
	v_add_co_u32 v0, s5, v28, s20
	s_delay_alu instid0(VALU_DEP_1)
	v_add_co_ci_u32_e64 v1, s5, s21, v29, s5
	global_load_b64 v[0:1], v[0:1], off
	s_waitcnt vmcnt(0)
	ds_store_b64 v34, v[0:1] offset:4224
	s_branch .LBB76_6
.LBB76_55:                              ;   in Loop: Header=BB76_4 Depth=1
	v_mul_lo_u32 v2, v40, s16
	v_mul_lo_u32 v3, v39, s17
	v_mad_u64_u32 v[0:1], null, v39, s16, 0
	v_cmp_gt_i32_e32 vcc_lo, s10, v39
	s_delay_alu instid0(VALU_DEP_2) | instskip(NEXT) | instid1(VALU_DEP_1)
	v_add3_u32 v1, v1, v3, v2
	v_lshlrev_b64 v[0:1], 3, v[0:1]
	s_delay_alu instid0(VALU_DEP_1) | instskip(NEXT) | instid1(VALU_DEP_1)
	v_add_co_u32 v0, s4, s27, v0
	v_add_co_ci_u32_e64 v1, s4, s33, v1, s4
	s_and_b32 s4, s2, vcc_lo
	s_delay_alu instid0(SALU_CYCLE_1)
	s_and_saveexec_b32 s5, s4
	s_cbranch_execz .LBB76_57
; %bb.56:                               ;   in Loop: Header=BB76_4 Depth=1
	v_add_co_u32 v2, s4, v0, v12
	s_delay_alu instid0(VALU_DEP_1) | instskip(SKIP_2) | instid1(VALU_DEP_1)
	v_add_co_ci_u32_e64 v3, s4, v1, v13, s4
	global_load_b64 v[26:27], v[2:3], off
	v_mul_f32_e32 v29, s34, v47
	v_dual_mul_f32 v28, s35, v47 :: v_dual_fmac_f32 v29, s35, v46
	s_delay_alu instid0(VALU_DEP_1) | instskip(SKIP_1) | instid1(VALU_DEP_1)
	v_fma_f32 v28, v46, s34, -v28
	s_waitcnt vmcnt(0)
	v_dual_add_f32 v26, v26, v28 :: v_dual_add_f32 v27, v27, v29
	global_store_b64 v[2:3], v[26:27], off
.LBB76_57:                              ;   in Loop: Header=BB76_4 Depth=1
	s_or_b32 exec_lo, exec_lo, s5
	s_and_b32 s5, s3, vcc_lo
	s_delay_alu instid0(SALU_CYCLE_1)
	s_and_saveexec_b32 s4, s5
	s_cbranch_execz .LBB76_59
; %bb.58:                               ;   in Loop: Header=BB76_4 Depth=1
	v_lshlrev_b64 v[2:3], 3, v[8:9]
	s_delay_alu instid0(VALU_DEP_1) | instskip(NEXT) | instid1(VALU_DEP_2)
	v_add_co_u32 v0, vcc_lo, v0, v2
	v_add_co_ci_u32_e32 v1, vcc_lo, v1, v3, vcc_lo
	global_load_b64 v[2:3], v[0:1], off
	v_mul_f32_e32 v27, s34, v45
	s_delay_alu instid0(VALU_DEP_1) | instskip(NEXT) | instid1(VALU_DEP_1)
	v_dual_mul_f32 v26, s35, v45 :: v_dual_fmac_f32 v27, s35, v44
	v_fma_f32 v26, v44, s34, -v26
	s_waitcnt vmcnt(0)
	s_delay_alu instid0(VALU_DEP_1)
	v_dual_add_f32 v2, v2, v26 :: v_dual_add_f32 v3, v3, v27
	global_store_b64 v[0:1], v[2:3], off
.LBB76_59:                              ;   in Loop: Header=BB76_4 Depth=1
	s_or_b32 exec_lo, exec_lo, s4
	v_add_nc_u32_e32 v2, 16, v39
	s_delay_alu instid0(VALU_DEP_1) | instskip(SKIP_3) | instid1(VALU_DEP_4)
	v_ashrrev_i32_e32 v3, 31, v2
	v_mul_lo_u32 v26, v2, s17
	v_mad_u64_u32 v[0:1], null, v2, s16, 0
	v_cmp_gt_i32_e32 vcc_lo, s10, v2
	v_mul_lo_u32 v3, v3, s16
	s_delay_alu instid0(VALU_DEP_1) | instskip(NEXT) | instid1(VALU_DEP_1)
	v_add3_u32 v1, v1, v26, v3
	v_lshlrev_b64 v[0:1], 3, v[0:1]
	s_delay_alu instid0(VALU_DEP_1) | instskip(NEXT) | instid1(VALU_DEP_1)
	v_add_co_u32 v0, s4, s27, v0
	v_add_co_ci_u32_e64 v1, s4, s33, v1, s4
	s_and_b32 s4, s2, vcc_lo
	s_delay_alu instid0(SALU_CYCLE_1)
	s_and_saveexec_b32 s5, s4
	s_cbranch_execz .LBB76_61
; %bb.60:                               ;   in Loop: Header=BB76_4 Depth=1
	v_add_co_u32 v2, s4, v0, v12
	s_delay_alu instid0(VALU_DEP_1) | instskip(SKIP_2) | instid1(VALU_DEP_1)
	v_add_co_ci_u32_e64 v3, s4, v1, v13, s4
	global_load_b64 v[26:27], v[2:3], off
	v_mul_f32_e32 v29, s34, v42
	v_dual_mul_f32 v28, s35, v42 :: v_dual_fmac_f32 v29, s35, v43
	s_delay_alu instid0(VALU_DEP_1) | instskip(SKIP_1) | instid1(VALU_DEP_1)
	v_fma_f32 v28, v43, s34, -v28
	s_waitcnt vmcnt(0)
	v_dual_add_f32 v26, v26, v28 :: v_dual_add_f32 v27, v27, v29
	global_store_b64 v[2:3], v[26:27], off
.LBB76_61:                              ;   in Loop: Header=BB76_4 Depth=1
	s_or_b32 exec_lo, exec_lo, s5
	s_and_b32 s5, s3, vcc_lo
	s_delay_alu instid0(SALU_CYCLE_1)
	s_and_saveexec_b32 s4, s5
	s_cbranch_execz .LBB76_3
; %bb.62:                               ;   in Loop: Header=BB76_4 Depth=1
	v_lshlrev_b64 v[2:3], 3, v[8:9]
	v_mul_f32_e32 v26, s35, v23
	s_delay_alu instid0(VALU_DEP_2) | instskip(NEXT) | instid1(VALU_DEP_3)
	v_add_co_u32 v0, vcc_lo, v0, v2
	v_add_co_ci_u32_e32 v1, vcc_lo, v1, v3, vcc_lo
	global_load_b64 v[2:3], v[0:1], off
	v_mul_f32_e32 v23, s34, v23
	s_delay_alu instid0(VALU_DEP_1) | instskip(SKIP_2) | instid1(VALU_DEP_1)
	v_fmac_f32_e32 v23, s35, v41
	v_fma_f32 v26, v41, s34, -v26
	s_waitcnt vmcnt(0)
	v_dual_add_f32 v2, v2, v26 :: v_dual_add_f32 v3, v3, v23
	global_store_b64 v[0:1], v[2:3], off
	s_branch .LBB76_3
.LBB76_63:
	s_nop 0
	s_sendmsg sendmsg(MSG_DEALLOC_VGPRS)
	s_endpgm
	.section	.rodata,"a",@progbits
	.p2align	6, 0x0
	.amdhsa_kernel _ZL30rocblas_trmm_outofplace_kernelI19rocblas_complex_numIfELi32ELi2ELb1ELb0ELb1ELb0EPKS1_S2_S1_Ev17rocblas_diagonal_iiT6_lPT7_lllS7_lllPT8_llli
		.amdhsa_group_segment_fixed_size 16384
		.amdhsa_private_segment_fixed_size 0
		.amdhsa_kernarg_size 392
		.amdhsa_user_sgpr_count 13
		.amdhsa_user_sgpr_dispatch_ptr 0
		.amdhsa_user_sgpr_queue_ptr 0
		.amdhsa_user_sgpr_kernarg_segment_ptr 1
		.amdhsa_user_sgpr_dispatch_id 0
		.amdhsa_user_sgpr_private_segment_size 0
		.amdhsa_wavefront_size32 1
		.amdhsa_uses_dynamic_stack 0
		.amdhsa_enable_private_segment 0
		.amdhsa_system_sgpr_workgroup_id_x 1
		.amdhsa_system_sgpr_workgroup_id_y 1
		.amdhsa_system_sgpr_workgroup_id_z 1
		.amdhsa_system_sgpr_workgroup_info 0
		.amdhsa_system_vgpr_workitem_id 1
		.amdhsa_next_free_vgpr 82
		.amdhsa_next_free_sgpr 44
		.amdhsa_reserve_vcc 1
		.amdhsa_float_round_mode_32 0
		.amdhsa_float_round_mode_16_64 0
		.amdhsa_float_denorm_mode_32 3
		.amdhsa_float_denorm_mode_16_64 3
		.amdhsa_dx10_clamp 1
		.amdhsa_ieee_mode 1
		.amdhsa_fp16_overflow 0
		.amdhsa_workgroup_processor_mode 1
		.amdhsa_memory_ordered 1
		.amdhsa_forward_progress 0
		.amdhsa_shared_vgpr_count 0
		.amdhsa_exception_fp_ieee_invalid_op 0
		.amdhsa_exception_fp_denorm_src 0
		.amdhsa_exception_fp_ieee_div_zero 0
		.amdhsa_exception_fp_ieee_overflow 0
		.amdhsa_exception_fp_ieee_underflow 0
		.amdhsa_exception_fp_ieee_inexact 0
		.amdhsa_exception_int_div_zero 0
	.end_amdhsa_kernel
	.section	.text._ZL30rocblas_trmm_outofplace_kernelI19rocblas_complex_numIfELi32ELi2ELb1ELb0ELb1ELb0EPKS1_S2_S1_Ev17rocblas_diagonal_iiT6_lPT7_lllS7_lllPT8_llli,"axG",@progbits,_ZL30rocblas_trmm_outofplace_kernelI19rocblas_complex_numIfELi32ELi2ELb1ELb0ELb1ELb0EPKS1_S2_S1_Ev17rocblas_diagonal_iiT6_lPT7_lllS7_lllPT8_llli,comdat
.Lfunc_end76:
	.size	_ZL30rocblas_trmm_outofplace_kernelI19rocblas_complex_numIfELi32ELi2ELb1ELb0ELb1ELb0EPKS1_S2_S1_Ev17rocblas_diagonal_iiT6_lPT7_lllS7_lllPT8_llli, .Lfunc_end76-_ZL30rocblas_trmm_outofplace_kernelI19rocblas_complex_numIfELi32ELi2ELb1ELb0ELb1ELb0EPKS1_S2_S1_Ev17rocblas_diagonal_iiT6_lPT7_lllS7_lllPT8_llli
                                        ; -- End function
	.section	.AMDGPU.csdata,"",@progbits
; Kernel info:
; codeLenInByte = 7436
; NumSgprs: 46
; NumVgprs: 82
; ScratchSize: 0
; MemoryBound: 1
; FloatMode: 240
; IeeeMode: 1
; LDSByteSize: 16384 bytes/workgroup (compile time only)
; SGPRBlocks: 5
; VGPRBlocks: 10
; NumSGPRsForWavesPerEU: 46
; NumVGPRsForWavesPerEU: 82
; Occupancy: 16
; WaveLimiterHint : 0
; COMPUTE_PGM_RSRC2:SCRATCH_EN: 0
; COMPUTE_PGM_RSRC2:USER_SGPR: 13
; COMPUTE_PGM_RSRC2:TRAP_HANDLER: 0
; COMPUTE_PGM_RSRC2:TGID_X_EN: 1
; COMPUTE_PGM_RSRC2:TGID_Y_EN: 1
; COMPUTE_PGM_RSRC2:TGID_Z_EN: 1
; COMPUTE_PGM_RSRC2:TIDIG_COMP_CNT: 1
	.section	.text._ZL30rocblas_trmm_outofplace_kernelI19rocblas_complex_numIfELi32ELi2ELb1ELb0ELb1ELb0ES1_KS1_S1_Ev17rocblas_diagonal_iiT6_lPT7_lllS6_lllPT8_llli,"axG",@progbits,_ZL30rocblas_trmm_outofplace_kernelI19rocblas_complex_numIfELi32ELi2ELb1ELb0ELb1ELb0ES1_KS1_S1_Ev17rocblas_diagonal_iiT6_lPT7_lllS6_lllPT8_llli,comdat
	.globl	_ZL30rocblas_trmm_outofplace_kernelI19rocblas_complex_numIfELi32ELi2ELb1ELb0ELb1ELb0ES1_KS1_S1_Ev17rocblas_diagonal_iiT6_lPT7_lllS6_lllPT8_llli ; -- Begin function _ZL30rocblas_trmm_outofplace_kernelI19rocblas_complex_numIfELi32ELi2ELb1ELb0ELb1ELb0ES1_KS1_S1_Ev17rocblas_diagonal_iiT6_lPT7_lllS6_lllPT8_llli
	.p2align	8
	.type	_ZL30rocblas_trmm_outofplace_kernelI19rocblas_complex_numIfELi32ELi2ELb1ELb0ELb1ELb0ES1_KS1_S1_Ev17rocblas_diagonal_iiT6_lPT7_lllS6_lllPT8_llli,@function
_ZL30rocblas_trmm_outofplace_kernelI19rocblas_complex_numIfELi32ELi2ELb1ELb0ELb1ELb0ES1_KS1_S1_Ev17rocblas_diagonal_iiT6_lPT7_lllS6_lllPT8_llli: ; @_ZL30rocblas_trmm_outofplace_kernelI19rocblas_complex_numIfELi32ELi2ELb1ELb0ELb1ELb0ES1_KS1_S1_Ev17rocblas_diagonal_iiT6_lPT7_lllS6_lllPT8_llli
; %bb.0:
	s_clause 0x1
	s_load_b128 s[8:11], s[0:1], 0x0
	s_load_b32 s33, s[0:1], 0x10
	s_waitcnt lgkmcnt(0)
	s_or_b32 s2, s11, s33
	s_delay_alu instid0(SALU_CYCLE_1) | instskip(NEXT) | instid1(SALU_CYCLE_1)
	s_bitset0_b32 s2, 31
	s_cmp_eq_u32 s2, 0
	s_cbranch_scc1 .LBB77_63
; %bb.1:
	s_add_i32 s2, s10, -1
	s_delay_alu instid0(SALU_CYCLE_1) | instskip(NEXT) | instid1(SALU_CYCLE_1)
	s_ashr_i32 s3, s2, 31
	s_lshr_b32 s3, s3, 27
	s_delay_alu instid0(SALU_CYCLE_1) | instskip(NEXT) | instid1(SALU_CYCLE_1)
	s_add_i32 s2, s2, s3
	s_ashr_i32 s34, s2, 5
	s_delay_alu instid0(SALU_CYCLE_1)
	s_cmp_gt_i32 s14, s34
	s_cbranch_scc1 .LBB77_63
; %bb.2:
	s_clause 0x2
	s_load_b512 s[16:31], s[0:1], 0x20
	s_load_b256 s[36:43], s[0:1], 0x60
	s_load_b32 s35, s[0:1], 0x8c
	v_bfe_u32 v30, v0, 10, 10
	v_dual_mov_b32 v25, 0 :: v_dual_and_b32 v0, 0x3ff, v0
	v_mov_b32_e32 v24, 1.0
	s_mov_b32 s12, s9
	s_delay_alu instid0(VALU_DEP_3) | instskip(NEXT) | instid1(VALU_DEP_3)
	v_lshlrev_b32_e32 v1, 8, v30
	v_lshlrev_b32_e32 v31, 3, v0
	s_delay_alu instid0(VALU_DEP_2) | instskip(NEXT) | instid1(VALU_DEP_2)
	v_add_nc_u32_e32 v32, 0x2000, v1
	v_add_nc_u32_e32 v33, v31, v1
	s_delay_alu instid0(VALU_DEP_2)
	v_add_nc_u32_e32 v34, v32, v31
	s_waitcnt lgkmcnt(0)
	s_mul_i32 s1, s15, s23
	s_mul_hi_u32 s2, s15, s22
	s_mul_i32 s0, s15, s22
	s_add_i32 s1, s2, s1
	s_mul_i32 s2, s15, s43
	s_lshl_b64 s[4:5], s[0:1], 3
	s_mul_hi_u32 s1, s15, s42
	s_add_u32 s3, s16, s4
	s_addc_u32 s22, s17, s5
	s_lshl_b64 s[6:7], s[18:19], 3
	s_mul_i32 s0, s15, s42
	s_add_u32 s3, s3, s6
	s_addc_u32 s42, s22, s7
	s_add_i32 s1, s1, s2
	s_mul_i32 s23, s31, s15
	s_lshl_b64 s[0:1], s[0:1], 3
	s_mul_i32 s22, s30, s15
	s_add_u32 s2, s36, s0
	s_addc_u32 s18, s37, s1
	s_lshl_b64 s[0:1], s[38:39], 3
	s_delay_alu instid0(SALU_CYCLE_1)
	s_add_u32 s31, s2, s0
	s_addc_u32 s36, s18, s1
	s_lshl_b32 s0, s13, 5
	s_mul_hi_u32 s2, s30, s15
	v_add_nc_u32_e32 v4, s0, v0
	v_add_nc_u32_e32 v6, s0, v30
	s_sub_i32 s37, s9, s0
	s_delay_alu instid0(SALU_CYCLE_1) | instskip(NEXT) | instid1(VALU_DEP_2)
	s_cmp_gt_i32 s37, 0
	v_ashrrev_i32_e32 v5, 31, v4
	v_mul_lo_u32 v2, v4, s21
	v_mad_u64_u32 v[0:1], null, v4, s20, 0
	v_ashrrev_i32_e32 v7, 31, v6
	s_delay_alu instid0(VALU_DEP_4)
	v_mul_lo_u32 v3, v5, s20
	v_add_co_u32 v10, vcc_lo, v4, 16
	v_add_co_ci_u32_e32 v11, vcc_lo, 0, v5, vcc_lo
	s_cselect_b32 s15, -1, 0
	s_cmpk_eq_i32 s8, 0x84
	v_add_nc_u32_e32 v8, 16, v4
	s_delay_alu instid0(VALU_DEP_4)
	v_add3_u32 v1, v1, v2, v3
	v_lshlrev_b64 v[2:3], 3, v[6:7]
	s_cselect_b32 s30, -1, 0
	s_ashr_i32 s13, s9, 31
	s_ashr_i32 s38, s10, 31
	v_lshlrev_b64 v[0:1], 3, v[0:1]
	v_lshlrev_b64 v[12:13], 3, v[4:5]
	s_add_u32 s18, s9, -16
	s_addc_u32 s19, s13, -1
	s_add_i32 s23, s2, s23
	v_cmp_le_i32_e64 s0, s9, v4
	v_add_co_u32 v0, vcc_lo, s3, v0
	v_add_co_ci_u32_e32 v1, vcc_lo, s42, v1, vcc_lo
	v_cmp_gt_i32_e64 s1, s9, v4
	s_delay_alu instid0(VALU_DEP_3) | instskip(NEXT) | instid1(VALU_DEP_3)
	v_add_co_u32 v35, vcc_lo, v0, v2
	v_add_co_ci_u32_e32 v36, vcc_lo, v1, v3, vcc_lo
	v_sub_co_u32 v14, vcc_lo, v4, v6
	v_cmp_gt_i32_e64 s2, s9, v8
	s_lshl_b64 s[8:9], s[22:23], 3
	s_lshl_b64 s[22:23], s[26:27], 3
	v_sub_co_ci_u32_e32 v15, vcc_lo, v5, v7, vcc_lo
	s_add_u32 s8, s8, s22
	v_add_co_u32 v20, vcc_lo, 0x80, v12
	s_addc_u32 s9, s9, s23
	v_add_co_ci_u32_e32 v21, vcc_lo, 0, v13, vcc_lo
	s_add_u32 s8, s24, s8
	s_addc_u32 s24, s25, s9
	s_lshl_b64 s[22:23], s[28:29], 3
	s_lshl_b32 s9, s35, 5
	s_add_u32 s4, s6, s4
	s_addc_u32 s5, s7, s5
	v_mul_lo_u32 v22, s20, v21
	v_mul_lo_u32 v23, s21, v20
	v_mad_u64_u32 v[0:1], null, s20, v20, s[4:5]
	v_add_co_u32 v16, vcc_lo, v14, 16
	v_add_co_ci_u32_e32 v17, vcc_lo, 0, v15, vcc_lo
	v_add_co_u32 v18, vcc_lo, v14, -16
	v_add_co_ci_u32_e32 v19, vcc_lo, -1, v15, vcc_lo
	v_add3_u32 v1, v23, v1, v22
	v_add_co_u32 v20, vcc_lo, v20, s8
	v_add_co_ci_u32_e32 v21, vcc_lo, s24, v21, vcc_lo
	v_add_co_u32 v0, vcc_lo, v0, v2
	s_delay_alu instid0(VALU_DEP_4) | instskip(SKIP_1) | instid1(VALU_DEP_3)
	v_add_co_ci_u32_e32 v1, vcc_lo, v1, v3, vcc_lo
	v_cmp_le_i64_e64 s3, s[12:13], v[10:11]
	v_add_co_u32 v37, vcc_lo, s16, v0
	v_ashrrev_i32_e32 v9, 31, v8
	v_lshl_add_u32 v22, s14, 5, v30
	v_add_co_ci_u32_e32 v38, vcc_lo, s17, v1, vcc_lo
	s_mov_b32 s24, s10
	s_branch .LBB77_4
.LBB77_3:                               ;   in Loop: Header=BB77_4 Depth=1
	s_or_b32 exec_lo, exec_lo, s4
	v_add_nc_u32_e32 v22, s9, v22
	s_add_i32 s14, s35, s14
	s_delay_alu instid0(SALU_CYCLE_1)
	s_cmp_le_i32 s14, s34
	s_cbranch_scc0 .LBB77_63
.LBB77_4:                               ; =>This Loop Header: Depth=1
                                        ;     Child Loop BB77_7 Depth 2
	v_lshl_add_u32 v39, s14, 5, v30
	v_mov_b32_e32 v46, v25
	v_mov_b32_e32 v47, v25
	;; [unrolled: 1-line block ×4, first 2 shown]
	v_ashrrev_i32_e32 v40, 31, v39
	v_mov_b32_e32 v43, v25
	v_mov_b32_e32 v42, v25
	;; [unrolled: 1-line block ×4, first 2 shown]
	s_and_not1_b32 vcc_lo, exec_lo, s15
	s_cbranch_vccnz .LBB77_55
; %bb.5:                                ;   in Loop: Header=BB77_4 Depth=1
	v_ashrrev_i32_e32 v23, 31, v22
	v_mad_u64_u32 v[26:27], null, s22, v22, v[20:21]
	v_mul_lo_u32 v2, s23, v22
	v_mov_b32_e32 v41, 0
	s_delay_alu instid0(VALU_DEP_4) | instskip(SKIP_4) | instid1(VALU_DEP_4)
	v_lshlrev_b64 v[0:1], 3, v[22:23]
	v_mul_lo_u32 v43, s22, v23
	v_dual_mov_b32 v23, 0 :: v_dual_mov_b32 v42, 0
	v_mov_b32_e32 v47, 0
	s_mov_b64 s[16:17], 0
	v_add_co_u32 v3, vcc_lo, 0x80, v0
	v_add_co_ci_u32_e32 v28, vcc_lo, 0, v1, vcc_lo
	v_sub_co_u32 v0, vcc_lo, s24, v39
	s_delay_alu instid0(VALU_DEP_3) | instskip(NEXT) | instid1(VALU_DEP_3)
	v_mul_lo_u32 v45, s29, v3
	v_mul_lo_u32 v44, s28, v28
	v_mad_u64_u32 v[28:29], null, s28, v3, v[20:21]
	v_sub_co_ci_u32_e32 v1, vcc_lo, s38, v40, vcc_lo
	v_add3_u32 v27, v2, v27, v43
	v_dual_mov_b32 v43, 0 :: v_dual_mov_b32 v46, 0
	s_delay_alu instid0(VALU_DEP_3)
	v_cmp_lt_i64_e32 vcc_lo, 0, v[0:1]
	v_cmp_lt_i64_e64 s4, 16, v[0:1]
	v_add3_u32 v29, v45, v29, v44
	v_dual_mov_b32 v45, 0 :: v_dual_mov_b32 v44, 0
	s_mov_b64 s[20:21], 0
	s_branch .LBB77_7
.LBB77_6:                               ;   in Loop: Header=BB77_7 Depth=2
	s_or_b32 exec_lo, exec_lo, s6
	s_waitcnt lgkmcnt(0)
	s_waitcnt_vscnt null, 0x0
	s_barrier
	buffer_gl0_inv
	ds_load_2addr_b64 v[48:51], v31 offset1:16
	ds_load_b128 v[52:55], v32
	ds_load_b128 v[56:59], v32 offset:4096
	ds_load_b128 v[60:63], v32 offset:16
	;; [unrolled: 1-line block ×4, first 2 shown]
	ds_load_2addr_b64 v[68:71], v31 offset0:32 offset1:48
	ds_load_b128 v[72:75], v32 offset:4112
	s_add_u32 s20, s20, 32
	s_addc_u32 s21, s21, 0
	s_add_u32 s16, s16, 0x100
	s_addc_u32 s17, s17, 0
	s_cmp_ge_i32 s20, s37
	s_waitcnt lgkmcnt(6)
	v_dual_mul_f32 v76, v53, v49 :: v_dual_mul_f32 v79, v52, v51
	v_dual_mul_f32 v77, v52, v49 :: v_dual_mul_f32 v78, v53, v51
	s_waitcnt lgkmcnt(5)
	v_mul_f32_e32 v80, v57, v49
	s_delay_alu instid0(VALU_DEP_3)
	v_fma_f32 v76, v52, v48, -v76
	v_mul_f32_e32 v49, v56, v49
	v_fmac_f32_e32 v77, v53, v48
	v_fma_f32 v52, v52, v50, -v78
	v_mul_f32_e32 v81, v57, v51
	v_mul_f32_e32 v51, v56, v51
	v_fmac_f32_e32 v79, v53, v50
	v_fma_f32 v53, v56, v48, -v80
	v_add_f32_e32 v46, v46, v76
	v_fmac_f32_e32 v49, v57, v48
	v_add_f32_e32 v52, v44, v52
	v_fma_f32 v48, v56, v50, -v81
	s_waitcnt lgkmcnt(1)
	v_dual_mul_f32 v56, v55, v69 :: v_dual_fmac_f32 v51, v57, v50
	v_dual_mul_f32 v50, v54, v69 :: v_dual_mul_f32 v57, v55, v71
	s_delay_alu instid0(VALU_DEP_3) | instskip(NEXT) | instid1(VALU_DEP_3)
	v_dual_add_f32 v47, v47, v77 :: v_dual_add_f32 v48, v41, v48
	v_fma_f32 v56, v54, v68, -v56
	s_delay_alu instid0(VALU_DEP_3)
	v_dual_add_f32 v45, v45, v79 :: v_dual_fmac_f32 v50, v55, v68
	v_add_f32_e32 v53, v43, v53
	v_add_f32_e32 v23, v23, v51
	v_mul_f32_e32 v51, v54, v71
	v_add_f32_e32 v56, v46, v56
	v_fma_f32 v46, v54, v70, -v57
	v_mul_f32_e32 v54, v59, v69
	v_dual_add_f32 v49, v42, v49 :: v_dual_add_f32 v50, v47, v50
	ds_load_2addr_b64 v[41:44], v31 offset0:64 offset1:80
	v_fmac_f32_e32 v51, v55, v70
	v_add_f32_e32 v52, v52, v46
	v_fma_f32 v46, v58, v68, -v54
	v_mul_f32_e32 v54, v59, v71
	v_mul_f32_e32 v55, v58, v71
	v_add_f32_e32 v51, v45, v51
	v_mul_f32_e32 v47, v58, v69
	s_delay_alu instid0(VALU_DEP_4) | instskip(NEXT) | instid1(VALU_DEP_4)
	v_fma_f32 v45, v58, v70, -v54
	v_fmac_f32_e32 v55, v59, v70
	s_delay_alu instid0(VALU_DEP_2) | instskip(SKIP_2) | instid1(VALU_DEP_1)
	v_add_f32_e32 v57, v48, v45
	s_waitcnt lgkmcnt(0)
	v_mul_f32_e32 v54, v60, v42
	v_fmac_f32_e32 v54, v61, v41
	s_delay_alu instid0(VALU_DEP_1) | instskip(SKIP_4) | instid1(VALU_DEP_3)
	v_add_f32_e32 v50, v50, v54
	v_add_f32_e32 v53, v53, v46
	v_dual_mul_f32 v46, v61, v42 :: v_dual_add_f32 v23, v23, v55
	v_mul_f32_e32 v54, v73, v42
	v_mul_f32_e32 v42, v72, v42
	v_fma_f32 v58, v60, v41, -v46
	s_delay_alu instid0(VALU_DEP_3) | instskip(NEXT) | instid1(VALU_DEP_2)
	v_fma_f32 v54, v72, v41, -v54
	v_dual_fmac_f32 v42, v73, v41 :: v_dual_add_f32 v55, v56, v58
	v_mul_f32_e32 v56, v60, v44
	v_fmac_f32_e32 v47, v59, v68
	v_mul_f32_e32 v59, v61, v44
	s_delay_alu instid0(VALU_DEP_3) | instskip(NEXT) | instid1(VALU_DEP_2)
	v_fmac_f32_e32 v56, v61, v43
	v_fma_f32 v58, v60, v43, -v59
	s_delay_alu instid0(VALU_DEP_4)
	v_add_f32_e32 v49, v49, v47
	ds_load_2addr_b64 v[45:48], v31 offset0:96 offset1:112
	v_dual_add_f32 v56, v51, v56 :: v_dual_add_f32 v53, v53, v54
	v_add_f32_e32 v52, v52, v58
	v_mul_f32_e32 v58, v73, v44
	v_dual_mul_f32 v59, v72, v44 :: v_dual_add_f32 v54, v49, v42
	s_delay_alu instid0(VALU_DEP_2) | instskip(SKIP_1) | instid1(VALU_DEP_1)
	v_fma_f32 v41, v72, v43, -v58
	s_waitcnt lgkmcnt(0)
	v_dual_add_f32 v57, v57, v41 :: v_dual_mul_f32 v58, v63, v48
	v_mul_f32_e32 v49, v63, v46
	v_mul_f32_e32 v51, v62, v46
	s_delay_alu instid0(VALU_DEP_3) | instskip(SKIP_4) | instid1(VALU_DEP_1)
	v_fma_f32 v58, v62, v47, -v58
	v_fmac_f32_e32 v59, v73, v43
	ds_load_2addr_b64 v[41:44], v31 offset0:128 offset1:144
	v_dual_add_f32 v58, v52, v58 :: v_dual_add_f32 v23, v23, v59
	v_mul_f32_e32 v59, v62, v48
	v_fmac_f32_e32 v59, v63, v47
	s_delay_alu instid0(VALU_DEP_1)
	v_dual_add_f32 v59, v56, v59 :: v_dual_mul_f32 v56, v74, v48
	v_fma_f32 v49, v62, v45, -v49
	v_mul_f32_e32 v62, v75, v48
	s_waitcnt lgkmcnt(0)
	v_mul_f32_e32 v48, v65, v42
	v_fmac_f32_e32 v56, v75, v47
	v_add_f32_e32 v55, v55, v49
	v_mul_f32_e32 v49, v75, v46
	v_dual_mul_f32 v46, v74, v46 :: v_dual_mul_f32 v69, v64, v44
	s_delay_alu instid0(VALU_DEP_2) | instskip(NEXT) | instid1(VALU_DEP_2)
	v_fma_f32 v61, v74, v45, -v49
	v_fmac_f32_e32 v46, v75, v45
	v_fmac_f32_e32 v51, v63, v45
	v_fma_f32 v45, v74, v47, -v62
	s_delay_alu instid0(VALU_DEP_3) | instskip(NEXT) | instid1(VALU_DEP_3)
	v_dual_add_f32 v61, v53, v61 :: v_dual_add_f32 v62, v54, v46
	v_add_f32_e32 v60, v50, v51
	ds_load_b128 v[49:52], v32 offset:4128
	v_fma_f32 v53, v64, v41, -v48
	v_dual_mul_f32 v54, v65, v44 :: v_dual_mul_f32 v63, v64, v42
	v_add_f32_e32 v23, v23, v56
	s_delay_alu instid0(VALU_DEP_3) | instskip(NEXT) | instid1(VALU_DEP_3)
	v_add_f32_e32 v68, v55, v53
	v_fma_f32 v64, v64, v43, -v54
	ds_load_b128 v[53:56], v32 offset:4144
	v_add_f32_e32 v57, v57, v45
	ds_load_2addr_b64 v[45:48], v31 offset0:160 offset1:176
	v_dual_fmac_f32 v69, v65, v43 :: v_dual_add_f32 v58, v58, v64
	s_waitcnt lgkmcnt(2)
	v_mul_f32_e32 v70, v50, v42
	v_mul_f32_e32 v42, v49, v42
	;; [unrolled: 1-line block ×3, first 2 shown]
	s_delay_alu instid0(VALU_DEP_2) | instskip(SKIP_3) | instid1(VALU_DEP_2)
	v_fmac_f32_e32 v42, v50, v41
	v_fmac_f32_e32 v63, v65, v41
	s_waitcnt lgkmcnt(0)
	v_dual_mul_f32 v65, v49, v44 :: v_dual_mul_f32 v44, v67, v46
	v_add_f32_e32 v60, v60, v63
	s_delay_alu instid0(VALU_DEP_2) | instskip(SKIP_4) | instid1(VALU_DEP_4)
	v_fmac_f32_e32 v65, v50, v43
	v_mul_f32_e32 v50, v66, v46
	v_fma_f32 v63, v49, v41, -v70
	v_fma_f32 v41, v49, v43, -v64
	v_mul_f32_e32 v64, v66, v48
	v_dual_add_f32 v49, v62, v42 :: v_dual_fmac_f32 v50, v67, v45
	s_delay_alu instid0(VALU_DEP_4) | instskip(NEXT) | instid1(VALU_DEP_4)
	v_add_f32_e32 v61, v61, v63
	v_add_f32_e32 v57, v57, v41
	v_fma_f32 v62, v66, v45, -v44
	s_delay_alu instid0(VALU_DEP_4) | instskip(SKIP_2) | instid1(VALU_DEP_4)
	v_dual_add_f32 v59, v59, v69 :: v_dual_add_f32 v50, v60, v50
	v_mul_f32_e32 v60, v52, v46
	v_mul_f32_e32 v46, v51, v46
	v_dual_add_f32 v62, v68, v62 :: v_dual_mul_f32 v63, v67, v48
	ds_load_2addr_b64 v[41:44], v31 offset0:192 offset1:208
	v_fmac_f32_e32 v64, v67, v47
	v_fmac_f32_e32 v46, v52, v45
	v_fma_f32 v60, v51, v45, -v60
	v_fma_f32 v63, v66, v47, -v63
	v_add_f32_e32 v23, v23, v65
	v_add_f32_e32 v59, v59, v64
	v_dual_mul_f32 v64, v51, v48 :: v_dual_add_f32 v49, v49, v46
	s_delay_alu instid0(VALU_DEP_4) | instskip(NEXT) | instid1(VALU_DEP_2)
	v_dual_add_f32 v58, v58, v63 :: v_dual_mul_f32 v63, v52, v48
	v_fmac_f32_e32 v64, v52, v47
	s_delay_alu instid0(VALU_DEP_2) | instskip(SKIP_1) | instid1(VALU_DEP_1)
	v_fma_f32 v45, v51, v47, -v63
	s_waitcnt lgkmcnt(0)
	v_dual_add_f32 v52, v57, v45 :: v_dual_mul_f32 v57, v0, v42
	ds_load_2addr_b64 v[45:48], v31 offset0:224 offset1:240
	v_add_f32_e32 v51, v61, v60
	v_mul_f32_e32 v60, v1, v42
	v_mul_f32_e32 v61, v1, v44
	;; [unrolled: 1-line block ×3, first 2 shown]
	s_delay_alu instid0(VALU_DEP_3) | instskip(SKIP_1) | instid1(VALU_DEP_4)
	v_fma_f32 v60, v0, v41, -v60
	v_fmac_f32_e32 v57, v1, v41
	v_fma_f32 v0, v0, v43, -v61
	v_mul_f32_e32 v61, v54, v42
	v_fmac_f32_e32 v63, v1, v43
	v_dual_mul_f32 v1, v53, v42 :: v_dual_mul_f32 v42, v54, v44
	s_delay_alu instid0(VALU_DEP_4) | instskip(NEXT) | instid1(VALU_DEP_4)
	v_add_f32_e32 v58, v58, v0
	v_fma_f32 v0, v53, v41, -v61
	v_mul_f32_e32 v61, v53, v44
	s_delay_alu instid0(VALU_DEP_4)
	v_fmac_f32_e32 v1, v54, v41
	v_fma_f32 v41, v53, v43, -v42
	v_add_f32_e32 v60, v62, v60
	s_waitcnt lgkmcnt(0)
	v_mul_f32_e32 v42, v3, v46
	v_add_f32_e32 v62, v51, v0
	v_dual_add_f32 v53, v52, v41 :: v_dual_add_nc_u32 v0, 0x800, v31
	v_fmac_f32_e32 v61, v54, v43
	s_delay_alu instid0(VALU_DEP_4)
	v_fma_f32 v54, v2, v45, -v42
	v_add_f32_e32 v23, v23, v64
	v_dual_add_f32 v57, v50, v57 :: v_dual_mul_f32 v64, v3, v48
	v_add_f32_e32 v1, v49, v1
	ds_load_2addr_b64 v[41:44], v0 offset1:16
	ds_load_b128 v[49:52], v32 offset:64
	v_dual_add_f32 v54, v60, v54 :: v_dual_add_f32 v23, v23, v61
	v_mul_f32_e32 v61, v2, v48
	v_dual_add_f32 v59, v59, v63 :: v_dual_mul_f32 v60, v56, v46
	s_delay_alu instid0(VALU_DEP_2) | instskip(SKIP_2) | instid1(VALU_DEP_3)
	v_fmac_f32_e32 v61, v3, v47
	v_mul_f32_e32 v63, v2, v46
	v_fma_f32 v2, v2, v47, -v64
	v_add_f32_e32 v66, v59, v61
	s_delay_alu instid0(VALU_DEP_3) | instskip(SKIP_1) | instid1(VALU_DEP_4)
	v_fmac_f32_e32 v63, v3, v45
	v_mul_f32_e32 v3, v55, v46
	v_add_f32_e32 v2, v58, v2
	v_fma_f32 v46, v55, v45, -v60
	s_delay_alu instid0(VALU_DEP_4)
	v_add_f32_e32 v65, v57, v63
	v_mul_f32_e32 v63, v56, v48
	v_fmac_f32_e32 v3, v56, v45
	ds_load_b128 v[57:60], v32 offset:4160
	s_waitcnt lgkmcnt(1)
	v_mul_f32_e32 v70, v49, v44
	v_fma_f32 v45, v55, v47, -v63
	s_delay_alu instid0(VALU_DEP_2) | instskip(NEXT) | instid1(VALU_DEP_2)
	v_dual_mul_f32 v55, v55, v48 :: v_dual_fmac_f32 v70, v50, v43
	v_dual_add_f32 v68, v53, v45 :: v_dual_add_f32 v67, v62, v46
	v_mul_f32_e32 v46, v50, v42
	ds_load_b128 v[61:64], v32 offset:80
	v_dual_fmac_f32 v55, v56, v47 :: v_dual_mul_f32 v56, v50, v44
	v_fma_f32 v53, v49, v41, -v46
	ds_load_2addr_b64 v[45:48], v0 offset0:32 offset1:48
	v_add_f32_e32 v1, v1, v3
	v_mul_f32_e32 v3, v49, v42
	v_fma_f32 v49, v49, v43, -v56
	s_delay_alu instid0(VALU_DEP_2) | instskip(NEXT) | instid1(VALU_DEP_2)
	v_fmac_f32_e32 v3, v50, v41
	v_add_f32_e32 v2, v2, v49
	s_waitcnt lgkmcnt(2)
	v_mul_f32_e32 v49, v58, v44
	s_delay_alu instid0(VALU_DEP_3) | instskip(SKIP_2) | instid1(VALU_DEP_2)
	v_add_f32_e32 v3, v65, v3
	v_mul_f32_e32 v65, v58, v42
	v_dual_mul_f32 v42, v57, v42 :: v_dual_add_f32 v23, v23, v55
	v_fma_f32 v50, v57, v41, -v65
	v_dual_add_f32 v65, v66, v70 :: v_dual_mul_f32 v66, v57, v44
	s_delay_alu instid0(VALU_DEP_3) | instskip(SKIP_1) | instid1(VALU_DEP_4)
	v_fmac_f32_e32 v42, v58, v41
	v_fma_f32 v41, v57, v43, -v49
	v_add_f32_e32 v49, v67, v50
	s_waitcnt lgkmcnt(0)
	v_mul_f32_e32 v44, v52, v46
	v_dual_fmac_f32 v66, v58, v43 :: v_dual_mul_f32 v67, v52, v48
	v_dual_mul_f32 v57, v51, v46 :: v_dual_add_f32 v50, v68, v41
	s_delay_alu instid0(VALU_DEP_3) | instskip(NEXT) | instid1(VALU_DEP_3)
	v_fma_f32 v58, v51, v45, -v44
	v_add_f32_e32 v23, v23, v66
	v_mul_f32_e32 v66, v51, v48
	v_fma_f32 v51, v51, v47, -v67
	v_mul_f32_e32 v67, v60, v46
	v_dual_mul_f32 v46, v59, v46 :: v_dual_fmac_f32 v57, v52, v45
	s_delay_alu instid0(VALU_DEP_4) | instskip(NEXT) | instid1(VALU_DEP_4)
	v_fmac_f32_e32 v66, v52, v47
	v_dual_add_f32 v2, v2, v51 :: v_dual_add_f32 v1, v1, v42
	ds_load_2addr_b64 v[41:44], v0 offset0:64 offset1:80
	v_fma_f32 v51, v59, v45, -v67
	v_fmac_f32_e32 v46, v60, v45
	v_mul_f32_e32 v45, v60, v48
	v_add_f32_e32 v69, v54, v53
	ds_load_b128 v[53:56], v32 offset:4176
	v_add_f32_e32 v3, v3, v57
	v_mul_f32_e32 v57, v59, v48
	v_add_f32_e32 v49, v49, v51
	v_fma_f32 v51, v59, v47, -v45
	v_add_f32_e32 v58, v69, v58
	s_delay_alu instid0(VALU_DEP_4) | instskip(NEXT) | instid1(VALU_DEP_1)
	v_dual_add_f32 v52, v65, v66 :: v_dual_fmac_f32 v57, v60, v47
	v_dual_add_f32 v50, v50, v51 :: v_dual_add_f32 v23, v23, v57
	s_waitcnt lgkmcnt(1)
	v_mul_f32_e32 v59, v62, v42
	v_mul_f32_e32 v65, v61, v44
	;; [unrolled: 1-line block ×3, first 2 shown]
	s_delay_alu instid0(VALU_DEP_3) | instskip(SKIP_1) | instid1(VALU_DEP_4)
	v_fma_f32 v51, v61, v41, -v59
	v_mul_f32_e32 v59, v62, v44
	v_fmac_f32_e32 v65, v62, v43
	s_delay_alu instid0(VALU_DEP_4) | instskip(NEXT) | instid1(VALU_DEP_4)
	v_fmac_f32_e32 v60, v62, v41
	v_add_f32_e32 v57, v58, v51
	s_delay_alu instid0(VALU_DEP_4) | instskip(SKIP_3) | instid1(VALU_DEP_3)
	v_fma_f32 v51, v61, v43, -v59
	s_waitcnt lgkmcnt(0)
	v_dual_mul_f32 v58, v54, v42 :: v_dual_add_f32 v59, v52, v65
	v_mul_f32_e32 v42, v53, v42
	v_dual_add_f32 v2, v2, v51 :: v_dual_add_f32 v1, v1, v46
	ds_load_2addr_b64 v[45:48], v0 offset0:96 offset1:112
	v_fma_f32 v52, v53, v41, -v58
	v_mul_f32_e32 v58, v53, v44
	v_mul_f32_e32 v51, v54, v44
	v_fmac_f32_e32 v42, v54, v41
	s_delay_alu instid0(VALU_DEP_3) | instskip(NEXT) | instid1(VALU_DEP_3)
	v_fmac_f32_e32 v58, v54, v43
	v_fma_f32 v41, v53, v43, -v51
	s_delay_alu instid0(VALU_DEP_1)
	v_dual_add_f32 v23, v23, v58 :: v_dual_add_f32 v54, v50, v41
	s_waitcnt lgkmcnt(0)
	v_mul_f32_e32 v44, v64, v46
	v_mul_f32_e32 v62, v64, v48
	v_mul_f32_e32 v58, v63, v48
	v_mul_f32_e32 v61, v63, v46
	s_delay_alu instid0(VALU_DEP_3) | instskip(NEXT) | instid1(VALU_DEP_3)
	v_fma_f32 v62, v63, v47, -v62
	v_dual_fmac_f32 v58, v64, v47 :: v_dual_add_f32 v3, v3, v60
	v_fma_f32 v60, v63, v45, -v44
	s_delay_alu instid0(VALU_DEP_3) | instskip(SKIP_1) | instid1(VALU_DEP_3)
	v_add_f32_e32 v2, v2, v62
	v_dual_mul_f32 v62, v56, v48 :: v_dual_add_f32 v1, v1, v42
	v_add_f32_e32 v65, v57, v60
	v_mul_f32_e32 v57, v56, v46
	v_dual_mul_f32 v46, v55, v46 :: v_dual_add_f32 v53, v49, v52
	ds_load_2addr_b64 v[41:44], v0 offset0:128 offset1:144
	ds_load_b128 v[49:52], v32 offset:96
	v_add_f32_e32 v66, v59, v58
	v_fmac_f32_e32 v46, v56, v45
	s_waitcnt lgkmcnt(0)
	v_mul_f32_e32 v70, v49, v44
	s_delay_alu instid0(VALU_DEP_1) | instskip(NEXT) | instid1(VALU_DEP_1)
	v_dual_mul_f32 v69, v49, v42 :: v_dual_fmac_f32 v70, v50, v43
	v_dual_fmac_f32 v61, v64, v45 :: v_dual_add_f32 v66, v66, v70
	s_delay_alu instid0(VALU_DEP_1)
	v_add_f32_e32 v3, v3, v61
	v_fma_f32 v61, v55, v45, -v57
	ds_load_b128 v[57:60], v32 offset:4192
	v_fma_f32 v45, v55, v47, -v62
	v_add_f32_e32 v67, v53, v61
	ds_load_b128 v[61:64], v32 offset:112
	v_dual_mul_f32 v53, v55, v48 :: v_dual_mul_f32 v48, v50, v42
	v_add_f32_e32 v68, v54, v45
	v_mul_f32_e32 v55, v50, v44
	v_fmac_f32_e32 v69, v50, v41
	s_delay_alu instid0(VALU_DEP_4) | instskip(SKIP_1) | instid1(VALU_DEP_4)
	v_fmac_f32_e32 v53, v56, v47
	v_fma_f32 v54, v49, v41, -v48
	v_fma_f32 v49, v49, v43, -v55
	s_delay_alu instid0(VALU_DEP_4) | instskip(NEXT) | instid1(VALU_DEP_2)
	v_add_f32_e32 v3, v3, v69
	v_add_f32_e32 v2, v2, v49
	s_waitcnt lgkmcnt(1)
	v_mul_f32_e32 v71, v58, v42
	v_mul_f32_e32 v42, v57, v42
	;; [unrolled: 1-line block ×4, first 2 shown]
	s_delay_alu instid0(VALU_DEP_4) | instskip(NEXT) | instid1(VALU_DEP_4)
	v_fma_f32 v49, v57, v41, -v71
	v_dual_fmac_f32 v42, v58, v41 :: v_dual_add_f32 v1, v1, v46
	ds_load_2addr_b64 v[45:48], v0 offset0:160 offset1:176
	v_fma_f32 v41, v57, v43, -v50
	v_fmac_f32_e32 v69, v58, v43
	v_add_f32_e32 v1, v1, v42
	s_delay_alu instid0(VALU_DEP_3) | instskip(SKIP_3) | instid1(VALU_DEP_2)
	v_add_f32_e32 v57, v68, v41
	s_waitcnt lgkmcnt(0)
	v_mul_f32_e32 v44, v52, v46
	v_mul_f32_e32 v50, v51, v46
	v_fma_f32 v58, v51, v45, -v44
	ds_load_2addr_b64 v[41:44], v0 offset0:192 offset1:208
	v_fmac_f32_e32 v50, v52, v45
	s_delay_alu instid0(VALU_DEP_1)
	v_add_f32_e32 v3, v3, v50
	v_mul_f32_e32 v50, v60, v46
	v_add_f32_e32 v65, v65, v54
	v_mul_f32_e32 v46, v59, v46
	;; [unrolled: 2-line block ×3, first 2 shown]
	v_fma_f32 v50, v59, v45, -v50
	v_dual_add_f32 v58, v65, v58 :: v_dual_mul_f32 v65, v51, v48
	v_fmac_f32_e32 v46, v60, v45
	s_delay_alu instid0(VALU_DEP_4) | instskip(NEXT) | instid1(VALU_DEP_4)
	v_fma_f32 v51, v51, v47, -v67
	v_add_f32_e32 v49, v49, v50
	s_waitcnt lgkmcnt(0)
	v_dual_fmac_f32 v65, v52, v47 :: v_dual_mul_f32 v50, v62, v42
	s_delay_alu instid0(VALU_DEP_3) | instskip(NEXT) | instid1(VALU_DEP_2)
	v_dual_add_f32 v2, v2, v51 :: v_dual_mul_f32 v51, v60, v48
	v_dual_add_f32 v1, v1, v46 :: v_dual_add_f32 v52, v66, v65
	v_mul_f32_e32 v65, v59, v48
	s_delay_alu instid0(VALU_DEP_3) | instskip(SKIP_1) | instid1(VALU_DEP_3)
	v_fma_f32 v45, v59, v47, -v51
	v_mul_f32_e32 v59, v61, v44
	v_fmac_f32_e32 v65, v60, v47
	s_delay_alu instid0(VALU_DEP_3) | instskip(SKIP_4) | instid1(VALU_DEP_3)
	v_add_f32_e32 v51, v57, v45
	ds_load_2addr_b64 v[45:48], v0 offset0:224 offset1:240
	v_fma_f32 v0, v61, v41, -v50
	v_dual_mul_f32 v50, v62, v44 :: v_dual_mul_f32 v57, v61, v42
	v_fmac_f32_e32 v59, v62, v43
	v_dual_add_f32 v58, v58, v0 :: v_dual_add_f32 v23, v23, v53
	ds_load_b128 v[53:56], v32 offset:4208
	v_fma_f32 v0, v61, v43, -v50
	v_fmac_f32_e32 v57, v62, v41
	s_delay_alu instid0(VALU_DEP_1) | instskip(SKIP_3) | instid1(VALU_DEP_2)
	v_dual_add_f32 v2, v2, v0 :: v_dual_add_f32 v3, v3, v57
	s_waitcnt lgkmcnt(1)
	v_dual_add_f32 v57, v52, v59 :: v_dual_mul_f32 v60, v63, v46
	v_mul_f32_e32 v62, v64, v48
	v_fmac_f32_e32 v60, v64, v45
	s_waitcnt lgkmcnt(0)
	v_mul_f32_e32 v50, v54, v42
	v_mul_f32_e32 v42, v53, v42
	;; [unrolled: 1-line block ×3, first 2 shown]
	v_add_f32_e32 v23, v23, v69
	s_delay_alu instid0(VALU_DEP_4) | instskip(SKIP_3) | instid1(VALU_DEP_4)
	v_fma_f32 v0, v53, v41, -v50
	v_mul_f32_e32 v50, v54, v44
	v_fmac_f32_e32 v42, v54, v41
	v_dual_mul_f32 v44, v64, v46 :: v_dual_fmac_f32 v59, v54, v43
	v_add_f32_e32 v61, v49, v0
	s_delay_alu instid0(VALU_DEP_4) | instskip(NEXT) | instid1(VALU_DEP_4)
	v_fma_f32 v41, v53, v43, -v50
	v_dual_add_f32 v1, v1, v42 :: v_dual_add_nc_u32 v0, 0x1000, v31
	s_delay_alu instid0(VALU_DEP_4) | instskip(NEXT) | instid1(VALU_DEP_3)
	v_fma_f32 v54, v63, v45, -v44
	v_add_f32_e32 v53, v51, v41
	ds_load_2addr_b64 v[41:44], v0 offset1:16
	ds_load_b128 v[49:52], v32 offset:128
	v_add_f32_e32 v54, v58, v54
	v_fma_f32 v58, v63, v47, -v62
	v_mul_f32_e32 v62, v56, v46
	v_mul_f32_e32 v46, v55, v46
	s_delay_alu instid0(VALU_DEP_3) | instskip(NEXT) | instid1(VALU_DEP_3)
	v_add_f32_e32 v2, v2, v58
	v_fma_f32 v62, v55, v45, -v62
	s_delay_alu instid0(VALU_DEP_3) | instskip(NEXT) | instid1(VALU_DEP_2)
	v_fmac_f32_e32 v46, v56, v45
	v_add_f32_e32 v66, v61, v62
	s_delay_alu instid0(VALU_DEP_2) | instskip(SKIP_2) | instid1(VALU_DEP_1)
	v_add_f32_e32 v1, v1, v46
	s_waitcnt lgkmcnt(0)
	v_dual_mul_f32 v70, v49, v44 :: v_dual_add_f32 v23, v23, v65
	v_dual_mul_f32 v67, v49, v42 :: v_dual_fmac_f32 v70, v50, v43
	s_delay_alu instid0(VALU_DEP_2) | instskip(SKIP_2) | instid1(VALU_DEP_1)
	v_add_f32_e32 v23, v23, v59
	v_mul_f32_e32 v59, v63, v48
	v_mul_f32_e32 v63, v56, v48
	v_fma_f32 v45, v55, v47, -v63
	v_dual_mul_f32 v55, v55, v48 :: v_dual_mul_f32 v48, v50, v42
	s_delay_alu instid0(VALU_DEP_1) | instskip(NEXT) | instid1(VALU_DEP_2)
	v_dual_add_f32 v68, v53, v45 :: v_dual_fmac_f32 v55, v56, v47
	v_fma_f32 v53, v49, v41, -v48
	s_delay_alu instid0(VALU_DEP_2) | instskip(NEXT) | instid1(VALU_DEP_2)
	v_dual_mul_f32 v56, v50, v44 :: v_dual_add_f32 v23, v23, v55
	v_add_f32_e32 v69, v54, v53
	s_delay_alu instid0(VALU_DEP_2)
	v_fma_f32 v49, v49, v43, -v56
	ds_load_b128 v[53:56], v32 offset:4240
	v_fmac_f32_e32 v59, v64, v47
	v_add_f32_e32 v3, v3, v60
	ds_load_2addr_b64 v[45:48], v0 offset0:32 offset1:48
	ds_load_b128 v[61:64], v32 offset:144
	v_fmac_f32_e32 v67, v50, v41
	v_add_f32_e32 v65, v57, v59
	ds_load_b128 v[57:60], v32 offset:4224
	v_dual_add_f32 v2, v2, v49 :: v_dual_add_f32 v3, v3, v67
	v_add_f32_e32 v65, v65, v70
	s_waitcnt lgkmcnt(0)
	v_mul_f32_e32 v67, v58, v42
	v_dual_mul_f32 v42, v57, v42 :: v_dual_mul_f32 v49, v58, v44
	s_delay_alu instid0(VALU_DEP_2) | instskip(NEXT) | instid1(VALU_DEP_2)
	v_fma_f32 v50, v57, v41, -v67
	v_dual_fmac_f32 v42, v58, v41 :: v_dual_mul_f32 v67, v57, v44
	s_delay_alu instid0(VALU_DEP_3) | instskip(SKIP_1) | instid1(VALU_DEP_4)
	v_fma_f32 v41, v57, v43, -v49
	v_mul_f32_e32 v44, v52, v46
	v_add_f32_e32 v49, v66, v50
	s_delay_alu instid0(VALU_DEP_4) | instskip(NEXT) | instid1(VALU_DEP_4)
	v_add_f32_e32 v1, v1, v42
	v_dual_fmac_f32 v67, v58, v43 :: v_dual_add_f32 v50, v68, v41
	s_delay_alu instid0(VALU_DEP_4) | instskip(SKIP_4) | instid1(VALU_DEP_3)
	v_fma_f32 v58, v51, v45, -v44
	ds_load_2addr_b64 v[41:44], v0 offset0:64 offset1:80
	v_dual_mul_f32 v57, v51, v46 :: v_dual_mul_f32 v66, v52, v48
	v_add_f32_e32 v23, v23, v67
	v_dual_mul_f32 v67, v51, v48 :: v_dual_add_f32 v58, v69, v58
	v_fmac_f32_e32 v57, v52, v45
	s_delay_alu instid0(VALU_DEP_4) | instskip(SKIP_1) | instid1(VALU_DEP_4)
	v_fma_f32 v51, v51, v47, -v66
	v_mul_f32_e32 v66, v60, v46
	v_dual_mul_f32 v46, v59, v46 :: v_dual_fmac_f32 v67, v52, v47
	s_delay_alu instid0(VALU_DEP_3) | instskip(NEXT) | instid1(VALU_DEP_3)
	v_dual_add_f32 v3, v3, v57 :: v_dual_add_f32 v2, v2, v51
	v_fma_f32 v51, v59, v45, -v66
	s_delay_alu instid0(VALU_DEP_3) | instskip(SKIP_2) | instid1(VALU_DEP_4)
	v_fmac_f32_e32 v46, v60, v45
	v_mul_f32_e32 v45, v60, v48
	v_dual_mul_f32 v57, v59, v48 :: v_dual_add_f32 v52, v65, v67
	v_add_f32_e32 v49, v49, v51
	s_delay_alu instid0(VALU_DEP_4) | instskip(NEXT) | instid1(VALU_DEP_4)
	v_add_f32_e32 v1, v1, v46
	v_fma_f32 v51, v59, v47, -v45
	s_waitcnt lgkmcnt(0)
	v_mul_f32_e32 v59, v62, v42
	v_fmac_f32_e32 v57, v60, v47
	ds_load_2addr_b64 v[45:48], v0 offset0:96 offset1:112
	v_dual_mul_f32 v65, v61, v44 :: v_dual_add_f32 v50, v50, v51
	v_fma_f32 v51, v61, v41, -v59
	v_mul_f32_e32 v59, v62, v44
	v_dual_add_f32 v23, v23, v57 :: v_dual_mul_f32 v60, v61, v42
	s_delay_alu instid0(VALU_DEP_4) | instskip(NEXT) | instid1(VALU_DEP_4)
	v_fmac_f32_e32 v65, v62, v43
	v_add_f32_e32 v57, v58, v51
	s_delay_alu instid0(VALU_DEP_4) | instskip(SKIP_3) | instid1(VALU_DEP_4)
	v_fma_f32 v51, v61, v43, -v59
	v_mul_f32_e32 v58, v54, v42
	v_mul_f32_e32 v42, v53, v42
	v_fmac_f32_e32 v60, v62, v41
	v_dual_add_f32 v59, v52, v65 :: v_dual_add_f32 v2, v2, v51
	v_mul_f32_e32 v51, v54, v44
	v_fma_f32 v52, v53, v41, -v58
	v_fmac_f32_e32 v42, v54, v41
	v_mul_f32_e32 v58, v53, v44
	v_add_f32_e32 v3, v3, v60
	v_fma_f32 v41, v53, v43, -v51
	s_waitcnt lgkmcnt(0)
	v_dual_mul_f32 v44, v64, v46 :: v_dual_add_f32 v53, v49, v52
	v_dual_add_f32 v1, v1, v42 :: v_dual_fmac_f32 v58, v54, v43
	s_delay_alu instid0(VALU_DEP_3) | instskip(NEXT) | instid1(VALU_DEP_3)
	v_add_f32_e32 v54, v50, v41
	v_fma_f32 v60, v63, v45, -v44
	ds_load_2addr_b64 v[41:44], v0 offset0:128 offset1:144
	ds_load_b128 v[49:52], v32 offset:160
	v_dual_mul_f32 v61, v63, v46 :: v_dual_mul_f32 v62, v64, v48
	v_add_f32_e32 v23, v23, v58
	v_mul_f32_e32 v58, v63, v48
	v_add_f32_e32 v65, v57, v60
	s_delay_alu instid0(VALU_DEP_4) | instskip(SKIP_4) | instid1(VALU_DEP_4)
	v_fmac_f32_e32 v61, v64, v45
	v_fma_f32 v62, v63, v47, -v62
	v_mul_f32_e32 v57, v56, v46
	v_fmac_f32_e32 v58, v64, v47
	v_mul_f32_e32 v46, v55, v46
	v_dual_add_f32 v3, v3, v61 :: v_dual_add_f32 v2, v2, v62
	s_delay_alu instid0(VALU_DEP_4)
	v_fma_f32 v61, v55, v45, -v57
	v_mul_f32_e32 v62, v56, v48
	v_add_f32_e32 v66, v59, v58
	ds_load_b128 v[57:60], v32 offset:4256
	v_fmac_f32_e32 v46, v56, v45
	v_add_f32_e32 v67, v53, v61
	v_fma_f32 v45, v55, v47, -v62
	ds_load_b128 v[61:64], v32 offset:176
	s_waitcnt lgkmcnt(2)
	v_dual_mul_f32 v53, v55, v48 :: v_dual_mul_f32 v48, v50, v42
	v_mul_f32_e32 v55, v50, v44
	v_dual_add_f32 v68, v54, v45 :: v_dual_mul_f32 v69, v49, v42
	s_delay_alu instid0(VALU_DEP_3) | instskip(NEXT) | instid1(VALU_DEP_4)
	v_fmac_f32_e32 v53, v56, v47
	v_fma_f32 v54, v49, v41, -v48
	v_mul_f32_e32 v70, v49, v44
	v_fma_f32 v49, v49, v43, -v55
	v_fmac_f32_e32 v69, v50, v41
	v_add_f32_e32 v23, v23, v53
	v_add_f32_e32 v65, v65, v54
	ds_load_b128 v[53:56], v32 offset:4272
	v_add_f32_e32 v1, v1, v46
	ds_load_2addr_b64 v[45:48], v0 offset0:160 offset1:176
	s_waitcnt lgkmcnt(3)
	v_mul_f32_e32 v71, v58, v42
	v_dual_add_f32 v3, v3, v69 :: v_dual_fmac_f32 v70, v50, v43
	v_mul_f32_e32 v42, v57, v42
	v_add_f32_e32 v2, v2, v49
	s_delay_alu instid0(VALU_DEP_4) | instskip(SKIP_1) | instid1(VALU_DEP_4)
	v_fma_f32 v49, v57, v41, -v71
	v_mul_f32_e32 v50, v58, v44
	v_dual_mul_f32 v69, v57, v44 :: v_dual_fmac_f32 v42, v58, v41
	s_delay_alu instid0(VALU_DEP_3) | instskip(NEXT) | instid1(VALU_DEP_3)
	v_dual_add_f32 v66, v66, v70 :: v_dual_add_f32 v49, v67, v49
	v_fma_f32 v41, v57, v43, -v50
	s_delay_alu instid0(VALU_DEP_3) | instskip(NEXT) | instid1(VALU_DEP_4)
	v_fmac_f32_e32 v69, v58, v43
	v_add_f32_e32 v1, v1, v42
	s_delay_alu instid0(VALU_DEP_3) | instskip(SKIP_3) | instid1(VALU_DEP_2)
	v_add_f32_e32 v57, v68, v41
	s_waitcnt lgkmcnt(0)
	v_mul_f32_e32 v44, v52, v46
	v_dual_mul_f32 v50, v51, v46 :: v_dual_mul_f32 v67, v52, v48
	v_fma_f32 v58, v51, v45, -v44
	ds_load_2addr_b64 v[41:44], v0 offset0:192 offset1:208
	v_fmac_f32_e32 v50, v52, v45
	v_dual_add_f32 v58, v65, v58 :: v_dual_mul_f32 v65, v51, v48
	v_fma_f32 v51, v51, v47, -v67
	s_delay_alu instid0(VALU_DEP_3) | instskip(SKIP_1) | instid1(VALU_DEP_4)
	v_add_f32_e32 v3, v3, v50
	v_mul_f32_e32 v50, v60, v46
	v_dual_mul_f32 v46, v59, v46 :: v_dual_fmac_f32 v65, v52, v47
	s_delay_alu instid0(VALU_DEP_4) | instskip(NEXT) | instid1(VALU_DEP_3)
	v_dual_add_f32 v2, v2, v51 :: v_dual_mul_f32 v51, v60, v48
	v_fma_f32 v50, v59, v45, -v50
	s_delay_alu instid0(VALU_DEP_3) | instskip(NEXT) | instid1(VALU_DEP_4)
	v_fmac_f32_e32 v46, v60, v45
	v_dual_add_f32 v52, v66, v65 :: v_dual_mul_f32 v65, v59, v48
	s_delay_alu instid0(VALU_DEP_4) | instskip(NEXT) | instid1(VALU_DEP_4)
	v_fma_f32 v45, v59, v47, -v51
	v_add_f32_e32 v49, v49, v50
	s_delay_alu instid0(VALU_DEP_4)
	v_add_f32_e32 v1, v1, v46
	s_waitcnt lgkmcnt(0)
	v_dual_mul_f32 v50, v62, v42 :: v_dual_fmac_f32 v65, v60, v47
	v_add_f32_e32 v51, v57, v45
	ds_load_2addr_b64 v[45:48], v0 offset0:224 offset1:240
	v_mul_f32_e32 v57, v61, v42
	v_fma_f32 v0, v61, v41, -v50
	v_mul_f32_e32 v50, v62, v44
	v_mul_f32_e32 v59, v61, v44
	s_delay_alu instid0(VALU_DEP_4) | instskip(NEXT) | instid1(VALU_DEP_4)
	v_fmac_f32_e32 v57, v62, v41
	v_add_f32_e32 v58, v58, v0
	s_delay_alu instid0(VALU_DEP_4) | instskip(SKIP_3) | instid1(VALU_DEP_4)
	v_fma_f32 v0, v61, v43, -v50
	v_mul_f32_e32 v50, v54, v42
	v_fmac_f32_e32 v59, v62, v43
	v_dual_add_f32 v3, v3, v57 :: v_dual_mul_f32 v42, v53, v42
	v_add_f32_e32 v2, v2, v0
	s_delay_alu instid0(VALU_DEP_4) | instskip(NEXT) | instid1(VALU_DEP_4)
	v_fma_f32 v0, v53, v41, -v50
	v_dual_mul_f32 v50, v54, v44 :: v_dual_add_f32 v57, v52, v59
	s_delay_alu instid0(VALU_DEP_4) | instskip(SKIP_1) | instid1(VALU_DEP_3)
	v_dual_mul_f32 v59, v53, v44 :: v_dual_fmac_f32 v42, v54, v41
	s_waitcnt lgkmcnt(0)
	v_dual_add_f32 v61, v49, v0 :: v_dual_mul_f32 v44, v64, v46
	s_delay_alu instid0(VALU_DEP_2) | instskip(SKIP_2) | instid1(VALU_DEP_4)
	v_dual_mul_f32 v62, v64, v48 :: v_dual_fmac_f32 v59, v54, v43
	v_fma_f32 v41, v53, v43, -v50
	v_add_nc_u32_e32 v0, 0x1800, v31
	v_fma_f32 v54, v63, v45, -v44
	v_add_f32_e32 v1, v1, v42
	v_mul_f32_e32 v60, v63, v46
	v_add_f32_e32 v53, v51, v41
	ds_load_2addr_b64 v[41:44], v0 offset1:16
	ds_load_b128 v[49:52], v32 offset:192
	v_add_f32_e32 v54, v58, v54
	v_fma_f32 v58, v63, v47, -v62
	v_fmac_f32_e32 v60, v64, v45
	v_mul_f32_e32 v62, v56, v46
	v_mul_f32_e32 v46, v55, v46
	s_delay_alu instid0(VALU_DEP_4) | instskip(NEXT) | instid1(VALU_DEP_4)
	v_dual_add_f32 v2, v2, v58 :: v_dual_add_f32 v23, v23, v69
	v_add_f32_e32 v3, v3, v60
	s_delay_alu instid0(VALU_DEP_4) | instskip(NEXT) | instid1(VALU_DEP_4)
	v_fma_f32 v62, v55, v45, -v62
	v_fmac_f32_e32 v46, v56, v45
	s_delay_alu instid0(VALU_DEP_2) | instskip(NEXT) | instid1(VALU_DEP_2)
	v_dual_add_f32 v23, v23, v65 :: v_dual_add_f32 v66, v61, v62
	v_add_f32_e32 v1, v1, v46
	s_delay_alu instid0(VALU_DEP_2) | instskip(SKIP_4) | instid1(VALU_DEP_3)
	v_add_f32_e32 v23, v23, v59
	v_mul_f32_e32 v59, v63, v48
	v_mul_f32_e32 v63, v56, v48
	s_waitcnt lgkmcnt(0)
	v_mul_f32_e32 v67, v49, v42
	v_dual_mul_f32 v70, v49, v44 :: v_dual_fmac_f32 v59, v64, v47
	s_delay_alu instid0(VALU_DEP_3) | instskip(SKIP_1) | instid1(VALU_DEP_4)
	v_fma_f32 v45, v55, v47, -v63
	v_dual_mul_f32 v55, v55, v48 :: v_dual_mul_f32 v48, v50, v42
	v_fmac_f32_e32 v67, v50, v41
	s_delay_alu instid0(VALU_DEP_4)
	v_add_f32_e32 v65, v57, v59
	ds_load_b128 v[57:60], v32 offset:4288
	ds_load_b128 v[61:64], v32 offset:208
	v_dual_fmac_f32 v55, v56, v47 :: v_dual_add_f32 v68, v53, v45
	v_fma_f32 v53, v49, v41, -v48
	ds_load_2addr_b64 v[45:48], v0 offset0:32 offset1:48
	v_dual_mul_f32 v56, v50, v44 :: v_dual_add_f32 v3, v3, v67
	v_fmac_f32_e32 v70, v50, v43
	v_add_f32_e32 v23, v23, v55
	v_add_f32_e32 v69, v54, v53
	s_delay_alu instid0(VALU_DEP_4)
	v_fma_f32 v49, v49, v43, -v56
	ds_load_b128 v[53:56], v32 offset:4304
	v_dual_add_f32 v65, v65, v70 :: v_dual_add_f32 v2, v2, v49
	s_waitcnt lgkmcnt(3)
	v_mul_f32_e32 v67, v58, v42
	v_dual_mul_f32 v42, v57, v42 :: v_dual_mul_f32 v49, v58, v44
	s_delay_alu instid0(VALU_DEP_2) | instskip(NEXT) | instid1(VALU_DEP_2)
	v_fma_f32 v50, v57, v41, -v67
	v_dual_fmac_f32 v42, v58, v41 :: v_dual_mul_f32 v67, v57, v44
	s_delay_alu instid0(VALU_DEP_3)
	v_fma_f32 v41, v57, v43, -v49
	s_waitcnt lgkmcnt(1)
	v_mul_f32_e32 v44, v52, v46
	v_add_f32_e32 v49, v66, v50
	v_add_f32_e32 v1, v1, v42
	v_dual_fmac_f32 v67, v58, v43 :: v_dual_add_f32 v50, v68, v41
	s_delay_alu instid0(VALU_DEP_4) | instskip(SKIP_4) | instid1(VALU_DEP_3)
	v_fma_f32 v58, v51, v45, -v44
	ds_load_2addr_b64 v[41:44], v0 offset0:64 offset1:80
	v_dual_mul_f32 v57, v51, v46 :: v_dual_mul_f32 v66, v52, v48
	v_add_f32_e32 v23, v23, v67
	v_dual_mul_f32 v67, v51, v48 :: v_dual_add_f32 v58, v69, v58
	v_fmac_f32_e32 v57, v52, v45
	s_delay_alu instid0(VALU_DEP_4) | instskip(SKIP_1) | instid1(VALU_DEP_4)
	v_fma_f32 v51, v51, v47, -v66
	v_mul_f32_e32 v66, v60, v46
	v_dual_mul_f32 v46, v59, v46 :: v_dual_fmac_f32 v67, v52, v47
	s_delay_alu instid0(VALU_DEP_3) | instskip(NEXT) | instid1(VALU_DEP_3)
	v_dual_add_f32 v3, v3, v57 :: v_dual_add_f32 v2, v2, v51
	v_fma_f32 v51, v59, v45, -v66
	s_delay_alu instid0(VALU_DEP_3) | instskip(SKIP_2) | instid1(VALU_DEP_4)
	v_fmac_f32_e32 v46, v60, v45
	v_mul_f32_e32 v45, v60, v48
	v_dual_mul_f32 v57, v59, v48 :: v_dual_add_f32 v52, v65, v67
	v_add_f32_e32 v49, v49, v51
	s_delay_alu instid0(VALU_DEP_4) | instskip(NEXT) | instid1(VALU_DEP_4)
	v_add_f32_e32 v1, v1, v46
	v_fma_f32 v51, v59, v47, -v45
	s_waitcnt lgkmcnt(0)
	v_mul_f32_e32 v59, v62, v42
	v_fmac_f32_e32 v57, v60, v47
	ds_load_2addr_b64 v[45:48], v0 offset0:96 offset1:112
	v_dual_mul_f32 v65, v61, v44 :: v_dual_add_f32 v50, v50, v51
	v_fma_f32 v51, v61, v41, -v59
	v_mul_f32_e32 v59, v62, v44
	v_dual_add_f32 v23, v23, v57 :: v_dual_mul_f32 v60, v61, v42
	s_delay_alu instid0(VALU_DEP_4) | instskip(NEXT) | instid1(VALU_DEP_4)
	v_fmac_f32_e32 v65, v62, v43
	v_add_f32_e32 v57, v58, v51
	s_delay_alu instid0(VALU_DEP_4) | instskip(SKIP_3) | instid1(VALU_DEP_4)
	v_fma_f32 v51, v61, v43, -v59
	v_mul_f32_e32 v58, v54, v42
	v_mul_f32_e32 v42, v53, v42
	v_fmac_f32_e32 v60, v62, v41
	v_dual_add_f32 v59, v52, v65 :: v_dual_add_f32 v2, v2, v51
	v_mul_f32_e32 v51, v54, v44
	v_fma_f32 v52, v53, v41, -v58
	v_fmac_f32_e32 v42, v54, v41
	v_mul_f32_e32 v58, v53, v44
	v_add_f32_e32 v3, v3, v60
	v_fma_f32 v41, v53, v43, -v51
	s_waitcnt lgkmcnt(0)
	v_dual_mul_f32 v44, v64, v46 :: v_dual_add_f32 v53, v49, v52
	v_dual_add_f32 v1, v1, v42 :: v_dual_fmac_f32 v58, v54, v43
	s_delay_alu instid0(VALU_DEP_3) | instskip(NEXT) | instid1(VALU_DEP_3)
	v_add_f32_e32 v54, v50, v41
	v_fma_f32 v60, v63, v45, -v44
	ds_load_2addr_b64 v[41:44], v0 offset0:128 offset1:144
	ds_load_b128 v[49:52], v32 offset:224
	v_dual_mul_f32 v61, v63, v46 :: v_dual_mul_f32 v62, v64, v48
	v_add_f32_e32 v23, v23, v58
	v_mul_f32_e32 v58, v63, v48
	v_add_f32_e32 v65, v57, v60
	s_delay_alu instid0(VALU_DEP_4) | instskip(SKIP_4) | instid1(VALU_DEP_4)
	v_fmac_f32_e32 v61, v64, v45
	v_fma_f32 v62, v63, v47, -v62
	v_mul_f32_e32 v57, v56, v46
	v_fmac_f32_e32 v58, v64, v47
	v_mul_f32_e32 v46, v55, v46
	v_dual_add_f32 v3, v3, v61 :: v_dual_add_f32 v2, v2, v62
	s_delay_alu instid0(VALU_DEP_4)
	v_fma_f32 v61, v55, v45, -v57
	v_mul_f32_e32 v62, v56, v48
	v_add_f32_e32 v66, v59, v58
	ds_load_b128 v[57:60], v32 offset:4320
	v_fmac_f32_e32 v46, v56, v45
	v_add_f32_e32 v67, v53, v61
	v_mul_f32_e32 v53, v55, v48
	v_fma_f32 v45, v55, v47, -v62
	ds_load_b128 v[61:64], v32 offset:240
	s_waitcnt lgkmcnt(2)
	v_mul_f32_e32 v48, v50, v42
	v_add_f32_e32 v1, v1, v46
	v_dual_fmac_f32 v53, v56, v47 :: v_dual_add_f32 v68, v54, v45
	v_mul_f32_e32 v69, v49, v42
	s_delay_alu instid0(VALU_DEP_4)
	v_fma_f32 v54, v49, v41, -v48
	ds_load_2addr_b64 v[45:48], v0 offset0:160 offset1:176
	v_mul_f32_e32 v55, v50, v44
	v_dual_mul_f32 v70, v49, v44 :: v_dual_fmac_f32 v69, v50, v41
	v_add_f32_e32 v65, v65, v54
	v_add_f32_e32 v23, v23, v53
	s_delay_alu instid0(VALU_DEP_4) | instskip(NEXT) | instid1(VALU_DEP_4)
	v_fma_f32 v49, v49, v43, -v55
	v_fmac_f32_e32 v70, v50, v43
	s_waitcnt lgkmcnt(2)
	v_mul_f32_e32 v71, v58, v42
	v_mul_f32_e32 v42, v57, v42
	v_dual_mul_f32 v50, v58, v44 :: v_dual_add_f32 v3, v3, v69
	v_add_f32_e32 v2, v2, v49
	s_delay_alu instid0(VALU_DEP_4) | instskip(NEXT) | instid1(VALU_DEP_4)
	v_fma_f32 v49, v57, v41, -v71
	v_dual_fmac_f32 v42, v58, v41 :: v_dual_mul_f32 v69, v57, v44
	s_delay_alu instid0(VALU_DEP_4)
	v_fma_f32 v41, v57, v43, -v50
	ds_load_b128 v[53:56], v32 offset:4336
	v_add_f32_e32 v49, v67, v49
	v_add_f32_e32 v1, v1, v42
	s_waitcnt lgkmcnt(1)
	v_dual_mul_f32 v44, v52, v46 :: v_dual_fmac_f32 v69, v58, v43
	v_dual_mul_f32 v50, v51, v46 :: v_dual_add_f32 v57, v68, v41
	v_mul_f32_e32 v67, v52, v48
	s_delay_alu instid0(VALU_DEP_3)
	v_fma_f32 v58, v51, v45, -v44
	ds_load_2addr_b64 v[41:44], v0 offset0:192 offset1:208
	v_fmac_f32_e32 v50, v52, v45
	v_dual_add_f32 v23, v23, v69 :: v_dual_add_f32 v66, v66, v70
	v_dual_add_f32 v58, v65, v58 :: v_dual_mul_f32 v65, v51, v48
	v_fma_f32 v51, v51, v47, -v67
	s_delay_alu instid0(VALU_DEP_4) | instskip(SKIP_1) | instid1(VALU_DEP_4)
	v_add_f32_e32 v50, v3, v50
	v_mul_f32_e32 v3, v60, v46
	v_dual_mul_f32 v46, v59, v46 :: v_dual_fmac_f32 v65, v52, v47
	s_delay_alu instid0(VALU_DEP_4) | instskip(NEXT) | instid1(VALU_DEP_3)
	v_dual_add_f32 v51, v2, v51 :: v_dual_mul_f32 v2, v60, v48
	v_fma_f32 v3, v59, v45, -v3
	s_delay_alu instid0(VALU_DEP_3) | instskip(NEXT) | instid1(VALU_DEP_4)
	v_fmac_f32_e32 v46, v60, v45
	v_dual_mul_f32 v48, v59, v48 :: v_dual_add_f32 v45, v66, v65
	s_delay_alu instid0(VALU_DEP_4) | instskip(NEXT) | instid1(VALU_DEP_4)
	v_fma_f32 v2, v59, v47, -v2
	v_add_f32_e32 v49, v49, v3
	s_delay_alu instid0(VALU_DEP_4)
	v_add_f32_e32 v46, v1, v46
	s_waitcnt lgkmcnt(0)
	v_mul_f32_e32 v52, v62, v42
	v_dual_fmac_f32 v48, v60, v47 :: v_dual_add_f32 v47, v57, v2
	ds_load_2addr_b64 v[0:3], v0 offset0:224 offset1:240
	v_mul_f32_e32 v57, v61, v42
	v_fma_f32 v52, v61, v41, -v52
	v_add_f32_e32 v23, v23, v48
	v_mul_f32_e32 v48, v62, v44
	v_mul_f32_e32 v59, v61, v44
	v_fmac_f32_e32 v57, v62, v41
	v_add_f32_e32 v52, v58, v52
	v_mul_f32_e32 v58, v54, v42
	v_fma_f32 v48, v61, v43, -v48
	v_mul_f32_e32 v42, v53, v42
	v_add_f32_e32 v50, v50, v57
	v_fmac_f32_e32 v59, v62, v43
	v_fma_f32 v57, v53, v41, -v58
	v_add_f32_e32 v48, v51, v48
	v_mul_f32_e32 v51, v54, v44
	v_fmac_f32_e32 v42, v54, v41
	v_mul_f32_e32 v44, v53, v44
	v_add_f32_e32 v41, v49, v57
	v_add_f32_e32 v45, v45, v59
	v_fma_f32 v49, v53, v43, -v51
	s_waitcnt lgkmcnt(0)
	v_mul_f32_e32 v51, v64, v1
	v_dual_mul_f32 v53, v63, v1 :: v_dual_fmac_f32 v44, v54, v43
	s_delay_alu instid0(VALU_DEP_3) | instskip(NEXT) | instid1(VALU_DEP_3)
	v_dual_add_f32 v42, v46, v42 :: v_dual_add_f32 v49, v47, v49
	v_fma_f32 v43, v63, v0, -v51
	s_delay_alu instid0(VALU_DEP_3) | instskip(SKIP_2) | instid1(VALU_DEP_4)
	v_fmac_f32_e32 v53, v64, v0
	v_mul_f32_e32 v51, v64, v3
	v_mul_f32_e32 v54, v63, v3
	v_dual_add_f32 v23, v23, v44 :: v_dual_add_f32 v46, v52, v43
	s_delay_alu instid0(VALU_DEP_4) | instskip(NEXT) | instid1(VALU_DEP_4)
	v_add_f32_e32 v47, v50, v53
	v_fma_f32 v43, v63, v2, -v51
	v_mul_f32_e32 v50, v56, v1
	v_mul_f32_e32 v1, v55, v1
	;; [unrolled: 1-line block ×3, first 2 shown]
	v_dual_mul_f32 v3, v55, v3 :: v_dual_fmac_f32 v54, v64, v2
	v_add_f32_e32 v44, v48, v43
	v_fma_f32 v43, v55, v0, -v50
	v_fmac_f32_e32 v1, v56, v0
	v_fma_f32 v0, v55, v2, -v51
	v_fmac_f32_e32 v3, v56, v2
	v_add_f32_e32 v45, v45, v54
	s_delay_alu instid0(VALU_DEP_4) | instskip(NEXT) | instid1(VALU_DEP_4)
	v_dual_add_f32 v43, v41, v43 :: v_dual_add_f32 v42, v42, v1
	v_add_f32_e32 v41, v49, v0
	s_delay_alu instid0(VALU_DEP_4)
	v_add_f32_e32 v23, v23, v3
	s_barrier
	buffer_gl0_inv
	s_cbranch_scc1 .LBB77_55
.LBB77_7:                               ;   Parent Loop BB77_4 Depth=1
                                        ; =>  This Inner Loop Header: Depth=2
	v_add_co_u32 v2, s5, v6, s20
	s_delay_alu instid0(VALU_DEP_1) | instskip(SKIP_1) | instid1(VALU_DEP_2)
	v_add_co_ci_u32_e64 v3, s5, s21, v7, s5
	v_cmp_eq_u64_e64 s7, s[20:21], v[14:15]
	v_cmp_le_i64_e64 s6, s[12:13], v[2:3]
	v_cmp_lt_i64_e64 s5, v[2:3], v[4:5]
	s_delay_alu instid0(VALU_DEP_3) | instskip(NEXT) | instid1(VALU_DEP_1)
	s_and_b32 s26, s30, s7
	s_or_b32 s7, s6, s5
	s_delay_alu instid0(SALU_CYCLE_1) | instskip(SKIP_1) | instid1(VALU_DEP_1)
	s_or_b32 s8, s7, s26
	v_add_co_u32 v0, s7, v35, s16
	v_add_co_ci_u32_e64 v1, s7, s17, v36, s7
	s_or_b32 s7, s0, s8
	s_delay_alu instid0(SALU_CYCLE_1) | instskip(NEXT) | instid1(SALU_CYCLE_1)
	s_xor_b32 s7, s7, -1
	s_and_saveexec_b32 s8, s7
	s_delay_alu instid0(SALU_CYCLE_1)
	s_xor_b32 s7, exec_lo, s8
	s_cbranch_execz .LBB77_9
; %bb.8:                                ;   in Loop: Header=BB77_7 Depth=2
	global_load_b64 v[48:49], v[0:1], off
	s_waitcnt vmcnt(0)
	ds_store_b64 v33, v[48:49]
.LBB77_9:                               ;   in Loop: Header=BB77_7 Depth=2
	s_or_saveexec_b32 s7, s7
	s_xor_b32 s25, s26, -1
	s_xor_b32 exec_lo, exec_lo, s7
	s_cbranch_execz .LBB77_15
; %bb.10:                               ;   in Loop: Header=BB77_7 Depth=2
	s_and_saveexec_b32 s8, s25
	s_delay_alu instid0(SALU_CYCLE_1)
	s_xor_b32 s8, exec_lo, s8
	s_cbranch_execz .LBB77_12
; %bb.11:                               ;   in Loop: Header=BB77_7 Depth=2
	v_mov_b32_e32 v48, v25
	v_mov_b32_e32 v49, v25
	ds_store_b64 v33, v[48:49]
.LBB77_12:                              ;   in Loop: Header=BB77_7 Depth=2
	s_and_not1_saveexec_b32 s8, s8
	s_cbranch_execz .LBB77_14
; %bb.13:                               ;   in Loop: Header=BB77_7 Depth=2
	ds_store_b64 v33, v[24:25]
.LBB77_14:                              ;   in Loop: Header=BB77_7 Depth=2
	s_or_b32 exec_lo, exec_lo, s8
.LBB77_15:                              ;   in Loop: Header=BB77_7 Depth=2
	s_delay_alu instid0(SALU_CYCLE_1) | instskip(SKIP_2) | instid1(VALU_DEP_2)
	s_or_b32 exec_lo, exec_lo, s7
	v_cmp_eq_u64_e64 s7, s[20:21], v[16:17]
	v_cmp_gt_i64_e64 s8, v[10:11], v[2:3]
	s_and_b32 s7, s30, s7
	s_delay_alu instid0(VALU_DEP_1) | instskip(NEXT) | instid1(SALU_CYCLE_1)
	s_or_b32 s6, s6, s8
	s_or_b32 s6, s6, s7
	s_delay_alu instid0(SALU_CYCLE_1) | instskip(NEXT) | instid1(SALU_CYCLE_1)
	s_or_b32 s6, s3, s6
	s_xor_b32 s6, s6, -1
	s_delay_alu instid0(SALU_CYCLE_1) | instskip(NEXT) | instid1(SALU_CYCLE_1)
	s_and_saveexec_b32 s8, s6
	s_xor_b32 s8, exec_lo, s8
	s_cbranch_execz .LBB77_17
; %bb.16:                               ;   in Loop: Header=BB77_7 Depth=2
	v_add_co_u32 v48, s6, v37, s16
	s_delay_alu instid0(VALU_DEP_1)
	v_add_co_ci_u32_e64 v49, s6, s17, v38, s6
	global_load_b64 v[48:49], v[48:49], off
	s_waitcnt vmcnt(0)
	ds_store_b64 v33, v[48:49] offset:128
.LBB77_17:                              ;   in Loop: Header=BB77_7 Depth=2
	s_and_not1_saveexec_b32 s6, s8
	s_cbranch_execz .LBB77_23
; %bb.18:                               ;   in Loop: Header=BB77_7 Depth=2
	s_xor_b32 s7, s7, -1
	s_delay_alu instid0(SALU_CYCLE_1) | instskip(NEXT) | instid1(SALU_CYCLE_1)
	s_and_saveexec_b32 s8, s7
	s_xor_b32 s7, exec_lo, s8
	s_cbranch_execz .LBB77_20
; %bb.19:                               ;   in Loop: Header=BB77_7 Depth=2
	v_mov_b32_e32 v48, v25
	v_mov_b32_e32 v49, v25
	ds_store_b64 v33, v[48:49] offset:128
.LBB77_20:                              ;   in Loop: Header=BB77_7 Depth=2
	s_and_not1_saveexec_b32 s7, s7
	s_cbranch_execz .LBB77_22
; %bb.21:                               ;   in Loop: Header=BB77_7 Depth=2
	ds_store_b64 v33, v[24:25] offset:128
.LBB77_22:                              ;   in Loop: Header=BB77_7 Depth=2
	s_or_b32 exec_lo, exec_lo, s7
.LBB77_23:                              ;   in Loop: Header=BB77_7 Depth=2
	s_delay_alu instid0(SALU_CYCLE_1) | instskip(SKIP_1) | instid1(VALU_DEP_1)
	s_or_b32 exec_lo, exec_lo, s6
	v_add_co_u32 v2, s6, v2, 16
	v_add_co_ci_u32_e64 v3, s6, 0, v3, s6
	v_cmp_eq_u64_e64 s7, s[20:21], v[18:19]
	s_delay_alu instid0(VALU_DEP_2) | instskip(SKIP_1) | instid1(VALU_DEP_3)
	v_cmp_le_i64_e64 s6, s[12:13], v[2:3]
	v_cmp_lt_i64_e64 s8, v[2:3], v[4:5]
	s_and_b32 s27, s30, s7
	s_delay_alu instid0(VALU_DEP_1) | instskip(NEXT) | instid1(SALU_CYCLE_1)
	s_or_b32 s7, s6, s8
	s_or_b32 s7, s7, s27
	s_delay_alu instid0(SALU_CYCLE_1) | instskip(NEXT) | instid1(SALU_CYCLE_1)
	s_or_b32 s7, s0, s7
	s_xor_b32 s7, s7, -1
	s_delay_alu instid0(SALU_CYCLE_1) | instskip(NEXT) | instid1(SALU_CYCLE_1)
	s_and_saveexec_b32 s8, s7
	s_xor_b32 s7, exec_lo, s8
	s_cbranch_execz .LBB77_25
; %bb.24:                               ;   in Loop: Header=BB77_7 Depth=2
	global_load_b64 v[0:1], v[0:1], off offset:128
	s_waitcnt vmcnt(0)
	ds_store_b64 v33, v[0:1] offset:4096
.LBB77_25:                              ;   in Loop: Header=BB77_7 Depth=2
	s_and_not1_saveexec_b32 s7, s7
	s_cbranch_execz .LBB77_31
; %bb.26:                               ;   in Loop: Header=BB77_7 Depth=2
	s_xor_b32 s8, s27, -1
	s_delay_alu instid0(SALU_CYCLE_1) | instskip(NEXT) | instid1(SALU_CYCLE_1)
	s_and_saveexec_b32 s27, s8
	s_xor_b32 s8, exec_lo, s27
	s_cbranch_execz .LBB77_28
; %bb.27:                               ;   in Loop: Header=BB77_7 Depth=2
	v_mov_b32_e32 v0, v25
	v_mov_b32_e32 v1, v25
	ds_store_b64 v33, v[0:1] offset:4096
.LBB77_28:                              ;   in Loop: Header=BB77_7 Depth=2
	s_and_not1_saveexec_b32 s8, s8
	s_cbranch_execz .LBB77_30
; %bb.29:                               ;   in Loop: Header=BB77_7 Depth=2
	ds_store_b64 v33, v[24:25] offset:4096
.LBB77_30:                              ;   in Loop: Header=BB77_7 Depth=2
	s_or_b32 exec_lo, exec_lo, s8
.LBB77_31:                              ;   in Loop: Header=BB77_7 Depth=2
	s_delay_alu instid0(SALU_CYCLE_1) | instskip(SKIP_1) | instid1(SALU_CYCLE_1)
	s_or_b32 exec_lo, exec_lo, s7
	s_or_b32 s5, s6, s5
	s_or_b32 s5, s5, s26
	s_delay_alu instid0(SALU_CYCLE_1) | instskip(NEXT) | instid1(SALU_CYCLE_1)
	s_or_b32 s5, s3, s5
	s_xor_b32 s5, s5, -1
	s_delay_alu instid0(SALU_CYCLE_1) | instskip(NEXT) | instid1(SALU_CYCLE_1)
	s_and_saveexec_b32 s6, s5
	s_xor_b32 s6, exec_lo, s6
	s_cbranch_execz .LBB77_33
; %bb.32:                               ;   in Loop: Header=BB77_7 Depth=2
	v_add_co_u32 v0, s5, v37, s16
	s_delay_alu instid0(VALU_DEP_1)
	v_add_co_ci_u32_e64 v1, s5, s17, v38, s5
	global_load_b64 v[0:1], v[0:1], off offset:128
	s_waitcnt vmcnt(0)
	ds_store_b64 v33, v[0:1] offset:4224
.LBB77_33:                              ;   in Loop: Header=BB77_7 Depth=2
	s_and_not1_saveexec_b32 s5, s6
	s_cbranch_execz .LBB77_39
; %bb.34:                               ;   in Loop: Header=BB77_7 Depth=2
	s_and_saveexec_b32 s6, s25
	s_delay_alu instid0(SALU_CYCLE_1)
	s_xor_b32 s6, exec_lo, s6
	s_cbranch_execz .LBB77_36
; %bb.35:                               ;   in Loop: Header=BB77_7 Depth=2
	v_mov_b32_e32 v0, v25
	v_mov_b32_e32 v1, v25
	ds_store_b64 v33, v[0:1] offset:4224
.LBB77_36:                              ;   in Loop: Header=BB77_7 Depth=2
	s_and_not1_saveexec_b32 s6, s6
	s_cbranch_execz .LBB77_38
; %bb.37:                               ;   in Loop: Header=BB77_7 Depth=2
	ds_store_b64 v33, v[24:25] offset:4224
.LBB77_38:                              ;   in Loop: Header=BB77_7 Depth=2
	s_or_b32 exec_lo, exec_lo, s6
.LBB77_39:                              ;   in Loop: Header=BB77_7 Depth=2
	s_delay_alu instid0(SALU_CYCLE_1) | instskip(SKIP_1) | instid1(VALU_DEP_1)
	s_or_b32 exec_lo, exec_lo, s5
	v_add_co_u32 v0, s5, v4, s20
	v_add_co_ci_u32_e64 v1, s5, s21, v5, s5
	s_delay_alu instid0(VALU_DEP_1) | instskip(NEXT) | instid1(VALU_DEP_1)
	v_cmp_gt_i64_e64 s5, s[12:13], v[0:1]
	s_and_b32 s6, vcc_lo, s5
	s_delay_alu instid0(SALU_CYCLE_1) | instskip(NEXT) | instid1(SALU_CYCLE_1)
	s_xor_b32 s6, s6, -1
	s_and_saveexec_b32 s7, s6
	s_delay_alu instid0(SALU_CYCLE_1)
	s_xor_b32 s6, exec_lo, s7
	s_cbranch_execz .LBB77_41
; %bb.40:                               ;   in Loop: Header=BB77_7 Depth=2
	v_mov_b32_e32 v2, v25
	v_mov_b32_e32 v3, v25
	ds_store_b64 v34, v[2:3]
.LBB77_41:                              ;   in Loop: Header=BB77_7 Depth=2
	s_or_saveexec_b32 s7, s6
	v_add_co_u32 v2, s6, v26, s16
	s_delay_alu instid0(VALU_DEP_1)
	v_add_co_ci_u32_e64 v3, s6, s17, v27, s6
	s_xor_b32 exec_lo, exec_lo, s7
	s_cbranch_execz .LBB77_43
; %bb.42:                               ;   in Loop: Header=BB77_7 Depth=2
	global_load_b64 v[48:49], v[2:3], off offset:-128
	s_waitcnt vmcnt(0)
	ds_store_b64 v34, v[48:49]
.LBB77_43:                              ;   in Loop: Header=BB77_7 Depth=2
	s_or_b32 exec_lo, exec_lo, s7
	v_cmp_gt_i64_e64 s6, s[18:19], v[0:1]
	s_delay_alu instid0(VALU_DEP_1) | instskip(NEXT) | instid1(SALU_CYCLE_1)
	s_and_b32 s7, vcc_lo, s6
	s_xor_b32 s7, s7, -1
	s_delay_alu instid0(SALU_CYCLE_1) | instskip(NEXT) | instid1(SALU_CYCLE_1)
	s_and_saveexec_b32 s8, s7
	s_xor_b32 s7, exec_lo, s8
	s_cbranch_execz .LBB77_45
; %bb.44:                               ;   in Loop: Header=BB77_7 Depth=2
	v_mov_b32_e32 v0, v25
	v_mov_b32_e32 v1, v25
                                        ; implicit-def: $vgpr2_vgpr3
	ds_store_b64 v34, v[0:1] offset:128
.LBB77_45:                              ;   in Loop: Header=BB77_7 Depth=2
	s_and_not1_saveexec_b32 s7, s7
	s_cbranch_execz .LBB77_47
; %bb.46:                               ;   in Loop: Header=BB77_7 Depth=2
	global_load_b64 v[0:1], v[2:3], off
	s_waitcnt vmcnt(0)
	ds_store_b64 v34, v[0:1] offset:128
.LBB77_47:                              ;   in Loop: Header=BB77_7 Depth=2
	s_or_b32 exec_lo, exec_lo, s7
	s_and_b32 s5, s4, s5
	s_delay_alu instid0(SALU_CYCLE_1) | instskip(NEXT) | instid1(SALU_CYCLE_1)
	s_xor_b32 s5, s5, -1
	s_and_saveexec_b32 s7, s5
	s_delay_alu instid0(SALU_CYCLE_1)
	s_xor_b32 s5, exec_lo, s7
	s_cbranch_execz .LBB77_49
; %bb.48:                               ;   in Loop: Header=BB77_7 Depth=2
	v_mov_b32_e32 v0, v25
	v_mov_b32_e32 v1, v25
	ds_store_b64 v34, v[0:1] offset:4096
.LBB77_49:                              ;   in Loop: Header=BB77_7 Depth=2
	s_and_not1_saveexec_b32 s7, s5
	s_cbranch_execz .LBB77_51
; %bb.50:                               ;   in Loop: Header=BB77_7 Depth=2
	v_add_co_u32 v0, s5, v28, s16
	s_delay_alu instid0(VALU_DEP_1)
	v_add_co_ci_u32_e64 v1, s5, s17, v29, s5
	global_load_b64 v[0:1], v[0:1], off offset:-128
	s_waitcnt vmcnt(0)
	ds_store_b64 v34, v[0:1] offset:4096
.LBB77_51:                              ;   in Loop: Header=BB77_7 Depth=2
	s_or_b32 exec_lo, exec_lo, s7
	s_and_b32 s5, s4, s6
	s_delay_alu instid0(SALU_CYCLE_1) | instskip(NEXT) | instid1(SALU_CYCLE_1)
	s_xor_b32 s5, s5, -1
	s_and_saveexec_b32 s6, s5
	s_delay_alu instid0(SALU_CYCLE_1)
	s_xor_b32 s5, exec_lo, s6
	s_cbranch_execz .LBB77_53
; %bb.52:                               ;   in Loop: Header=BB77_7 Depth=2
	v_mov_b32_e32 v0, v25
	v_mov_b32_e32 v1, v25
	ds_store_b64 v34, v[0:1] offset:4224
.LBB77_53:                              ;   in Loop: Header=BB77_7 Depth=2
	s_and_not1_saveexec_b32 s6, s5
	s_cbranch_execz .LBB77_6
; %bb.54:                               ;   in Loop: Header=BB77_7 Depth=2
	v_add_co_u32 v0, s5, v28, s16
	s_delay_alu instid0(VALU_DEP_1)
	v_add_co_ci_u32_e64 v1, s5, s17, v29, s5
	global_load_b64 v[0:1], v[0:1], off
	s_waitcnt vmcnt(0)
	ds_store_b64 v34, v[0:1] offset:4224
	s_branch .LBB77_6
.LBB77_55:                              ;   in Loop: Header=BB77_4 Depth=1
	v_mul_lo_u32 v2, v40, s40
	v_mul_lo_u32 v3, v39, s41
	v_mad_u64_u32 v[0:1], null, v39, s40, 0
	v_cmp_gt_i32_e32 vcc_lo, s10, v39
	s_delay_alu instid0(VALU_DEP_2) | instskip(NEXT) | instid1(VALU_DEP_1)
	v_add3_u32 v1, v1, v3, v2
	v_lshlrev_b64 v[0:1], 3, v[0:1]
	s_delay_alu instid0(VALU_DEP_1) | instskip(NEXT) | instid1(VALU_DEP_1)
	v_add_co_u32 v0, s4, s31, v0
	v_add_co_ci_u32_e64 v1, s4, s36, v1, s4
	s_and_b32 s4, s1, vcc_lo
	s_delay_alu instid0(SALU_CYCLE_1)
	s_and_saveexec_b32 s5, s4
	s_cbranch_execz .LBB77_57
; %bb.56:                               ;   in Loop: Header=BB77_4 Depth=1
	v_add_co_u32 v2, s4, v0, v12
	s_delay_alu instid0(VALU_DEP_1) | instskip(SKIP_2) | instid1(VALU_DEP_1)
	v_add_co_ci_u32_e64 v3, s4, v1, v13, s4
	global_load_b64 v[26:27], v[2:3], off
	v_mul_f32_e32 v29, s11, v47
	v_dual_mul_f32 v28, s33, v47 :: v_dual_fmac_f32 v29, s33, v46
	s_delay_alu instid0(VALU_DEP_1) | instskip(SKIP_1) | instid1(VALU_DEP_1)
	v_fma_f32 v28, v46, s11, -v28
	s_waitcnt vmcnt(0)
	v_dual_add_f32 v26, v26, v28 :: v_dual_add_f32 v27, v27, v29
	global_store_b64 v[2:3], v[26:27], off
.LBB77_57:                              ;   in Loop: Header=BB77_4 Depth=1
	s_or_b32 exec_lo, exec_lo, s5
	s_and_b32 s5, s2, vcc_lo
	s_delay_alu instid0(SALU_CYCLE_1)
	s_and_saveexec_b32 s4, s5
	s_cbranch_execz .LBB77_59
; %bb.58:                               ;   in Loop: Header=BB77_4 Depth=1
	v_lshlrev_b64 v[2:3], 3, v[8:9]
	s_delay_alu instid0(VALU_DEP_1) | instskip(NEXT) | instid1(VALU_DEP_2)
	v_add_co_u32 v0, vcc_lo, v0, v2
	v_add_co_ci_u32_e32 v1, vcc_lo, v1, v3, vcc_lo
	global_load_b64 v[2:3], v[0:1], off
	v_mul_f32_e32 v27, s11, v45
	s_delay_alu instid0(VALU_DEP_1) | instskip(NEXT) | instid1(VALU_DEP_1)
	v_dual_mul_f32 v26, s33, v45 :: v_dual_fmac_f32 v27, s33, v44
	v_fma_f32 v26, v44, s11, -v26
	s_waitcnt vmcnt(0)
	s_delay_alu instid0(VALU_DEP_1)
	v_dual_add_f32 v2, v2, v26 :: v_dual_add_f32 v3, v3, v27
	global_store_b64 v[0:1], v[2:3], off
.LBB77_59:                              ;   in Loop: Header=BB77_4 Depth=1
	s_or_b32 exec_lo, exec_lo, s4
	v_add_nc_u32_e32 v2, 16, v39
	s_delay_alu instid0(VALU_DEP_1) | instskip(SKIP_3) | instid1(VALU_DEP_4)
	v_ashrrev_i32_e32 v3, 31, v2
	v_mul_lo_u32 v26, v2, s41
	v_mad_u64_u32 v[0:1], null, v2, s40, 0
	v_cmp_gt_i32_e32 vcc_lo, s10, v2
	v_mul_lo_u32 v3, v3, s40
	s_delay_alu instid0(VALU_DEP_1) | instskip(NEXT) | instid1(VALU_DEP_1)
	v_add3_u32 v1, v1, v26, v3
	v_lshlrev_b64 v[0:1], 3, v[0:1]
	s_delay_alu instid0(VALU_DEP_1) | instskip(NEXT) | instid1(VALU_DEP_1)
	v_add_co_u32 v0, s4, s31, v0
	v_add_co_ci_u32_e64 v1, s4, s36, v1, s4
	s_and_b32 s4, s1, vcc_lo
	s_delay_alu instid0(SALU_CYCLE_1)
	s_and_saveexec_b32 s5, s4
	s_cbranch_execz .LBB77_61
; %bb.60:                               ;   in Loop: Header=BB77_4 Depth=1
	v_add_co_u32 v2, s4, v0, v12
	s_delay_alu instid0(VALU_DEP_1) | instskip(SKIP_2) | instid1(VALU_DEP_1)
	v_add_co_ci_u32_e64 v3, s4, v1, v13, s4
	global_load_b64 v[26:27], v[2:3], off
	v_mul_f32_e32 v29, s11, v42
	v_dual_mul_f32 v28, s33, v42 :: v_dual_fmac_f32 v29, s33, v43
	s_delay_alu instid0(VALU_DEP_1) | instskip(SKIP_1) | instid1(VALU_DEP_1)
	v_fma_f32 v28, v43, s11, -v28
	s_waitcnt vmcnt(0)
	v_dual_add_f32 v26, v26, v28 :: v_dual_add_f32 v27, v27, v29
	global_store_b64 v[2:3], v[26:27], off
.LBB77_61:                              ;   in Loop: Header=BB77_4 Depth=1
	s_or_b32 exec_lo, exec_lo, s5
	s_and_b32 s5, s2, vcc_lo
	s_delay_alu instid0(SALU_CYCLE_1)
	s_and_saveexec_b32 s4, s5
	s_cbranch_execz .LBB77_3
; %bb.62:                               ;   in Loop: Header=BB77_4 Depth=1
	v_lshlrev_b64 v[2:3], 3, v[8:9]
	v_mul_f32_e32 v26, s33, v23
	s_delay_alu instid0(VALU_DEP_2) | instskip(NEXT) | instid1(VALU_DEP_3)
	v_add_co_u32 v0, vcc_lo, v0, v2
	v_add_co_ci_u32_e32 v1, vcc_lo, v1, v3, vcc_lo
	global_load_b64 v[2:3], v[0:1], off
	v_mul_f32_e32 v23, s11, v23
	s_delay_alu instid0(VALU_DEP_1) | instskip(SKIP_2) | instid1(VALU_DEP_1)
	v_fmac_f32_e32 v23, s33, v41
	v_fma_f32 v26, v41, s11, -v26
	s_waitcnt vmcnt(0)
	v_dual_add_f32 v2, v2, v26 :: v_dual_add_f32 v3, v3, v23
	global_store_b64 v[0:1], v[2:3], off
	s_branch .LBB77_3
.LBB77_63:
	s_nop 0
	s_sendmsg sendmsg(MSG_DEALLOC_VGPRS)
	s_endpgm
	.section	.rodata,"a",@progbits
	.p2align	6, 0x0
	.amdhsa_kernel _ZL30rocblas_trmm_outofplace_kernelI19rocblas_complex_numIfELi32ELi2ELb1ELb0ELb1ELb0ES1_KS1_S1_Ev17rocblas_diagonal_iiT6_lPT7_lllS6_lllPT8_llli
		.amdhsa_group_segment_fixed_size 16384
		.amdhsa_private_segment_fixed_size 0
		.amdhsa_kernarg_size 392
		.amdhsa_user_sgpr_count 13
		.amdhsa_user_sgpr_dispatch_ptr 0
		.amdhsa_user_sgpr_queue_ptr 0
		.amdhsa_user_sgpr_kernarg_segment_ptr 1
		.amdhsa_user_sgpr_dispatch_id 0
		.amdhsa_user_sgpr_private_segment_size 0
		.amdhsa_wavefront_size32 1
		.amdhsa_uses_dynamic_stack 0
		.amdhsa_enable_private_segment 0
		.amdhsa_system_sgpr_workgroup_id_x 1
		.amdhsa_system_sgpr_workgroup_id_y 1
		.amdhsa_system_sgpr_workgroup_id_z 1
		.amdhsa_system_sgpr_workgroup_info 0
		.amdhsa_system_vgpr_workitem_id 1
		.amdhsa_next_free_vgpr 82
		.amdhsa_next_free_sgpr 44
		.amdhsa_reserve_vcc 1
		.amdhsa_float_round_mode_32 0
		.amdhsa_float_round_mode_16_64 0
		.amdhsa_float_denorm_mode_32 3
		.amdhsa_float_denorm_mode_16_64 3
		.amdhsa_dx10_clamp 1
		.amdhsa_ieee_mode 1
		.amdhsa_fp16_overflow 0
		.amdhsa_workgroup_processor_mode 1
		.amdhsa_memory_ordered 1
		.amdhsa_forward_progress 0
		.amdhsa_shared_vgpr_count 0
		.amdhsa_exception_fp_ieee_invalid_op 0
		.amdhsa_exception_fp_denorm_src 0
		.amdhsa_exception_fp_ieee_div_zero 0
		.amdhsa_exception_fp_ieee_overflow 0
		.amdhsa_exception_fp_ieee_underflow 0
		.amdhsa_exception_fp_ieee_inexact 0
		.amdhsa_exception_int_div_zero 0
	.end_amdhsa_kernel
	.section	.text._ZL30rocblas_trmm_outofplace_kernelI19rocblas_complex_numIfELi32ELi2ELb1ELb0ELb1ELb0ES1_KS1_S1_Ev17rocblas_diagonal_iiT6_lPT7_lllS6_lllPT8_llli,"axG",@progbits,_ZL30rocblas_trmm_outofplace_kernelI19rocblas_complex_numIfELi32ELi2ELb1ELb0ELb1ELb0ES1_KS1_S1_Ev17rocblas_diagonal_iiT6_lPT7_lllS6_lllPT8_llli,comdat
.Lfunc_end77:
	.size	_ZL30rocblas_trmm_outofplace_kernelI19rocblas_complex_numIfELi32ELi2ELb1ELb0ELb1ELb0ES1_KS1_S1_Ev17rocblas_diagonal_iiT6_lPT7_lllS6_lllPT8_llli, .Lfunc_end77-_ZL30rocblas_trmm_outofplace_kernelI19rocblas_complex_numIfELi32ELi2ELb1ELb0ELb1ELb0ES1_KS1_S1_Ev17rocblas_diagonal_iiT6_lPT7_lllS6_lllPT8_llli
                                        ; -- End function
	.section	.AMDGPU.csdata,"",@progbits
; Kernel info:
; codeLenInByte = 7408
; NumSgprs: 46
; NumVgprs: 82
; ScratchSize: 0
; MemoryBound: 1
; FloatMode: 240
; IeeeMode: 1
; LDSByteSize: 16384 bytes/workgroup (compile time only)
; SGPRBlocks: 5
; VGPRBlocks: 10
; NumSGPRsForWavesPerEU: 46
; NumVGPRsForWavesPerEU: 82
; Occupancy: 16
; WaveLimiterHint : 0
; COMPUTE_PGM_RSRC2:SCRATCH_EN: 0
; COMPUTE_PGM_RSRC2:USER_SGPR: 13
; COMPUTE_PGM_RSRC2:TRAP_HANDLER: 0
; COMPUTE_PGM_RSRC2:TGID_X_EN: 1
; COMPUTE_PGM_RSRC2:TGID_Y_EN: 1
; COMPUTE_PGM_RSRC2:TGID_Z_EN: 1
; COMPUTE_PGM_RSRC2:TIDIG_COMP_CNT: 1
	.section	.text._ZL30rocblas_trmm_outofplace_kernelI19rocblas_complex_numIfELi32ELi2ELb1ELb1ELb1ELb0EPKS1_S2_S1_Ev17rocblas_diagonal_iiT6_lPT7_lllS7_lllPT8_llli,"axG",@progbits,_ZL30rocblas_trmm_outofplace_kernelI19rocblas_complex_numIfELi32ELi2ELb1ELb1ELb1ELb0EPKS1_S2_S1_Ev17rocblas_diagonal_iiT6_lPT7_lllS7_lllPT8_llli,comdat
	.globl	_ZL30rocblas_trmm_outofplace_kernelI19rocblas_complex_numIfELi32ELi2ELb1ELb1ELb1ELb0EPKS1_S2_S1_Ev17rocblas_diagonal_iiT6_lPT7_lllS7_lllPT8_llli ; -- Begin function _ZL30rocblas_trmm_outofplace_kernelI19rocblas_complex_numIfELi32ELi2ELb1ELb1ELb1ELb0EPKS1_S2_S1_Ev17rocblas_diagonal_iiT6_lPT7_lllS7_lllPT8_llli
	.p2align	8
	.type	_ZL30rocblas_trmm_outofplace_kernelI19rocblas_complex_numIfELi32ELi2ELb1ELb1ELb1ELb0EPKS1_S2_S1_Ev17rocblas_diagonal_iiT6_lPT7_lllS7_lllPT8_llli,@function
_ZL30rocblas_trmm_outofplace_kernelI19rocblas_complex_numIfELi32ELi2ELb1ELb1ELb1ELb0EPKS1_S2_S1_Ev17rocblas_diagonal_iiT6_lPT7_lllS7_lllPT8_llli: ; @_ZL30rocblas_trmm_outofplace_kernelI19rocblas_complex_numIfELi32ELi2ELb1ELb1ELb1ELb0EPKS1_S2_S1_Ev17rocblas_diagonal_iiT6_lPT7_lllS7_lllPT8_llli
; %bb.0:
	s_load_b512 s[16:31], s[0:1], 0x10
	s_waitcnt lgkmcnt(0)
	s_mul_i32 s2, s15, s19
	s_mul_hi_u32 s3, s15, s18
	s_delay_alu instid0(SALU_CYCLE_1) | instskip(SKIP_1) | instid1(SALU_CYCLE_1)
	s_add_i32 s3, s3, s2
	s_mul_i32 s2, s15, s18
	s_lshl_b64 s[2:3], s[2:3], 3
	s_delay_alu instid0(SALU_CYCLE_1) | instskip(SKIP_4) | instid1(SALU_CYCLE_1)
	s_add_u32 s2, s16, s2
	s_addc_u32 s3, s17, s3
	s_load_b64 s[34:35], s[2:3], 0x0
	s_waitcnt lgkmcnt(0)
	s_or_b32 s2, s34, s35
	s_bitset0_b32 s2, 31
	s_delay_alu instid0(SALU_CYCLE_1)
	s_cmp_eq_u32 s2, 0
	s_cbranch_scc1 .LBB78_63
; %bb.1:
	s_load_b128 s[8:11], s[0:1], 0x0
	s_waitcnt lgkmcnt(0)
	s_add_i32 s2, s10, -1
	s_delay_alu instid0(SALU_CYCLE_1) | instskip(NEXT) | instid1(SALU_CYCLE_1)
	s_ashr_i32 s3, s2, 31
	s_lshr_b32 s3, s3, 27
	s_delay_alu instid0(SALU_CYCLE_1) | instskip(NEXT) | instid1(SALU_CYCLE_1)
	s_add_i32 s2, s2, s3
	s_ashr_i32 s11, s2, 5
	s_delay_alu instid0(SALU_CYCLE_1)
	s_cmp_gt_i32 s14, s11
	s_cbranch_scc1 .LBB78_63
; %bb.2:
	s_clause 0x1
	s_load_b128 s[16:19], s[0:1], 0x70
	s_load_b256 s[36:43], s[0:1], 0x50
	s_mul_i32 s3, s15, s27
	s_mul_hi_u32 s4, s15, s26
	s_mul_i32 s2, s15, s26
	s_add_i32 s3, s4, s3
	s_load_b32 s26, s[0:1], 0x8c
	s_lshl_b64 s[4:5], s[2:3], 3
	v_and_b32_e32 v29, 0x3ff, v0
	s_add_u32 s2, s20, s4
	s_addc_u32 s3, s21, s5
	s_lshl_b64 s[6:7], s[22:23], 3
	v_bfe_u32 v28, v0, 10, 10
	s_add_u32 s22, s2, s6
	s_addc_u32 s3, s3, s7
	v_dual_mov_b32 v5, 0 :: v_dual_lshlrev_b32 v30, 3, v29
	s_delay_alu instid0(VALU_DEP_2)
	v_lshlrev_b32_e32 v0, 8, v28
	v_lshlrev_b32_e32 v2, 3, v28
	v_lshl_add_u32 v22, s14, 5, v28
	s_waitcnt lgkmcnt(0)
	s_mul_i32 s1, s15, s19
	s_mul_hi_u32 s2, s15, s18
	s_mul_i32 s0, s15, s18
	s_add_i32 s1, s2, s1
	v_add_nc_u32_e32 v31, v30, v0
	s_lshl_b64 s[0:1], s[0:1], 3
	v_add_nc_u32_e32 v32, 0x2000, v0
	s_add_u32 s2, s40, s0
	s_addc_u32 s12, s41, s1
	s_lshl_b64 s[0:1], s[42:43], 3
	s_delay_alu instid0(SALU_CYCLE_1)
	s_add_u32 s27, s2, s0
	s_addc_u32 s33, s12, s1
	s_lshl_b32 s40, s13, 5
	s_cmp_gt_i32 s13, -1
	v_add_nc_u32_e32 v6, s40, v29
	s_cselect_b32 s41, -1, 0
	s_cmpk_eq_i32 s8, 0x84
	s_mov_b32 s12, s9
	s_cselect_b32 s42, -1, 0
	v_ashrrev_i32_e32 v7, 31, v6
	v_mul_lo_u32 v3, v6, s25
	v_mad_u64_u32 v[0:1], null, v6, s24, 0
	v_add_co_u32 v10, vcc_lo, v6, 16
	s_delay_alu instid0(VALU_DEP_4)
	v_mul_lo_u32 v4, v7, s24
	v_add_co_ci_u32_e32 v11, vcc_lo, 0, v7, vcc_lo
	v_add_nc_u32_e32 v8, 16, v6
	s_ashr_i32 s13, s9, 31
	s_ashr_i32 s43, s10, 31
	s_add_u32 s18, s9, -16
	v_cmp_le_i32_e64 s0, s9, v6
	s_delay_alu instid0(VALU_DEP_4)
	v_add3_u32 v1, v1, v3, v4
	v_cmp_gt_i32_e64 s1, s9, v6
	v_cmp_gt_i32_e64 s2, s9, v8
	s_mul_i32 s8, s39, s15
	s_mul_hi_u32 s9, s38, s15
	v_lshlrev_b64 v[0:1], 3, v[0:1]
	v_lshlrev_b64 v[14:15], 3, v[6:7]
	s_addc_u32 s19, s13, -1
	s_add_i32 s9, s9, s8
	s_mul_i32 s8, s38, s15
	v_add_nc_u32_e32 v33, v32, v30
	v_add_co_u32 v0, vcc_lo, s22, v0
	v_add_co_ci_u32_e32 v1, vcc_lo, s3, v1, vcc_lo
	s_lshl_b64 s[8:9], s[8:9], 3
	s_delay_alu instid0(VALU_DEP_2) | instskip(NEXT) | instid1(VALU_DEP_2)
	v_add_co_u32 v34, vcc_lo, v0, v2
	v_add_co_ci_u32_e32 v35, vcc_lo, 0, v1, vcc_lo
	v_sub_co_u32 v12, vcc_lo, v6, v28
	v_subrev_co_ci_u32_e32 v13, vcc_lo, 0, v7, vcc_lo
	s_lshl_b64 s[22:23], s[30:31], 3
	s_delay_alu instid0(VALU_DEP_2) | instskip(NEXT) | instid1(VALU_DEP_2)
	v_add_co_u32 v16, vcc_lo, v12, 16
	v_add_co_ci_u32_e32 v17, vcc_lo, 0, v13, vcc_lo
	s_add_u32 s8, s8, s22
	v_add_co_u32 v3, vcc_lo, 0x80, v14
	s_addc_u32 s9, s9, s23
	v_add_co_ci_u32_e32 v0, vcc_lo, 0, v15, vcc_lo
	s_add_u32 s8, s28, s8
	s_addc_u32 s15, s29, s9
	s_lshl_b64 s[22:23], s[36:37], 3
	s_lshl_b32 s9, s26, 5
	s_add_u32 s4, s6, s4
	s_addc_u32 s5, s7, s5
	v_mul_lo_u32 v4, s24, v0
	v_mul_lo_u32 v20, s25, v3
	v_mad_u64_u32 v[0:1], null, s24, v3, s[4:5]
	v_add_co_u32 v3, s4, s8, v30
	v_add_co_u32 v18, vcc_lo, v12, -16
	v_add_co_ci_u32_e64 v21, null, s15, 0, s4
	v_add_co_ci_u32_e32 v19, vcc_lo, -1, v13, vcc_lo
	v_add3_u32 v1, v20, v1, v4
	v_add_co_u32 v20, vcc_lo, 0x80, v3
	s_delay_alu instid0(VALU_DEP_4) | instskip(SKIP_1) | instid1(VALU_DEP_4)
	v_add_co_ci_u32_e32 v21, vcc_lo, 0, v21, vcc_lo
	v_add_co_u32 v0, vcc_lo, v0, v2
	v_add_co_ci_u32_e32 v1, vcc_lo, 0, v1, vcc_lo
	v_cmp_le_i64_e64 s3, s[12:13], v[10:11]
	s_delay_alu instid0(VALU_DEP_3) | instskip(SKIP_1) | instid1(VALU_DEP_4)
	v_add_co_u32 v36, vcc_lo, s20, v0
	v_ashrrev_i32_e32 v9, 31, v8
	v_add_co_ci_u32_e32 v37, vcc_lo, s21, v1, vcc_lo
	v_mov_b32_e32 v4, 1.0
	s_branch .LBB78_4
.LBB78_3:                               ;   in Loop: Header=BB78_4 Depth=1
	s_or_b32 exec_lo, exec_lo, s4
	v_add_nc_u32_e32 v22, s9, v22
	s_add_i32 s14, s26, s14
	s_delay_alu instid0(SALU_CYCLE_1)
	s_cmp_le_i32 s14, s11
	s_cbranch_scc0 .LBB78_63
.LBB78_4:                               ; =>This Loop Header: Depth=1
                                        ;     Child Loop BB78_7 Depth 2
	v_lshl_add_u32 v38, s14, 5, v28
	v_mov_b32_e32 v45, v5
	v_mov_b32_e32 v46, v5
	;; [unrolled: 1-line block ×4, first 2 shown]
	v_ashrrev_i32_e32 v39, 31, v38
	v_mov_b32_e32 v42, v5
	v_mov_b32_e32 v41, v5
	;; [unrolled: 1-line block ×4, first 2 shown]
	s_and_not1_b32 vcc_lo, exec_lo, s41
	s_cbranch_vccnz .LBB78_55
; %bb.5:                                ;   in Loop: Header=BB78_4 Depth=1
	v_ashrrev_i32_e32 v23, 31, v22
	v_mad_u64_u32 v[24:25], null, s22, v22, v[20:21]
	v_mul_lo_u32 v2, s23, v22
	v_mov_b32_e32 v41, 0
	s_delay_alu instid0(VALU_DEP_4) | instskip(SKIP_3) | instid1(VALU_DEP_4)
	v_lshlrev_b64 v[0:1], 3, v[22:23]
	v_mul_lo_u32 v42, s22, v23
	v_dual_mov_b32 v23, 0 :: v_dual_mov_b32 v40, 0
	v_dual_mov_b32 v46, 0 :: v_dual_mov_b32 v45, 0
	v_add_co_u32 v3, vcc_lo, 0x80, v0
	v_add_co_ci_u32_e32 v26, vcc_lo, 0, v1, vcc_lo
	v_sub_co_u32 v0, vcc_lo, s10, v38
	s_delay_alu instid0(VALU_DEP_3) | instskip(NEXT) | instid1(VALU_DEP_3)
	v_mul_lo_u32 v44, s37, v3
	v_mul_lo_u32 v43, s36, v26
	v_mad_u64_u32 v[26:27], null, s36, v3, v[20:21]
	v_sub_co_ci_u32_e32 v1, vcc_lo, s43, v39, vcc_lo
	v_add3_u32 v25, v2, v25, v42
	v_mov_b32_e32 v42, 0
	s_mov_b64 s[20:21], 0
	s_delay_alu instid0(VALU_DEP_3)
	v_cmp_lt_i64_e32 vcc_lo, 0, v[0:1]
	v_cmp_lt_i64_e64 s4, 16, v[0:1]
	v_add3_u32 v27, v44, v27, v43
	v_dual_mov_b32 v44, 0 :: v_dual_mov_b32 v43, 0
	s_mov_b64 s[24:25], 0
	s_branch .LBB78_7
.LBB78_6:                               ;   in Loop: Header=BB78_7 Depth=2
	s_or_b32 exec_lo, exec_lo, s6
	s_waitcnt lgkmcnt(0)
	s_waitcnt_vscnt null, 0x0
	s_barrier
	buffer_gl0_inv
	ds_load_2addr_b64 v[47:50], v30 offset1:16
	ds_load_b128 v[51:54], v32
	ds_load_b128 v[55:58], v32 offset:4096
	ds_load_b128 v[59:62], v32 offset:16
	;; [unrolled: 1-line block ×4, first 2 shown]
	ds_load_2addr_b64 v[67:70], v30 offset0:32 offset1:48
	ds_load_b128 v[71:74], v32 offset:4112
	s_add_u32 s24, s24, 32
	s_addc_u32 s25, s25, 0
	s_sub_i32 s5, s24, 32
	s_add_u32 s20, s20, 0x100
	s_addc_u32 s21, s21, 0
	s_cmp_ge_i32 s5, s40
	s_waitcnt lgkmcnt(6)
	v_dual_mul_f32 v75, v52, v48 :: v_dual_mul_f32 v78, v51, v50
	v_dual_mul_f32 v76, v51, v48 :: v_dual_mul_f32 v77, v52, v50
	s_waitcnt lgkmcnt(5)
	v_mul_f32_e32 v79, v56, v48
	s_delay_alu instid0(VALU_DEP_3)
	v_fma_f32 v75, v51, v47, -v75
	v_mul_f32_e32 v48, v55, v48
	v_fmac_f32_e32 v76, v52, v47
	v_fma_f32 v51, v51, v49, -v77
	v_mul_f32_e32 v80, v56, v50
	v_mul_f32_e32 v50, v55, v50
	v_fmac_f32_e32 v78, v52, v49
	v_fma_f32 v52, v55, v47, -v79
	v_add_f32_e32 v45, v45, v75
	s_delay_alu instid0(VALU_DEP_4)
	v_dual_add_f32 v51, v43, v51 :: v_dual_fmac_f32 v50, v56, v49
	v_fmac_f32_e32 v48, v56, v47
	v_fma_f32 v47, v55, v49, -v80
	s_waitcnt lgkmcnt(1)
	v_mul_f32_e32 v55, v54, v68
	v_mul_f32_e32 v49, v53, v68
	v_dual_add_f32 v23, v23, v50 :: v_dual_add_f32 v46, v46, v76
	v_add_f32_e32 v47, v40, v47
	s_delay_alu instid0(VALU_DEP_3)
	v_dual_add_f32 v44, v44, v78 :: v_dual_fmac_f32 v49, v54, v67
	v_add_f32_e32 v48, v41, v48
	v_fma_f32 v55, v53, v67, -v55
	v_add_f32_e32 v52, v42, v52
	ds_load_2addr_b64 v[40:43], v30 offset0:64 offset1:80
	v_mul_f32_e32 v56, v54, v70
	v_mul_f32_e32 v50, v53, v70
	v_add_f32_e32 v55, v45, v55
	v_dual_add_f32 v49, v46, v49 :: v_dual_mul_f32 v46, v57, v68
	s_delay_alu instid0(VALU_DEP_4) | instskip(SKIP_1) | instid1(VALU_DEP_2)
	v_fma_f32 v45, v53, v69, -v56
	v_mul_f32_e32 v53, v58, v68
	v_add_f32_e32 v51, v51, v45
	s_delay_alu instid0(VALU_DEP_2) | instskip(NEXT) | instid1(VALU_DEP_1)
	v_fma_f32 v45, v57, v67, -v53
	v_dual_mul_f32 v53, v58, v70 :: v_dual_add_f32 v52, v52, v45
	s_waitcnt lgkmcnt(0)
	v_mul_f32_e32 v45, v60, v41
	v_fmac_f32_e32 v50, v54, v69
	v_mul_f32_e32 v54, v57, v70
	s_delay_alu instid0(VALU_DEP_2) | instskip(SKIP_2) | instid1(VALU_DEP_4)
	v_add_f32_e32 v50, v44, v50
	v_fma_f32 v44, v57, v69, -v53
	v_mul_f32_e32 v53, v59, v41
	v_fmac_f32_e32 v54, v58, v69
	v_fmac_f32_e32 v46, v58, v67
	v_fma_f32 v57, v59, v40, -v45
	v_add_f32_e32 v56, v47, v44
	v_fmac_f32_e32 v53, v60, v40
	v_add_f32_e32 v23, v23, v54
	v_add_f32_e32 v48, v48, v46
	ds_load_2addr_b64 v[44:47], v30 offset0:96 offset1:112
	v_mul_f32_e32 v58, v60, v43
	v_add_f32_e32 v54, v55, v57
	v_mul_f32_e32 v55, v59, v43
	v_add_f32_e32 v49, v49, v53
	v_mul_f32_e32 v53, v72, v41
	v_mul_f32_e32 v41, v71, v41
	v_fma_f32 v57, v59, v42, -v58
	v_dual_fmac_f32 v55, v60, v42 :: v_dual_mul_f32 v58, v71, v43
	s_delay_alu instid0(VALU_DEP_4) | instskip(NEXT) | instid1(VALU_DEP_4)
	v_fma_f32 v53, v71, v40, -v53
	v_fmac_f32_e32 v41, v72, v40
	s_delay_alu instid0(VALU_DEP_4) | instskip(SKIP_3) | instid1(VALU_DEP_3)
	v_add_f32_e32 v51, v51, v57
	v_mul_f32_e32 v57, v72, v43
	v_dual_fmac_f32 v58, v72, v42 :: v_dual_add_f32 v55, v50, v55
	v_add_f32_e32 v52, v52, v53
	v_fma_f32 v40, v71, v42, -v57
	s_delay_alu instid0(VALU_DEP_3) | instskip(SKIP_4) | instid1(VALU_DEP_3)
	v_add_f32_e32 v23, v23, v58
	s_waitcnt lgkmcnt(0)
	v_dual_mul_f32 v57, v62, v47 :: v_dual_mul_f32 v50, v61, v45
	v_add_f32_e32 v53, v48, v41
	v_mul_f32_e32 v48, v62, v45
	v_fma_f32 v57, v61, v46, -v57
	v_mul_f32_e32 v58, v61, v47
	s_delay_alu instid0(VALU_DEP_3) | instskip(SKIP_1) | instid1(VALU_DEP_4)
	v_fma_f32 v48, v61, v44, -v48
	v_mul_f32_e32 v61, v74, v47
	v_dual_add_f32 v57, v51, v57 :: v_dual_fmac_f32 v50, v62, v44
	v_add_f32_e32 v56, v56, v40
	ds_load_2addr_b64 v[40:43], v30 offset0:128 offset1:144
	v_add_f32_e32 v54, v54, v48
	v_mul_f32_e32 v48, v74, v45
	v_dual_fmac_f32 v58, v62, v46 :: v_dual_mul_f32 v45, v73, v45
	v_add_f32_e32 v59, v49, v50
	s_delay_alu instid0(VALU_DEP_2)
	v_dual_add_f32 v58, v55, v58 :: v_dual_fmac_f32 v45, v74, v44
	v_mul_f32_e32 v55, v73, v47
	v_fma_f32 v60, v73, v44, -v48
	ds_load_b128 v[48:51], v32 offset:4128
	v_fma_f32 v44, v73, v46, -v61
	v_add_f32_e32 v61, v53, v45
	v_dual_fmac_f32 v55, v74, v46 :: v_dual_add_f32 v60, v52, v60
	s_delay_alu instid0(VALU_DEP_3)
	v_add_f32_e32 v56, v56, v44
	s_waitcnt lgkmcnt(1)
	v_mul_f32_e32 v47, v64, v41
	v_dual_mul_f32 v62, v63, v41 :: v_dual_mul_f32 v53, v64, v43
	v_add_f32_e32 v23, v23, v55
	v_mul_f32_e32 v68, v63, v43
	s_delay_alu instid0(VALU_DEP_4) | instskip(NEXT) | instid1(VALU_DEP_4)
	v_fma_f32 v52, v63, v40, -v47
	v_fmac_f32_e32 v62, v64, v40
	ds_load_2addr_b64 v[44:47], v30 offset0:160 offset1:176
	v_fma_f32 v63, v63, v42, -v53
	v_dual_fmac_f32 v68, v64, v42 :: v_dual_add_f32 v67, v54, v52
	ds_load_b128 v[52:55], v32 offset:4144
	s_waitcnt lgkmcnt(2)
	v_mul_f32_e32 v69, v49, v41
	v_dual_add_f32 v59, v59, v62 :: v_dual_add_f32 v58, v58, v68
	v_mul_f32_e32 v64, v48, v43
	s_delay_alu instid0(VALU_DEP_3) | instskip(SKIP_1) | instid1(VALU_DEP_2)
	v_fma_f32 v62, v48, v40, -v69
	v_add_f32_e32 v57, v57, v63
	v_dual_mul_f32 v63, v49, v43 :: v_dual_add_f32 v60, v60, v62
	s_waitcnt lgkmcnt(1)
	v_mul_f32_e32 v43, v66, v45
	v_dual_mul_f32 v41, v48, v41 :: v_dual_fmac_f32 v64, v49, v42
	s_delay_alu instid0(VALU_DEP_1) | instskip(SKIP_1) | instid1(VALU_DEP_2)
	v_dual_mul_f32 v62, v66, v47 :: v_dual_fmac_f32 v41, v49, v40
	v_mul_f32_e32 v49, v65, v45
	v_fma_f32 v62, v65, v46, -v62
	v_fma_f32 v40, v48, v42, -v63
	s_delay_alu instid0(VALU_DEP_2) | instskip(NEXT) | instid1(VALU_DEP_4)
	v_dual_add_f32 v57, v57, v62 :: v_dual_mul_f32 v62, v51, v47
	v_dual_add_f32 v48, v61, v41 :: v_dual_fmac_f32 v49, v66, v44
	s_delay_alu instid0(VALU_DEP_3)
	v_add_f32_e32 v56, v56, v40
	v_fma_f32 v61, v65, v44, -v43
	ds_load_2addr_b64 v[40:43], v30 offset0:192 offset1:208
	v_add_f32_e32 v49, v59, v49
	v_mul_f32_e32 v59, v51, v45
	v_mul_f32_e32 v45, v50, v45
	s_delay_alu instid0(VALU_DEP_2) | instskip(NEXT) | instid1(VALU_DEP_2)
	v_fma_f32 v59, v50, v44, -v59
	v_fmac_f32_e32 v45, v51, v44
	v_mul_f32_e32 v63, v65, v47
	v_fma_f32 v44, v50, v46, -v62
	v_add_f32_e32 v61, v67, v61
	s_delay_alu instid0(VALU_DEP_3) | instskip(NEXT) | instid1(VALU_DEP_1)
	v_dual_add_f32 v48, v48, v45 :: v_dual_fmac_f32 v63, v66, v46
	v_dual_add_f32 v23, v23, v64 :: v_dual_add_f32 v58, v58, v63
	v_mul_f32_e32 v63, v50, v47
	s_waitcnt lgkmcnt(0)
	v_mul_f32_e32 v62, v0, v43
	v_add_f32_e32 v50, v60, v59
	s_delay_alu instid0(VALU_DEP_3) | instskip(NEXT) | instid1(VALU_DEP_3)
	v_dual_mul_f32 v60, v1, v43 :: v_dual_fmac_f32 v63, v51, v46
	v_dual_add_f32 v51, v56, v44 :: v_dual_fmac_f32 v62, v1, v42
	ds_load_2addr_b64 v[44:47], v30 offset0:224 offset1:240
	v_mul_f32_e32 v59, v1, v41
	v_mul_f32_e32 v56, v0, v41
	v_add_f32_e32 v58, v58, v62
	s_delay_alu instid0(VALU_DEP_3) | instskip(SKIP_3) | instid1(VALU_DEP_4)
	v_fma_f32 v59, v0, v40, -v59
	v_fma_f32 v0, v0, v42, -v60
	v_mul_f32_e32 v60, v53, v41
	v_dual_fmac_f32 v56, v1, v40 :: v_dual_mul_f32 v1, v52, v41
	v_add_f32_e32 v59, v61, v59
	s_delay_alu instid0(VALU_DEP_4) | instskip(NEXT) | instid1(VALU_DEP_4)
	v_add_f32_e32 v57, v57, v0
	v_fma_f32 v0, v52, v40, -v60
	v_mul_f32_e32 v60, v52, v43
	v_add_f32_e32 v56, v49, v56
	s_delay_alu instid0(VALU_DEP_2) | instskip(SKIP_2) | instid1(VALU_DEP_1)
	v_fmac_f32_e32 v60, v53, v42
	s_waitcnt lgkmcnt(0)
	v_dual_mul_f32 v62, v2, v45 :: v_dual_add_f32 v23, v23, v63
	v_dual_mul_f32 v41, v53, v43 :: v_dual_fmac_f32 v62, v3, v44
	v_fmac_f32_e32 v1, v53, v40
	s_delay_alu instid0(VALU_DEP_2) | instskip(NEXT) | instid1(VALU_DEP_4)
	v_fma_f32 v40, v52, v42, -v41
	v_dual_add_f32 v23, v23, v60 :: v_dual_mul_f32 v60, v2, v47
	v_add_f32_e32 v61, v50, v0
	v_dual_mul_f32 v41, v3, v45 :: v_dual_add_nc_u32 v0, 0x800, v30
	s_delay_alu instid0(VALU_DEP_4) | instskip(SKIP_2) | instid1(VALU_DEP_4)
	v_add_f32_e32 v52, v51, v40
	v_add_f32_e32 v64, v56, v62
	v_dual_add_f32 v1, v48, v1 :: v_dual_mul_f32 v62, v55, v47
	v_fma_f32 v53, v2, v44, -v41
	ds_load_2addr_b64 v[40:43], v0 offset1:16
	ds_load_b128 v[48:51], v32 offset:64
	v_fmac_f32_e32 v60, v3, v46
	v_mul_f32_e32 v63, v3, v47
	v_mul_f32_e32 v3, v54, v45
	v_add_f32_e32 v53, v59, v53
	v_mul_f32_e32 v59, v55, v45
	v_add_f32_e32 v65, v58, v60
	s_delay_alu instid0(VALU_DEP_2) | instskip(NEXT) | instid1(VALU_DEP_1)
	v_fma_f32 v45, v54, v44, -v59
	v_add_f32_e32 v66, v61, v45
	v_fma_f32 v2, v2, v46, -v63
	s_waitcnt lgkmcnt(0)
	v_mul_f32_e32 v45, v49, v41
	s_delay_alu instid0(VALU_DEP_2)
	v_add_f32_e32 v2, v57, v2
	ds_load_b128 v[56:59], v32 offset:4160
	v_fmac_f32_e32 v3, v55, v44
	v_fma_f32 v44, v54, v46, -v62
	v_mul_f32_e32 v54, v54, v47
	v_mul_f32_e32 v69, v48, v43
	ds_load_b128 v[60:63], v32 offset:80
	v_dual_add_f32 v1, v1, v3 :: v_dual_fmac_f32 v54, v55, v46
	v_fmac_f32_e32 v69, v49, v42
	v_add_f32_e32 v67, v52, v44
	v_fma_f32 v52, v48, v40, -v45
	ds_load_2addr_b64 v[44:47], v0 offset0:32 offset1:48
	v_mul_f32_e32 v3, v48, v41
	v_mul_f32_e32 v55, v49, v43
	v_add_f32_e32 v23, v23, v54
	s_delay_alu instid0(VALU_DEP_3) | instskip(NEXT) | instid1(VALU_DEP_3)
	v_fmac_f32_e32 v3, v49, v40
	v_fma_f32 v48, v48, v42, -v55
	s_waitcnt lgkmcnt(2)
	s_delay_alu instid0(VALU_DEP_2) | instskip(NEXT) | instid1(VALU_DEP_2)
	v_dual_add_f32 v3, v64, v3 :: v_dual_mul_f32 v64, v57, v41
	v_dual_mul_f32 v41, v56, v41 :: v_dual_add_f32 v2, v2, v48
	v_mul_f32_e32 v48, v57, v43
	v_add_f32_e32 v68, v53, v52
	s_delay_alu instid0(VALU_DEP_4)
	v_fma_f32 v49, v56, v40, -v64
	v_add_f32_e32 v64, v65, v69
	v_fmac_f32_e32 v41, v57, v40
	v_mul_f32_e32 v65, v56, v43
	v_fma_f32 v40, v56, v42, -v48
	s_waitcnt lgkmcnt(0)
	v_mul_f32_e32 v56, v50, v45
	v_add_f32_e32 v48, v66, v49
	v_mul_f32_e32 v43, v51, v45
	v_dual_fmac_f32 v65, v57, v42 :: v_dual_mul_f32 v66, v51, v47
	s_delay_alu instid0(VALU_DEP_4) | instskip(SKIP_1) | instid1(VALU_DEP_4)
	v_fmac_f32_e32 v56, v51, v44
	v_add_f32_e32 v49, v67, v40
	v_fma_f32 v57, v50, v44, -v43
	ds_load_b128 v[52:55], v32 offset:4176
	v_dual_add_f32 v3, v3, v56 :: v_dual_mul_f32 v56, v58, v47
	v_add_f32_e32 v23, v23, v65
	v_mul_f32_e32 v65, v50, v47
	v_fma_f32 v50, v50, v46, -v66
	v_mul_f32_e32 v66, v59, v45
	v_fmac_f32_e32 v56, v59, v46
	s_delay_alu instid0(VALU_DEP_3) | instskip(NEXT) | instid1(VALU_DEP_3)
	v_add_f32_e32 v2, v2, v50
	v_fma_f32 v50, v58, v44, -v66
	s_delay_alu instid0(VALU_DEP_1) | instskip(SKIP_4) | instid1(VALU_DEP_2)
	v_dual_add_f32 v23, v23, v56 :: v_dual_add_f32 v48, v48, v50
	v_add_f32_e32 v1, v1, v41
	ds_load_2addr_b64 v[40:43], v0 offset0:64 offset1:80
	v_mul_f32_e32 v45, v58, v45
	v_add_f32_e32 v57, v68, v57
	v_fmac_f32_e32 v45, v59, v44
	v_mul_f32_e32 v44, v59, v47
	s_delay_alu instid0(VALU_DEP_1) | instskip(NEXT) | instid1(VALU_DEP_1)
	v_fma_f32 v50, v58, v46, -v44
	v_add_f32_e32 v49, v49, v50
	s_waitcnt lgkmcnt(0)
	v_mul_f32_e32 v58, v61, v41
	v_mul_f32_e32 v59, v60, v41
	s_delay_alu instid0(VALU_DEP_2) | instskip(SKIP_1) | instid1(VALU_DEP_3)
	v_fma_f32 v50, v60, v40, -v58
	v_mul_f32_e32 v58, v61, v43
	v_fmac_f32_e32 v59, v61, v40
	s_delay_alu instid0(VALU_DEP_3) | instskip(SKIP_1) | instid1(VALU_DEP_4)
	v_add_f32_e32 v56, v57, v50
	v_fmac_f32_e32 v65, v51, v46
	v_fma_f32 v50, v60, v42, -v58
	v_mul_f32_e32 v57, v53, v41
	v_mul_f32_e32 v41, v52, v41
	s_delay_alu instid0(VALU_DEP_4) | instskip(SKIP_4) | instid1(VALU_DEP_4)
	v_add_f32_e32 v51, v64, v65
	v_mul_f32_e32 v64, v60, v43
	v_add_f32_e32 v2, v2, v50
	v_mul_f32_e32 v50, v53, v43
	v_fmac_f32_e32 v41, v53, v40
	v_fmac_f32_e32 v64, v61, v42
	s_delay_alu instid0(VALU_DEP_1) | instskip(SKIP_3) | instid1(VALU_DEP_3)
	v_add_f32_e32 v58, v51, v64
	v_fma_f32 v51, v52, v40, -v57
	v_mul_f32_e32 v57, v52, v43
	v_fma_f32 v40, v52, v42, -v50
	v_dual_add_f32 v52, v48, v51 :: v_dual_add_f32 v1, v1, v45
	ds_load_2addr_b64 v[44:47], v0 offset0:96 offset1:112
	v_fmac_f32_e32 v57, v53, v42
	s_waitcnt lgkmcnt(0)
	v_mul_f32_e32 v43, v63, v45
	v_dual_mul_f32 v60, v62, v45 :: v_dual_add_f32 v3, v3, v59
	s_delay_alu instid0(VALU_DEP_2) | instskip(NEXT) | instid1(VALU_DEP_2)
	v_fma_f32 v59, v62, v44, -v43
	v_fmac_f32_e32 v60, v63, v44
	s_delay_alu instid0(VALU_DEP_2) | instskip(SKIP_1) | instid1(VALU_DEP_3)
	v_add_f32_e32 v64, v56, v59
	v_mul_f32_e32 v56, v55, v45
	v_add_f32_e32 v3, v3, v60
	v_add_f32_e32 v53, v49, v40
	v_mul_f32_e32 v45, v54, v45
	s_delay_alu instid0(VALU_DEP_4) | instskip(NEXT) | instid1(VALU_DEP_2)
	v_fma_f32 v60, v54, v44, -v56
	v_fmac_f32_e32 v45, v55, v44
	s_delay_alu instid0(VALU_DEP_2) | instskip(SKIP_4) | instid1(VALU_DEP_2)
	v_dual_add_f32 v66, v52, v60 :: v_dual_add_f32 v1, v1, v41
	ds_load_2addr_b64 v[40:43], v0 offset0:128 offset1:144
	ds_load_b128 v[48:51], v32 offset:96
	v_mul_f32_e32 v61, v63, v47
	v_mul_f32_e32 v52, v54, v47
	v_fma_f32 v61, v62, v46, -v61
	s_delay_alu instid0(VALU_DEP_2) | instskip(NEXT) | instid1(VALU_DEP_2)
	v_fmac_f32_e32 v52, v55, v46
	v_dual_add_f32 v2, v2, v61 :: v_dual_mul_f32 v61, v55, v47
	s_delay_alu instid0(VALU_DEP_1) | instskip(SKIP_3) | instid1(VALU_DEP_3)
	v_fma_f32 v44, v54, v46, -v61
	s_waitcnt lgkmcnt(0)
	v_dual_mul_f32 v54, v49, v43 :: v_dual_add_f32 v23, v23, v57
	v_dual_mul_f32 v57, v62, v47 :: v_dual_mul_f32 v68, v48, v41
	v_add_f32_e32 v67, v53, v44
	s_delay_alu instid0(VALU_DEP_2)
	v_fmac_f32_e32 v57, v63, v46
	ds_load_b128 v[60:63], v32 offset:112
	v_mul_f32_e32 v47, v49, v41
	v_dual_fmac_f32 v68, v49, v40 :: v_dual_mul_f32 v69, v48, v43
	v_add_f32_e32 v65, v58, v57
	ds_load_b128 v[56:59], v32 offset:4192
	v_fma_f32 v53, v48, v40, -v47
	v_add_f32_e32 v3, v3, v68
	v_fma_f32 v48, v48, v42, -v54
	s_delay_alu instid0(VALU_DEP_3) | instskip(NEXT) | instid1(VALU_DEP_2)
	v_dual_fmac_f32 v69, v49, v42 :: v_dual_add_f32 v64, v64, v53
	v_add_f32_e32 v2, v2, v48
	s_waitcnt lgkmcnt(0)
	v_dual_mul_f32 v68, v56, v43 :: v_dual_add_f32 v1, v1, v45
	ds_load_2addr_b64 v[44:47], v0 offset0:160 offset1:176
	v_mul_f32_e32 v70, v57, v41
	v_mul_f32_e32 v41, v56, v41
	;; [unrolled: 1-line block ×3, first 2 shown]
	v_fmac_f32_e32 v68, v57, v42
	s_delay_alu instid0(VALU_DEP_4) | instskip(NEXT) | instid1(VALU_DEP_4)
	v_fma_f32 v48, v56, v40, -v70
	v_fmac_f32_e32 v41, v57, v40
	s_delay_alu instid0(VALU_DEP_4) | instskip(NEXT) | instid1(VALU_DEP_2)
	v_fma_f32 v40, v56, v42, -v49
	v_dual_add_f32 v48, v66, v48 :: v_dual_add_f32 v1, v1, v41
	s_delay_alu instid0(VALU_DEP_2) | instskip(SKIP_3) | instid1(VALU_DEP_2)
	v_add_f32_e32 v56, v67, v40
	s_waitcnt lgkmcnt(0)
	v_mul_f32_e32 v43, v51, v45
	v_dual_mul_f32 v49, v50, v45 :: v_dual_mul_f32 v66, v51, v47
	v_fma_f32 v57, v50, v44, -v43
	ds_load_2addr_b64 v[40:43], v0 offset0:192 offset1:208
	v_fmac_f32_e32 v49, v51, v44
	v_dual_add_f32 v57, v64, v57 :: v_dual_mul_f32 v64, v50, v47
	v_fma_f32 v50, v50, v46, -v66
	s_delay_alu instid0(VALU_DEP_3) | instskip(SKIP_1) | instid1(VALU_DEP_4)
	v_add_f32_e32 v3, v3, v49
	v_mul_f32_e32 v49, v59, v45
	v_dual_mul_f32 v45, v58, v45 :: v_dual_fmac_f32 v64, v51, v46
	s_delay_alu instid0(VALU_DEP_4) | instskip(SKIP_1) | instid1(VALU_DEP_4)
	v_add_f32_e32 v2, v2, v50
	v_mul_f32_e32 v50, v59, v47
	v_fma_f32 v49, v58, v44, -v49
	s_delay_alu instid0(VALU_DEP_4) | instskip(NEXT) | instid1(VALU_DEP_3)
	v_fmac_f32_e32 v45, v59, v44
	v_fma_f32 v44, v58, v46, -v50
	s_delay_alu instid0(VALU_DEP_3) | instskip(NEXT) | instid1(VALU_DEP_3)
	v_add_f32_e32 v48, v48, v49
	v_add_f32_e32 v1, v1, v45
	s_waitcnt lgkmcnt(0)
	s_delay_alu instid0(VALU_DEP_3) | instskip(SKIP_1) | instid1(VALU_DEP_1)
	v_dual_mul_f32 v49, v61, v41 :: v_dual_add_f32 v50, v56, v44
	v_add_f32_e32 v65, v65, v69
	v_dual_mul_f32 v56, v60, v41 :: v_dual_add_f32 v51, v65, v64
	v_mul_f32_e32 v64, v58, v47
	v_dual_mul_f32 v58, v60, v43 :: v_dual_add_f32 v23, v23, v52
	ds_load_b128 v[52:55], v32 offset:4208
	v_fmac_f32_e32 v56, v61, v40
	v_fmac_f32_e32 v64, v59, v46
	;; [unrolled: 1-line block ×3, first 2 shown]
	ds_load_2addr_b64 v[44:47], v0 offset0:224 offset1:240
	v_fma_f32 v0, v60, v40, -v49
	v_mul_f32_e32 v49, v61, v43
	v_add_f32_e32 v3, v3, v56
	v_add_f32_e32 v56, v51, v58
	;; [unrolled: 1-line block ×4, first 2 shown]
	v_fma_f32 v0, v60, v42, -v49
	s_waitcnt lgkmcnt(1)
	s_delay_alu instid0(VALU_DEP_1) | instskip(SKIP_3) | instid1(VALU_DEP_3)
	v_dual_add_f32 v2, v2, v0 :: v_dual_mul_f32 v49, v53, v41
	v_mul_f32_e32 v41, v52, v41
	s_waitcnt lgkmcnt(0)
	v_dual_mul_f32 v58, v52, v43 :: v_dual_mul_f32 v59, v62, v45
	v_fma_f32 v0, v52, v40, -v49
	v_mul_f32_e32 v49, v53, v43
	v_fmac_f32_e32 v41, v53, v40
	s_delay_alu instid0(VALU_DEP_4) | instskip(NEXT) | instid1(VALU_DEP_4)
	v_dual_mul_f32 v43, v63, v45 :: v_dual_fmac_f32 v58, v53, v42
	v_add_f32_e32 v60, v48, v0
	s_delay_alu instid0(VALU_DEP_4) | instskip(NEXT) | instid1(VALU_DEP_4)
	v_fma_f32 v40, v52, v42, -v49
	v_dual_add_f32 v1, v1, v41 :: v_dual_add_nc_u32 v0, 0x1000, v30
	s_delay_alu instid0(VALU_DEP_4) | instskip(NEXT) | instid1(VALU_DEP_3)
	v_fma_f32 v53, v62, v44, -v43
	v_dual_mul_f32 v61, v63, v47 :: v_dual_add_f32 v52, v50, v40
	ds_load_2addr_b64 v[40:43], v0 offset1:16
	ds_load_b128 v[48:51], v32 offset:128
	v_add_f32_e32 v23, v23, v64
	v_fmac_f32_e32 v59, v63, v44
	v_add_f32_e32 v53, v57, v53
	v_fma_f32 v57, v62, v46, -v61
	v_mul_f32_e32 v61, v55, v45
	v_dual_add_f32 v23, v23, v58 :: v_dual_mul_f32 v58, v62, v47
	v_dual_mul_f32 v45, v54, v45 :: v_dual_mul_f32 v62, v55, v47
	s_delay_alu instid0(VALU_DEP_4) | instskip(NEXT) | instid1(VALU_DEP_3)
	v_dual_add_f32 v3, v3, v59 :: v_dual_add_f32 v2, v2, v57
	v_fmac_f32_e32 v58, v63, v46
	v_fma_f32 v61, v54, v44, -v61
	s_delay_alu instid0(VALU_DEP_4)
	v_fmac_f32_e32 v45, v55, v44
	v_fma_f32 v44, v54, v46, -v62
	v_mul_f32_e32 v54, v54, v47
	v_add_f32_e32 v64, v56, v58
	ds_load_b128 v[56:59], v32 offset:4224
	v_add_f32_e32 v65, v60, v61
	s_waitcnt lgkmcnt(1)
	v_mul_f32_e32 v47, v49, v41
	ds_load_b128 v[60:63], v32 offset:144
	v_dual_add_f32 v1, v1, v45 :: v_dual_fmac_f32 v54, v55, v46
	v_add_f32_e32 v67, v52, v44
	v_fma_f32 v52, v48, v40, -v47
	ds_load_2addr_b64 v[44:47], v0 offset0:32 offset1:48
	v_dual_mul_f32 v66, v48, v41 :: v_dual_mul_f32 v55, v49, v43
	v_mul_f32_e32 v69, v48, v43
	s_delay_alu instid0(VALU_DEP_2) | instskip(NEXT) | instid1(VALU_DEP_3)
	v_dual_add_f32 v23, v23, v54 :: v_dual_fmac_f32 v66, v49, v40
	v_fma_f32 v48, v48, v42, -v55
	s_delay_alu instid0(VALU_DEP_3) | instskip(SKIP_1) | instid1(VALU_DEP_3)
	v_fmac_f32_e32 v69, v49, v42
	s_waitcnt lgkmcnt(2)
	v_dual_add_f32 v3, v3, v66 :: v_dual_mul_f32 v66, v57, v41
	s_delay_alu instid0(VALU_DEP_3) | instskip(SKIP_2) | instid1(VALU_DEP_4)
	v_dual_mul_f32 v41, v56, v41 :: v_dual_add_f32 v2, v2, v48
	v_mul_f32_e32 v48, v57, v43
	v_add_f32_e32 v64, v64, v69
	v_fma_f32 v49, v56, v40, -v66
	s_delay_alu instid0(VALU_DEP_4) | instskip(NEXT) | instid1(VALU_DEP_4)
	v_dual_fmac_f32 v41, v57, v40 :: v_dual_mul_f32 v66, v56, v43
	v_fma_f32 v40, v56, v42, -v48
	s_waitcnt lgkmcnt(0)
	v_mul_f32_e32 v43, v51, v45
	v_add_f32_e32 v48, v65, v49
	v_add_f32_e32 v1, v1, v41
	v_dual_fmac_f32 v66, v57, v42 :: v_dual_add_f32 v49, v67, v40
	v_mul_f32_e32 v56, v50, v45
	v_fma_f32 v57, v50, v44, -v43
	ds_load_2addr_b64 v[40:43], v0 offset0:64 offset1:80
	v_mul_f32_e32 v65, v51, v47
	v_add_f32_e32 v23, v23, v66
	v_fmac_f32_e32 v56, v51, v44
	v_mul_f32_e32 v66, v50, v47
	s_delay_alu instid0(VALU_DEP_4) | instskip(SKIP_3) | instid1(VALU_DEP_4)
	v_fma_f32 v50, v50, v46, -v65
	v_mul_f32_e32 v65, v59, v45
	v_mul_f32_e32 v45, v58, v45
	v_dual_add_f32 v3, v3, v56 :: v_dual_mul_f32 v56, v58, v47
	v_add_f32_e32 v2, v2, v50
	s_delay_alu instid0(VALU_DEP_4) | instskip(NEXT) | instid1(VALU_DEP_4)
	v_fma_f32 v50, v58, v44, -v65
	v_fmac_f32_e32 v45, v59, v44
	v_mul_f32_e32 v44, v59, v47
	v_fmac_f32_e32 v56, v59, v46
	v_add_f32_e32 v68, v53, v52
	ds_load_b128 v[52:55], v32 offset:4240
	v_fmac_f32_e32 v66, v51, v46
	v_dual_add_f32 v48, v48, v50 :: v_dual_add_f32 v1, v1, v45
	v_fma_f32 v50, v58, v46, -v44
	s_waitcnt lgkmcnt(1)
	v_mul_f32_e32 v58, v61, v41
	ds_load_2addr_b64 v[44:47], v0 offset0:96 offset1:112
	v_add_f32_e32 v57, v68, v57
	v_add_f32_e32 v51, v64, v66
	v_add_f32_e32 v49, v49, v50
	v_fma_f32 v50, v60, v40, -v58
	v_mul_f32_e32 v58, v61, v43
	v_dual_mul_f32 v64, v60, v43 :: v_dual_add_f32 v23, v23, v56
	s_delay_alu instid0(VALU_DEP_3) | instskip(NEXT) | instid1(VALU_DEP_3)
	v_dual_mul_f32 v59, v60, v41 :: v_dual_add_f32 v56, v57, v50
	v_fma_f32 v50, v60, v42, -v58
	s_delay_alu instid0(VALU_DEP_3) | instskip(NEXT) | instid1(VALU_DEP_3)
	v_fmac_f32_e32 v64, v61, v42
	v_fmac_f32_e32 v59, v61, v40
	s_waitcnt lgkmcnt(1)
	v_mul_f32_e32 v57, v53, v41
	v_dual_mul_f32 v41, v52, v41 :: v_dual_add_f32 v2, v2, v50
	v_mul_f32_e32 v50, v53, v43
	v_add_f32_e32 v58, v51, v64
	s_delay_alu instid0(VALU_DEP_4) | instskip(NEXT) | instid1(VALU_DEP_4)
	v_fma_f32 v51, v52, v40, -v57
	v_fmac_f32_e32 v41, v53, v40
	v_mul_f32_e32 v57, v52, v43
	v_fma_f32 v40, v52, v42, -v50
	s_waitcnt lgkmcnt(0)
	v_mul_f32_e32 v43, v63, v45
	v_add_f32_e32 v3, v3, v59
	v_dual_add_f32 v52, v48, v51 :: v_dual_add_f32 v1, v1, v41
	v_fmac_f32_e32 v57, v53, v42
	v_add_f32_e32 v53, v49, v40
	v_fma_f32 v59, v62, v44, -v43
	ds_load_2addr_b64 v[40:43], v0 offset0:128 offset1:144
	ds_load_b128 v[48:51], v32 offset:160
	v_dual_mul_f32 v60, v62, v45 :: v_dual_mul_f32 v61, v63, v47
	v_dual_add_f32 v23, v23, v57 :: v_dual_add_f32 v64, v56, v59
	v_mul_f32_e32 v56, v55, v45
	s_delay_alu instid0(VALU_DEP_3) | instskip(NEXT) | instid1(VALU_DEP_4)
	v_fmac_f32_e32 v60, v63, v44
	v_fma_f32 v61, v62, v46, -v61
	v_mul_f32_e32 v45, v54, v45
	v_mul_f32_e32 v57, v62, v47
	s_delay_alu instid0(VALU_DEP_3) | instskip(SKIP_3) | instid1(VALU_DEP_3)
	v_dual_add_f32 v3, v3, v60 :: v_dual_add_f32 v2, v2, v61
	v_fma_f32 v60, v54, v44, -v56
	v_mul_f32_e32 v61, v55, v47
	v_fmac_f32_e32 v45, v55, v44
	v_dual_fmac_f32 v57, v63, v46 :: v_dual_add_f32 v66, v52, v60
	v_mul_f32_e32 v52, v54, v47
	s_delay_alu instid0(VALU_DEP_4)
	v_fma_f32 v44, v54, v46, -v61
	s_waitcnt lgkmcnt(0)
	v_mul_f32_e32 v47, v49, v41
	v_mul_f32_e32 v54, v49, v43
	;; [unrolled: 1-line block ×3, first 2 shown]
	v_dual_fmac_f32 v52, v55, v46 :: v_dual_add_f32 v67, v53, v44
	s_delay_alu instid0(VALU_DEP_4) | instskip(SKIP_2) | instid1(VALU_DEP_4)
	v_fma_f32 v53, v48, v40, -v47
	v_mul_f32_e32 v69, v48, v43
	v_fma_f32 v48, v48, v42, -v54
	v_add_f32_e32 v23, v23, v52
	ds_load_b128 v[60:63], v32 offset:176
	v_add_f32_e32 v64, v64, v53
	ds_load_b128 v[52:55], v32 offset:4272
	;; [unrolled: 2-line block ×3, first 2 shown]
	v_add_f32_e32 v1, v1, v45
	ds_load_2addr_b64 v[44:47], v0 offset0:160 offset1:176
	v_fmac_f32_e32 v68, v49, v40
	v_dual_fmac_f32 v69, v49, v42 :: v_dual_add_f32 v2, v2, v48
	s_delay_alu instid0(VALU_DEP_2) | instskip(NEXT) | instid1(VALU_DEP_2)
	v_add_f32_e32 v3, v3, v68
	v_add_f32_e32 v65, v65, v69
	s_waitcnt lgkmcnt(1)
	v_mul_f32_e32 v70, v57, v41
	v_mul_f32_e32 v41, v56, v41
	;; [unrolled: 1-line block ×3, first 2 shown]
	s_waitcnt lgkmcnt(0)
	v_dual_mul_f32 v68, v56, v43 :: v_dual_mul_f32 v43, v51, v45
	v_fma_f32 v48, v56, v40, -v70
	v_fmac_f32_e32 v41, v57, v40
	v_fma_f32 v40, v56, v42, -v49
	s_delay_alu instid0(VALU_DEP_4) | instskip(NEXT) | instid1(VALU_DEP_4)
	v_dual_fmac_f32 v68, v57, v42 :: v_dual_mul_f32 v49, v50, v45
	v_add_f32_e32 v48, v66, v48
	v_fma_f32 v57, v50, v44, -v43
	v_dual_mul_f32 v66, v51, v47 :: v_dual_add_f32 v1, v1, v41
	v_add_f32_e32 v56, v67, v40
	ds_load_2addr_b64 v[40:43], v0 offset0:192 offset1:208
	v_fmac_f32_e32 v49, v51, v44
	v_dual_add_f32 v57, v64, v57 :: v_dual_mul_f32 v64, v50, v47
	v_fma_f32 v50, v50, v46, -v66
	s_delay_alu instid0(VALU_DEP_3) | instskip(SKIP_1) | instid1(VALU_DEP_4)
	v_add_f32_e32 v3, v3, v49
	v_mul_f32_e32 v49, v59, v45
	v_dual_mul_f32 v45, v58, v45 :: v_dual_fmac_f32 v64, v51, v46
	s_delay_alu instid0(VALU_DEP_4) | instskip(SKIP_1) | instid1(VALU_DEP_4)
	v_add_f32_e32 v2, v2, v50
	v_mul_f32_e32 v50, v59, v47
	v_fma_f32 v49, v58, v44, -v49
	s_delay_alu instid0(VALU_DEP_4) | instskip(SKIP_1) | instid1(VALU_DEP_4)
	v_fmac_f32_e32 v45, v59, v44
	v_dual_add_f32 v51, v65, v64 :: v_dual_mul_f32 v64, v58, v47
	v_fma_f32 v44, v58, v46, -v50
	s_delay_alu instid0(VALU_DEP_4) | instskip(NEXT) | instid1(VALU_DEP_3)
	v_add_f32_e32 v48, v48, v49
	v_dual_add_f32 v1, v1, v45 :: v_dual_fmac_f32 v64, v59, v46
	s_delay_alu instid0(VALU_DEP_3)
	v_add_f32_e32 v50, v56, v44
	ds_load_2addr_b64 v[44:47], v0 offset0:224 offset1:240
	s_waitcnt lgkmcnt(1)
	v_mul_f32_e32 v49, v61, v41
	v_mul_f32_e32 v56, v60, v41
	v_mul_f32_e32 v58, v60, v43
	s_delay_alu instid0(VALU_DEP_3) | instskip(SKIP_1) | instid1(VALU_DEP_4)
	v_fma_f32 v0, v60, v40, -v49
	v_mul_f32_e32 v49, v61, v43
	v_fmac_f32_e32 v56, v61, v40
	s_delay_alu instid0(VALU_DEP_4) | instskip(NEXT) | instid1(VALU_DEP_4)
	v_fmac_f32_e32 v58, v61, v42
	v_add_f32_e32 v57, v57, v0
	s_delay_alu instid0(VALU_DEP_4) | instskip(SKIP_3) | instid1(VALU_DEP_4)
	v_fma_f32 v0, v60, v42, -v49
	v_mul_f32_e32 v49, v53, v41
	v_add_f32_e32 v3, v3, v56
	v_dual_mul_f32 v41, v52, v41 :: v_dual_add_f32 v56, v51, v58
	v_add_f32_e32 v2, v2, v0
	s_delay_alu instid0(VALU_DEP_4)
	v_fma_f32 v0, v52, v40, -v49
	v_mul_f32_e32 v49, v53, v43
	s_waitcnt lgkmcnt(0)
	v_dual_mul_f32 v58, v52, v43 :: v_dual_mul_f32 v43, v63, v45
	v_fmac_f32_e32 v41, v53, v40
	v_dual_mul_f32 v61, v63, v47 :: v_dual_add_f32 v60, v48, v0
	s_delay_alu instid0(VALU_DEP_3) | instskip(NEXT) | instid1(VALU_DEP_4)
	v_fmac_f32_e32 v58, v53, v42
	v_fma_f32 v53, v62, v44, -v43
	v_fma_f32 v40, v52, v42, -v49
	v_dual_add_f32 v1, v1, v41 :: v_dual_add_nc_u32 v0, 0x1800, v30
	v_mul_f32_e32 v59, v62, v45
	s_delay_alu instid0(VALU_DEP_4)
	v_add_f32_e32 v53, v57, v53
	v_fma_f32 v57, v62, v46, -v61
	v_dual_mul_f32 v61, v55, v45 :: v_dual_add_f32 v52, v50, v40
	ds_load_2addr_b64 v[40:43], v0 offset1:16
	ds_load_b128 v[48:51], v32 offset:192
	v_fmac_f32_e32 v59, v63, v44
	v_mul_f32_e32 v45, v54, v45
	v_fma_f32 v61, v54, v44, -v61
	s_delay_alu instid0(VALU_DEP_3) | instskip(NEXT) | instid1(VALU_DEP_3)
	v_dual_add_f32 v2, v2, v57 :: v_dual_add_f32 v3, v3, v59
	v_fmac_f32_e32 v45, v55, v44
	s_delay_alu instid0(VALU_DEP_3) | instskip(SKIP_1) | instid1(VALU_DEP_3)
	v_add_f32_e32 v65, v60, v61
	v_add_f32_e32 v23, v23, v68
	;; [unrolled: 1-line block ×3, first 2 shown]
	s_delay_alu instid0(VALU_DEP_2) | instskip(NEXT) | instid1(VALU_DEP_1)
	v_add_f32_e32 v23, v23, v64
	v_dual_add_f32 v23, v23, v58 :: v_dual_mul_f32 v58, v62, v47
	v_mul_f32_e32 v62, v55, v47
	s_waitcnt lgkmcnt(0)
	v_mul_f32_e32 v66, v48, v41
	s_delay_alu instid0(VALU_DEP_3) | instskip(NEXT) | instid1(VALU_DEP_3)
	v_dual_mul_f32 v69, v48, v43 :: v_dual_fmac_f32 v58, v63, v46
	v_fma_f32 v44, v54, v46, -v62
	v_dual_mul_f32 v54, v54, v47 :: v_dual_mul_f32 v47, v49, v41
	s_delay_alu instid0(VALU_DEP_4) | instskip(NEXT) | instid1(VALU_DEP_4)
	v_fmac_f32_e32 v66, v49, v40
	v_add_f32_e32 v64, v56, v58
	ds_load_b128 v[56:59], v32 offset:4288
	ds_load_b128 v[60:63], v32 offset:208
	v_dual_fmac_f32 v54, v55, v46 :: v_dual_add_f32 v67, v52, v44
	v_fma_f32 v52, v48, v40, -v47
	ds_load_2addr_b64 v[44:47], v0 offset0:32 offset1:48
	v_mul_f32_e32 v55, v49, v43
	v_add_f32_e32 v3, v3, v66
	v_fmac_f32_e32 v69, v49, v42
	v_dual_add_f32 v23, v23, v54 :: v_dual_add_f32 v68, v53, v52
	s_delay_alu instid0(VALU_DEP_4)
	v_fma_f32 v48, v48, v42, -v55
	ds_load_b128 v[52:55], v32 offset:4304
	v_add_f32_e32 v64, v64, v69
	v_add_f32_e32 v2, v2, v48
	s_waitcnt lgkmcnt(3)
	v_mul_f32_e32 v66, v57, v41
	v_dual_mul_f32 v41, v56, v41 :: v_dual_mul_f32 v48, v57, v43
	s_delay_alu instid0(VALU_DEP_2) | instskip(NEXT) | instid1(VALU_DEP_2)
	v_fma_f32 v49, v56, v40, -v66
	v_dual_fmac_f32 v41, v57, v40 :: v_dual_mul_f32 v66, v56, v43
	s_delay_alu instid0(VALU_DEP_3)
	v_fma_f32 v40, v56, v42, -v48
	s_waitcnt lgkmcnt(1)
	v_mul_f32_e32 v43, v51, v45
	v_add_f32_e32 v48, v65, v49
	v_add_f32_e32 v1, v1, v41
	v_dual_fmac_f32 v66, v57, v42 :: v_dual_add_f32 v49, v67, v40
	s_delay_alu instid0(VALU_DEP_4) | instskip(SKIP_3) | instid1(VALU_DEP_2)
	v_fma_f32 v57, v50, v44, -v43
	ds_load_2addr_b64 v[40:43], v0 offset0:64 offset1:80
	v_dual_mul_f32 v56, v50, v45 :: v_dual_mul_f32 v65, v51, v47
	v_dual_add_f32 v23, v23, v66 :: v_dual_mul_f32 v66, v50, v47
	v_dual_add_f32 v57, v68, v57 :: v_dual_fmac_f32 v56, v51, v44
	s_delay_alu instid0(VALU_DEP_3) | instskip(SKIP_1) | instid1(VALU_DEP_4)
	v_fma_f32 v50, v50, v46, -v65
	v_mul_f32_e32 v65, v59, v45
	v_dual_mul_f32 v45, v58, v45 :: v_dual_fmac_f32 v66, v51, v46
	s_delay_alu instid0(VALU_DEP_3) | instskip(NEXT) | instid1(VALU_DEP_3)
	v_dual_add_f32 v3, v3, v56 :: v_dual_add_f32 v2, v2, v50
	v_fma_f32 v50, v58, v44, -v65
	s_delay_alu instid0(VALU_DEP_3) | instskip(SKIP_2) | instid1(VALU_DEP_3)
	v_fmac_f32_e32 v45, v59, v44
	v_mul_f32_e32 v44, v59, v47
	v_dual_mul_f32 v56, v58, v47 :: v_dual_add_f32 v51, v64, v66
	v_dual_add_f32 v48, v48, v50 :: v_dual_add_f32 v1, v1, v45
	s_delay_alu instid0(VALU_DEP_3)
	v_fma_f32 v50, v58, v46, -v44
	s_waitcnt lgkmcnt(0)
	v_mul_f32_e32 v58, v61, v41
	v_fmac_f32_e32 v56, v59, v46
	ds_load_2addr_b64 v[44:47], v0 offset0:96 offset1:112
	v_dual_mul_f32 v64, v60, v43 :: v_dual_add_f32 v49, v49, v50
	v_fma_f32 v50, v60, v40, -v58
	v_dual_mul_f32 v58, v61, v43 :: v_dual_add_f32 v23, v23, v56
	s_delay_alu instid0(VALU_DEP_3) | instskip(NEXT) | instid1(VALU_DEP_3)
	v_dual_mul_f32 v59, v60, v41 :: v_dual_fmac_f32 v64, v61, v42
	v_add_f32_e32 v56, v57, v50
	s_delay_alu instid0(VALU_DEP_3)
	v_fma_f32 v50, v60, v42, -v58
	v_mul_f32_e32 v57, v53, v41
	v_mul_f32_e32 v41, v52, v41
	v_fmac_f32_e32 v59, v61, v40
	v_add_f32_e32 v58, v51, v64
	v_add_f32_e32 v2, v2, v50
	v_mul_f32_e32 v50, v53, v43
	v_fma_f32 v51, v52, v40, -v57
	v_fmac_f32_e32 v41, v53, v40
	v_mul_f32_e32 v57, v52, v43
	v_add_f32_e32 v3, v3, v59
	v_fma_f32 v40, v52, v42, -v50
	s_waitcnt lgkmcnt(0)
	v_dual_mul_f32 v43, v63, v45 :: v_dual_add_f32 v52, v48, v51
	v_add_f32_e32 v1, v1, v41
	v_fmac_f32_e32 v57, v53, v42
	v_add_f32_e32 v53, v49, v40
	s_delay_alu instid0(VALU_DEP_4)
	v_fma_f32 v59, v62, v44, -v43
	ds_load_2addr_b64 v[40:43], v0 offset0:128 offset1:144
	ds_load_b128 v[48:51], v32 offset:224
	v_dual_mul_f32 v60, v62, v45 :: v_dual_mul_f32 v61, v63, v47
	v_add_f32_e32 v23, v23, v57
	v_mul_f32_e32 v57, v62, v47
	v_add_f32_e32 v64, v56, v59
	s_delay_alu instid0(VALU_DEP_4) | instskip(SKIP_4) | instid1(VALU_DEP_4)
	v_fmac_f32_e32 v60, v63, v44
	v_fma_f32 v61, v62, v46, -v61
	v_mul_f32_e32 v56, v55, v45
	v_fmac_f32_e32 v57, v63, v46
	v_mul_f32_e32 v45, v54, v45
	v_dual_add_f32 v3, v3, v60 :: v_dual_add_f32 v2, v2, v61
	s_delay_alu instid0(VALU_DEP_4)
	v_fma_f32 v60, v54, v44, -v56
	v_mul_f32_e32 v61, v55, v47
	v_add_f32_e32 v65, v58, v57
	ds_load_b128 v[56:59], v32 offset:4320
	v_fmac_f32_e32 v45, v55, v44
	v_add_f32_e32 v66, v52, v60
	v_mul_f32_e32 v52, v54, v47
	v_fma_f32 v44, v54, v46, -v61
	ds_load_b128 v[60:63], v32 offset:240
	s_waitcnt lgkmcnt(2)
	v_mul_f32_e32 v47, v49, v41
	v_dual_add_f32 v1, v1, v45 :: v_dual_fmac_f32 v52, v55, v46
	v_dual_add_f32 v67, v53, v44 :: v_dual_mul_f32 v68, v48, v41
	s_delay_alu instid0(VALU_DEP_3) | instskip(SKIP_4) | instid1(VALU_DEP_3)
	v_fma_f32 v53, v48, v40, -v47
	ds_load_2addr_b64 v[44:47], v0 offset0:160 offset1:176
	v_mul_f32_e32 v54, v49, v43
	v_dual_mul_f32 v69, v48, v43 :: v_dual_fmac_f32 v68, v49, v40
	v_dual_add_f32 v64, v64, v53 :: v_dual_add_f32 v23, v23, v52
	v_fma_f32 v48, v48, v42, -v54
	s_delay_alu instid0(VALU_DEP_3)
	v_fmac_f32_e32 v69, v49, v42
	s_waitcnt lgkmcnt(2)
	v_mul_f32_e32 v70, v57, v41
	v_mul_f32_e32 v41, v56, v41
	;; [unrolled: 1-line block ×3, first 2 shown]
	v_add_f32_e32 v3, v3, v68
	v_add_f32_e32 v2, v2, v48
	v_fma_f32 v48, v56, v40, -v70
	v_dual_fmac_f32 v41, v57, v40 :: v_dual_mul_f32 v68, v56, v43
	v_fma_f32 v40, v56, v42, -v49
	ds_load_b128 v[52:55], v32 offset:4336
	v_dual_add_f32 v48, v66, v48 :: v_dual_add_f32 v1, v1, v41
	s_waitcnt lgkmcnt(1)
	v_dual_mul_f32 v43, v51, v45 :: v_dual_fmac_f32 v68, v57, v42
	v_dual_mul_f32 v49, v50, v45 :: v_dual_add_f32 v56, v67, v40
	v_mul_f32_e32 v66, v51, v47
	s_delay_alu instid0(VALU_DEP_3)
	v_fma_f32 v57, v50, v44, -v43
	ds_load_2addr_b64 v[40:43], v0 offset0:192 offset1:208
	v_fmac_f32_e32 v49, v51, v44
	v_add_f32_e32 v23, v23, v68
	v_add_f32_e32 v65, v65, v69
	v_dual_add_f32 v57, v64, v57 :: v_dual_mul_f32 v64, v50, v47
	v_fma_f32 v50, v50, v46, -v66
	v_add_f32_e32 v49, v3, v49
	v_mul_f32_e32 v3, v59, v45
	s_delay_alu instid0(VALU_DEP_4) | instskip(NEXT) | instid1(VALU_DEP_4)
	v_dual_mul_f32 v45, v58, v45 :: v_dual_fmac_f32 v64, v51, v46
	v_add_f32_e32 v50, v2, v50
	v_mul_f32_e32 v2, v59, v47
	s_delay_alu instid0(VALU_DEP_4) | instskip(NEXT) | instid1(VALU_DEP_4)
	v_fma_f32 v3, v58, v44, -v3
	v_fmac_f32_e32 v45, v59, v44
	v_dual_mul_f32 v47, v58, v47 :: v_dual_add_f32 v44, v65, v64
	s_delay_alu instid0(VALU_DEP_4) | instskip(NEXT) | instid1(VALU_DEP_3)
	v_fma_f32 v2, v58, v46, -v2
	v_dual_add_f32 v48, v48, v3 :: v_dual_add_f32 v45, v1, v45
	s_waitcnt lgkmcnt(0)
	v_mul_f32_e32 v51, v61, v41
	v_fmac_f32_e32 v47, v59, v46
	v_add_f32_e32 v46, v56, v2
	ds_load_2addr_b64 v[0:3], v0 offset0:224 offset1:240
	v_mul_f32_e32 v56, v60, v41
	v_fma_f32 v51, v60, v40, -v51
	v_add_f32_e32 v23, v23, v47
	v_mul_f32_e32 v47, v61, v43
	v_mul_f32_e32 v58, v60, v43
	v_fmac_f32_e32 v56, v61, v40
	v_add_f32_e32 v51, v57, v51
	v_mul_f32_e32 v57, v53, v41
	v_fma_f32 v47, v60, v42, -v47
	v_mul_f32_e32 v41, v52, v41
	v_add_f32_e32 v49, v49, v56
	v_fmac_f32_e32 v58, v61, v42
	v_fma_f32 v56, v52, v40, -v57
	v_add_f32_e32 v47, v50, v47
	v_mul_f32_e32 v50, v53, v43
	v_fmac_f32_e32 v41, v53, v40
	v_mul_f32_e32 v43, v52, v43
	v_add_f32_e32 v40, v48, v56
	v_add_f32_e32 v44, v44, v58
	v_fma_f32 v48, v52, v42, -v50
	s_waitcnt lgkmcnt(0)
	v_mul_f32_e32 v50, v63, v1
	v_dual_mul_f32 v52, v62, v1 :: v_dual_fmac_f32 v43, v53, v42
	s_delay_alu instid0(VALU_DEP_3) | instskip(NEXT) | instid1(VALU_DEP_3)
	v_dual_add_f32 v41, v45, v41 :: v_dual_add_f32 v48, v46, v48
	v_fma_f32 v42, v62, v0, -v50
	s_delay_alu instid0(VALU_DEP_3) | instskip(SKIP_3) | instid1(VALU_DEP_4)
	v_fmac_f32_e32 v52, v63, v0
	v_mul_f32_e32 v50, v63, v3
	v_mul_f32_e32 v53, v62, v3
	v_add_f32_e32 v23, v23, v43
	v_dual_add_f32 v45, v51, v42 :: v_dual_add_f32 v46, v49, v52
	s_delay_alu instid0(VALU_DEP_4)
	v_fma_f32 v42, v62, v2, -v50
	v_mul_f32_e32 v49, v55, v1
	v_dual_mul_f32 v1, v54, v1 :: v_dual_mul_f32 v50, v55, v3
	v_mul_f32_e32 v3, v54, v3
	v_fmac_f32_e32 v53, v63, v2
	v_add_f32_e32 v43, v47, v42
	v_fma_f32 v42, v54, v0, -v49
	v_fmac_f32_e32 v1, v55, v0
	v_fma_f32 v0, v54, v2, -v50
	v_dual_fmac_f32 v3, v55, v2 :: v_dual_add_f32 v44, v44, v53
	s_delay_alu instid0(VALU_DEP_3) | instskip(NEXT) | instid1(VALU_DEP_2)
	v_dual_add_f32 v42, v40, v42 :: v_dual_add_f32 v41, v41, v1
	v_dual_add_f32 v40, v48, v0 :: v_dual_add_f32 v23, v23, v3
	s_barrier
	buffer_gl0_inv
	s_cbranch_scc1 .LBB78_55
.LBB78_7:                               ;   Parent Loop BB78_4 Depth=1
                                        ; =>  This Inner Loop Header: Depth=2
	v_add_co_u32 v2, s5, v28, s24
	s_delay_alu instid0(VALU_DEP_1) | instskip(SKIP_1) | instid1(VALU_DEP_2)
	v_add_co_ci_u32_e64 v3, null, 0, s25, s5
	v_cmp_eq_u64_e64 s7, s[24:25], v[12:13]
	v_cmp_le_i64_e64 s6, s[12:13], v[2:3]
	v_cmp_gt_i64_e64 s5, v[2:3], v[6:7]
	s_delay_alu instid0(VALU_DEP_3) | instskip(NEXT) | instid1(VALU_DEP_1)
	s_and_b32 s28, s42, s7
	s_or_b32 s7, s6, s5
	s_delay_alu instid0(SALU_CYCLE_1) | instskip(SKIP_1) | instid1(VALU_DEP_1)
	s_or_b32 s8, s7, s28
	v_add_co_u32 v0, s7, v34, s20
	v_add_co_ci_u32_e64 v1, s7, s21, v35, s7
	s_or_b32 s7, s0, s8
	s_delay_alu instid0(SALU_CYCLE_1) | instskip(NEXT) | instid1(SALU_CYCLE_1)
	s_xor_b32 s7, s7, -1
	s_and_saveexec_b32 s8, s7
	s_delay_alu instid0(SALU_CYCLE_1)
	s_xor_b32 s7, exec_lo, s8
	s_cbranch_execz .LBB78_9
; %bb.8:                                ;   in Loop: Header=BB78_7 Depth=2
	global_load_b64 v[47:48], v[0:1], off
	s_waitcnt vmcnt(0)
	ds_store_b64 v31, v[47:48]
.LBB78_9:                               ;   in Loop: Header=BB78_7 Depth=2
	s_or_saveexec_b32 s7, s7
	s_xor_b32 s15, s28, -1
	s_xor_b32 exec_lo, exec_lo, s7
	s_cbranch_execz .LBB78_15
; %bb.10:                               ;   in Loop: Header=BB78_7 Depth=2
	s_and_saveexec_b32 s8, s15
	s_delay_alu instid0(SALU_CYCLE_1)
	s_xor_b32 s8, exec_lo, s8
	s_cbranch_execz .LBB78_12
; %bb.11:                               ;   in Loop: Header=BB78_7 Depth=2
	v_mov_b32_e32 v47, v5
	v_mov_b32_e32 v48, v5
	ds_store_b64 v31, v[47:48]
.LBB78_12:                              ;   in Loop: Header=BB78_7 Depth=2
	s_and_not1_saveexec_b32 s8, s8
	s_cbranch_execz .LBB78_14
; %bb.13:                               ;   in Loop: Header=BB78_7 Depth=2
	ds_store_b64 v31, v[4:5]
.LBB78_14:                              ;   in Loop: Header=BB78_7 Depth=2
	s_or_b32 exec_lo, exec_lo, s8
.LBB78_15:                              ;   in Loop: Header=BB78_7 Depth=2
	s_delay_alu instid0(SALU_CYCLE_1) | instskip(SKIP_2) | instid1(VALU_DEP_2)
	s_or_b32 exec_lo, exec_lo, s7
	v_cmp_eq_u64_e64 s7, s[24:25], v[16:17]
	v_cmp_lt_i64_e64 s8, v[10:11], v[2:3]
	s_and_b32 s7, s42, s7
	s_delay_alu instid0(VALU_DEP_1) | instskip(NEXT) | instid1(SALU_CYCLE_1)
	s_or_b32 s6, s6, s8
	s_or_b32 s6, s6, s7
	s_delay_alu instid0(SALU_CYCLE_1) | instskip(NEXT) | instid1(SALU_CYCLE_1)
	s_or_b32 s6, s3, s6
	s_xor_b32 s6, s6, -1
	s_delay_alu instid0(SALU_CYCLE_1) | instskip(NEXT) | instid1(SALU_CYCLE_1)
	s_and_saveexec_b32 s8, s6
	s_xor_b32 s8, exec_lo, s8
	s_cbranch_execz .LBB78_17
; %bb.16:                               ;   in Loop: Header=BB78_7 Depth=2
	v_add_co_u32 v47, s6, v36, s20
	s_delay_alu instid0(VALU_DEP_1)
	v_add_co_ci_u32_e64 v48, s6, s21, v37, s6
	global_load_b64 v[47:48], v[47:48], off
	s_waitcnt vmcnt(0)
	ds_store_b64 v31, v[47:48] offset:128
.LBB78_17:                              ;   in Loop: Header=BB78_7 Depth=2
	s_and_not1_saveexec_b32 s6, s8
	s_cbranch_execz .LBB78_23
; %bb.18:                               ;   in Loop: Header=BB78_7 Depth=2
	s_xor_b32 s7, s7, -1
	s_delay_alu instid0(SALU_CYCLE_1) | instskip(NEXT) | instid1(SALU_CYCLE_1)
	s_and_saveexec_b32 s8, s7
	s_xor_b32 s7, exec_lo, s8
	s_cbranch_execz .LBB78_20
; %bb.19:                               ;   in Loop: Header=BB78_7 Depth=2
	v_mov_b32_e32 v47, v5
	v_mov_b32_e32 v48, v5
	ds_store_b64 v31, v[47:48] offset:128
.LBB78_20:                              ;   in Loop: Header=BB78_7 Depth=2
	s_and_not1_saveexec_b32 s7, s7
	s_cbranch_execz .LBB78_22
; %bb.21:                               ;   in Loop: Header=BB78_7 Depth=2
	ds_store_b64 v31, v[4:5] offset:128
.LBB78_22:                              ;   in Loop: Header=BB78_7 Depth=2
	s_or_b32 exec_lo, exec_lo, s7
.LBB78_23:                              ;   in Loop: Header=BB78_7 Depth=2
	s_delay_alu instid0(SALU_CYCLE_1) | instskip(SKIP_1) | instid1(VALU_DEP_1)
	s_or_b32 exec_lo, exec_lo, s6
	v_add_co_u32 v2, s6, v2, 16
	v_add_co_ci_u32_e64 v3, s6, 0, v3, s6
	v_cmp_eq_u64_e64 s7, s[24:25], v[18:19]
	s_delay_alu instid0(VALU_DEP_2) | instskip(SKIP_1) | instid1(VALU_DEP_3)
	v_cmp_le_i64_e64 s6, s[12:13], v[2:3]
	v_cmp_gt_i64_e64 s8, v[2:3], v[6:7]
	s_and_b32 s29, s42, s7
	s_delay_alu instid0(VALU_DEP_1) | instskip(NEXT) | instid1(SALU_CYCLE_1)
	s_or_b32 s7, s6, s8
	s_or_b32 s7, s7, s29
	s_delay_alu instid0(SALU_CYCLE_1) | instskip(NEXT) | instid1(SALU_CYCLE_1)
	s_or_b32 s7, s0, s7
	s_xor_b32 s7, s7, -1
	s_delay_alu instid0(SALU_CYCLE_1) | instskip(NEXT) | instid1(SALU_CYCLE_1)
	s_and_saveexec_b32 s8, s7
	s_xor_b32 s7, exec_lo, s8
	s_cbranch_execz .LBB78_25
; %bb.24:                               ;   in Loop: Header=BB78_7 Depth=2
	global_load_b64 v[0:1], v[0:1], off offset:128
	s_waitcnt vmcnt(0)
	ds_store_b64 v31, v[0:1] offset:4096
.LBB78_25:                              ;   in Loop: Header=BB78_7 Depth=2
	s_and_not1_saveexec_b32 s7, s7
	s_cbranch_execz .LBB78_31
; %bb.26:                               ;   in Loop: Header=BB78_7 Depth=2
	s_xor_b32 s8, s29, -1
	s_delay_alu instid0(SALU_CYCLE_1) | instskip(NEXT) | instid1(SALU_CYCLE_1)
	s_and_saveexec_b32 s29, s8
	s_xor_b32 s8, exec_lo, s29
	s_cbranch_execz .LBB78_28
; %bb.27:                               ;   in Loop: Header=BB78_7 Depth=2
	v_mov_b32_e32 v0, v5
	v_mov_b32_e32 v1, v5
	ds_store_b64 v31, v[0:1] offset:4096
.LBB78_28:                              ;   in Loop: Header=BB78_7 Depth=2
	s_and_not1_saveexec_b32 s8, s8
	s_cbranch_execz .LBB78_30
; %bb.29:                               ;   in Loop: Header=BB78_7 Depth=2
	ds_store_b64 v31, v[4:5] offset:4096
.LBB78_30:                              ;   in Loop: Header=BB78_7 Depth=2
	s_or_b32 exec_lo, exec_lo, s8
.LBB78_31:                              ;   in Loop: Header=BB78_7 Depth=2
	s_delay_alu instid0(SALU_CYCLE_1) | instskip(SKIP_1) | instid1(SALU_CYCLE_1)
	s_or_b32 exec_lo, exec_lo, s7
	s_or_b32 s5, s6, s5
	s_or_b32 s5, s5, s28
	s_delay_alu instid0(SALU_CYCLE_1) | instskip(NEXT) | instid1(SALU_CYCLE_1)
	s_or_b32 s5, s3, s5
	s_xor_b32 s5, s5, -1
	s_delay_alu instid0(SALU_CYCLE_1) | instskip(NEXT) | instid1(SALU_CYCLE_1)
	s_and_saveexec_b32 s6, s5
	s_xor_b32 s6, exec_lo, s6
	s_cbranch_execz .LBB78_33
; %bb.32:                               ;   in Loop: Header=BB78_7 Depth=2
	v_add_co_u32 v0, s5, v36, s20
	s_delay_alu instid0(VALU_DEP_1)
	v_add_co_ci_u32_e64 v1, s5, s21, v37, s5
	global_load_b64 v[0:1], v[0:1], off offset:128
	s_waitcnt vmcnt(0)
	ds_store_b64 v31, v[0:1] offset:4224
.LBB78_33:                              ;   in Loop: Header=BB78_7 Depth=2
	s_and_not1_saveexec_b32 s5, s6
	s_cbranch_execz .LBB78_39
; %bb.34:                               ;   in Loop: Header=BB78_7 Depth=2
	s_and_saveexec_b32 s6, s15
	s_delay_alu instid0(SALU_CYCLE_1)
	s_xor_b32 s6, exec_lo, s6
	s_cbranch_execz .LBB78_36
; %bb.35:                               ;   in Loop: Header=BB78_7 Depth=2
	v_mov_b32_e32 v0, v5
	v_mov_b32_e32 v1, v5
	ds_store_b64 v31, v[0:1] offset:4224
.LBB78_36:                              ;   in Loop: Header=BB78_7 Depth=2
	s_and_not1_saveexec_b32 s6, s6
	s_cbranch_execz .LBB78_38
; %bb.37:                               ;   in Loop: Header=BB78_7 Depth=2
	ds_store_b64 v31, v[4:5] offset:4224
.LBB78_38:                              ;   in Loop: Header=BB78_7 Depth=2
	s_or_b32 exec_lo, exec_lo, s6
.LBB78_39:                              ;   in Loop: Header=BB78_7 Depth=2
	s_delay_alu instid0(SALU_CYCLE_1) | instskip(SKIP_1) | instid1(VALU_DEP_1)
	s_or_b32 exec_lo, exec_lo, s5
	v_add_co_u32 v0, s5, v29, s24
	v_add_co_ci_u32_e64 v1, null, 0, s25, s5
	s_delay_alu instid0(VALU_DEP_1) | instskip(NEXT) | instid1(VALU_DEP_1)
	v_cmp_gt_i64_e64 s5, s[12:13], v[0:1]
	s_and_b32 s6, vcc_lo, s5
	s_delay_alu instid0(SALU_CYCLE_1) | instskip(NEXT) | instid1(SALU_CYCLE_1)
	s_xor_b32 s6, s6, -1
	s_and_saveexec_b32 s7, s6
	s_delay_alu instid0(SALU_CYCLE_1)
	s_xor_b32 s6, exec_lo, s7
	s_cbranch_execz .LBB78_41
; %bb.40:                               ;   in Loop: Header=BB78_7 Depth=2
	v_mov_b32_e32 v2, v5
	v_mov_b32_e32 v3, v5
	ds_store_b64 v33, v[2:3]
.LBB78_41:                              ;   in Loop: Header=BB78_7 Depth=2
	s_or_saveexec_b32 s7, s6
	v_add_co_u32 v2, s6, v24, s20
	s_delay_alu instid0(VALU_DEP_1)
	v_add_co_ci_u32_e64 v3, s6, s21, v25, s6
	s_xor_b32 exec_lo, exec_lo, s7
	s_cbranch_execz .LBB78_43
; %bb.42:                               ;   in Loop: Header=BB78_7 Depth=2
	global_load_b64 v[47:48], v[2:3], off offset:-128
	s_waitcnt vmcnt(0)
	ds_store_b64 v33, v[47:48]
.LBB78_43:                              ;   in Loop: Header=BB78_7 Depth=2
	s_or_b32 exec_lo, exec_lo, s7
	v_cmp_gt_i64_e64 s6, s[18:19], v[0:1]
	s_delay_alu instid0(VALU_DEP_1) | instskip(NEXT) | instid1(SALU_CYCLE_1)
	s_and_b32 s7, vcc_lo, s6
	s_xor_b32 s7, s7, -1
	s_delay_alu instid0(SALU_CYCLE_1) | instskip(NEXT) | instid1(SALU_CYCLE_1)
	s_and_saveexec_b32 s8, s7
	s_xor_b32 s7, exec_lo, s8
	s_cbranch_execz .LBB78_45
; %bb.44:                               ;   in Loop: Header=BB78_7 Depth=2
	v_mov_b32_e32 v0, v5
	v_mov_b32_e32 v1, v5
                                        ; implicit-def: $vgpr2_vgpr3
	ds_store_b64 v33, v[0:1] offset:128
.LBB78_45:                              ;   in Loop: Header=BB78_7 Depth=2
	s_and_not1_saveexec_b32 s7, s7
	s_cbranch_execz .LBB78_47
; %bb.46:                               ;   in Loop: Header=BB78_7 Depth=2
	global_load_b64 v[0:1], v[2:3], off
	s_waitcnt vmcnt(0)
	ds_store_b64 v33, v[0:1] offset:128
.LBB78_47:                              ;   in Loop: Header=BB78_7 Depth=2
	s_or_b32 exec_lo, exec_lo, s7
	s_and_b32 s5, s4, s5
	s_delay_alu instid0(SALU_CYCLE_1) | instskip(NEXT) | instid1(SALU_CYCLE_1)
	s_xor_b32 s5, s5, -1
	s_and_saveexec_b32 s7, s5
	s_delay_alu instid0(SALU_CYCLE_1)
	s_xor_b32 s5, exec_lo, s7
	s_cbranch_execz .LBB78_49
; %bb.48:                               ;   in Loop: Header=BB78_7 Depth=2
	v_mov_b32_e32 v0, v5
	v_mov_b32_e32 v1, v5
	ds_store_b64 v33, v[0:1] offset:4096
.LBB78_49:                              ;   in Loop: Header=BB78_7 Depth=2
	s_and_not1_saveexec_b32 s7, s5
	s_cbranch_execz .LBB78_51
; %bb.50:                               ;   in Loop: Header=BB78_7 Depth=2
	v_add_co_u32 v0, s5, v26, s20
	s_delay_alu instid0(VALU_DEP_1)
	v_add_co_ci_u32_e64 v1, s5, s21, v27, s5
	global_load_b64 v[0:1], v[0:1], off offset:-128
	s_waitcnt vmcnt(0)
	ds_store_b64 v33, v[0:1] offset:4096
.LBB78_51:                              ;   in Loop: Header=BB78_7 Depth=2
	s_or_b32 exec_lo, exec_lo, s7
	s_and_b32 s5, s4, s6
	s_delay_alu instid0(SALU_CYCLE_1) | instskip(NEXT) | instid1(SALU_CYCLE_1)
	s_xor_b32 s5, s5, -1
	s_and_saveexec_b32 s6, s5
	s_delay_alu instid0(SALU_CYCLE_1)
	s_xor_b32 s5, exec_lo, s6
	s_cbranch_execz .LBB78_53
; %bb.52:                               ;   in Loop: Header=BB78_7 Depth=2
	v_mov_b32_e32 v0, v5
	v_mov_b32_e32 v1, v5
	ds_store_b64 v33, v[0:1] offset:4224
.LBB78_53:                              ;   in Loop: Header=BB78_7 Depth=2
	s_and_not1_saveexec_b32 s6, s5
	s_cbranch_execz .LBB78_6
; %bb.54:                               ;   in Loop: Header=BB78_7 Depth=2
	v_add_co_u32 v0, s5, v26, s20
	s_delay_alu instid0(VALU_DEP_1)
	v_add_co_ci_u32_e64 v1, s5, s21, v27, s5
	global_load_b64 v[0:1], v[0:1], off
	s_waitcnt vmcnt(0)
	ds_store_b64 v33, v[0:1] offset:4224
	s_branch .LBB78_6
.LBB78_55:                              ;   in Loop: Header=BB78_4 Depth=1
	v_mul_lo_u32 v2, v39, s16
	v_mul_lo_u32 v3, v38, s17
	v_mad_u64_u32 v[0:1], null, v38, s16, 0
	v_cmp_gt_i32_e32 vcc_lo, s10, v38
	s_delay_alu instid0(VALU_DEP_2) | instskip(NEXT) | instid1(VALU_DEP_1)
	v_add3_u32 v1, v1, v3, v2
	v_lshlrev_b64 v[0:1], 3, v[0:1]
	s_delay_alu instid0(VALU_DEP_1) | instskip(NEXT) | instid1(VALU_DEP_1)
	v_add_co_u32 v0, s4, s27, v0
	v_add_co_ci_u32_e64 v1, s4, s33, v1, s4
	s_and_b32 s4, s1, vcc_lo
	s_delay_alu instid0(SALU_CYCLE_1)
	s_and_saveexec_b32 s5, s4
	s_cbranch_execz .LBB78_57
; %bb.56:                               ;   in Loop: Header=BB78_4 Depth=1
	v_add_co_u32 v2, s4, v0, v14
	s_delay_alu instid0(VALU_DEP_1)
	v_add_co_ci_u32_e64 v3, s4, v1, v15, s4
	v_mul_f32_e32 v27, s34, v46
	v_mul_f32_e32 v26, s35, v46
	global_load_b64 v[24:25], v[2:3], off
	v_fmac_f32_e32 v27, s35, v45
	v_fma_f32 v26, v45, s34, -v26
	s_waitcnt vmcnt(0)
	s_delay_alu instid0(VALU_DEP_1)
	v_dual_add_f32 v24, v24, v26 :: v_dual_add_f32 v25, v25, v27
	global_store_b64 v[2:3], v[24:25], off
.LBB78_57:                              ;   in Loop: Header=BB78_4 Depth=1
	s_or_b32 exec_lo, exec_lo, s5
	s_and_b32 s5, s2, vcc_lo
	s_delay_alu instid0(SALU_CYCLE_1)
	s_and_saveexec_b32 s4, s5
	s_cbranch_execz .LBB78_59
; %bb.58:                               ;   in Loop: Header=BB78_4 Depth=1
	v_lshlrev_b64 v[2:3], 3, v[8:9]
	v_mul_f32_e32 v25, s34, v44
	s_delay_alu instid0(VALU_DEP_1) | instskip(NEXT) | instid1(VALU_DEP_3)
	v_dual_mul_f32 v24, s35, v44 :: v_dual_fmac_f32 v25, s35, v43
	v_add_co_u32 v0, vcc_lo, v0, v2
	s_delay_alu instid0(VALU_DEP_4) | instskip(NEXT) | instid1(VALU_DEP_3)
	v_add_co_ci_u32_e32 v1, vcc_lo, v1, v3, vcc_lo
	v_fma_f32 v24, v43, s34, -v24
	global_load_b64 v[2:3], v[0:1], off
	s_waitcnt vmcnt(0)
	v_dual_add_f32 v2, v2, v24 :: v_dual_add_f32 v3, v3, v25
	global_store_b64 v[0:1], v[2:3], off
.LBB78_59:                              ;   in Loop: Header=BB78_4 Depth=1
	s_or_b32 exec_lo, exec_lo, s4
	v_add_nc_u32_e32 v2, 16, v38
	s_delay_alu instid0(VALU_DEP_1) | instskip(SKIP_3) | instid1(VALU_DEP_4)
	v_ashrrev_i32_e32 v3, 31, v2
	v_mul_lo_u32 v24, v2, s17
	v_mad_u64_u32 v[0:1], null, v2, s16, 0
	v_cmp_gt_i32_e32 vcc_lo, s10, v2
	v_mul_lo_u32 v3, v3, s16
	s_delay_alu instid0(VALU_DEP_1) | instskip(NEXT) | instid1(VALU_DEP_1)
	v_add3_u32 v1, v1, v24, v3
	v_lshlrev_b64 v[0:1], 3, v[0:1]
	s_delay_alu instid0(VALU_DEP_1) | instskip(NEXT) | instid1(VALU_DEP_1)
	v_add_co_u32 v0, s4, s27, v0
	v_add_co_ci_u32_e64 v1, s4, s33, v1, s4
	s_and_b32 s4, s1, vcc_lo
	s_delay_alu instid0(SALU_CYCLE_1)
	s_and_saveexec_b32 s5, s4
	s_cbranch_execz .LBB78_61
; %bb.60:                               ;   in Loop: Header=BB78_4 Depth=1
	v_add_co_u32 v2, s4, v0, v14
	s_delay_alu instid0(VALU_DEP_1) | instskip(SKIP_2) | instid1(VALU_DEP_1)
	v_add_co_ci_u32_e64 v3, s4, v1, v15, s4
	global_load_b64 v[24:25], v[2:3], off
	v_mul_f32_e32 v27, s34, v41
	v_dual_mul_f32 v26, s35, v41 :: v_dual_fmac_f32 v27, s35, v42
	s_delay_alu instid0(VALU_DEP_1) | instskip(SKIP_1) | instid1(VALU_DEP_1)
	v_fma_f32 v26, v42, s34, -v26
	s_waitcnt vmcnt(0)
	v_dual_add_f32 v24, v24, v26 :: v_dual_add_f32 v25, v25, v27
	global_store_b64 v[2:3], v[24:25], off
.LBB78_61:                              ;   in Loop: Header=BB78_4 Depth=1
	s_or_b32 exec_lo, exec_lo, s5
	s_and_b32 s5, s2, vcc_lo
	s_delay_alu instid0(SALU_CYCLE_1)
	s_and_saveexec_b32 s4, s5
	s_cbranch_execz .LBB78_3
; %bb.62:                               ;   in Loop: Header=BB78_4 Depth=1
	v_lshlrev_b64 v[2:3], 3, v[8:9]
	v_mul_f32_e32 v24, s35, v23
	s_delay_alu instid0(VALU_DEP_2) | instskip(NEXT) | instid1(VALU_DEP_3)
	v_add_co_u32 v0, vcc_lo, v0, v2
	v_add_co_ci_u32_e32 v1, vcc_lo, v1, v3, vcc_lo
	global_load_b64 v[2:3], v[0:1], off
	v_mul_f32_e32 v23, s34, v23
	s_delay_alu instid0(VALU_DEP_1) | instskip(SKIP_2) | instid1(VALU_DEP_1)
	v_fmac_f32_e32 v23, s35, v40
	v_fma_f32 v24, v40, s34, -v24
	s_waitcnt vmcnt(0)
	v_dual_add_f32 v2, v2, v24 :: v_dual_add_f32 v3, v3, v23
	global_store_b64 v[0:1], v[2:3], off
	s_branch .LBB78_3
.LBB78_63:
	s_nop 0
	s_sendmsg sendmsg(MSG_DEALLOC_VGPRS)
	s_endpgm
	.section	.rodata,"a",@progbits
	.p2align	6, 0x0
	.amdhsa_kernel _ZL30rocblas_trmm_outofplace_kernelI19rocblas_complex_numIfELi32ELi2ELb1ELb1ELb1ELb0EPKS1_S2_S1_Ev17rocblas_diagonal_iiT6_lPT7_lllS7_lllPT8_llli
		.amdhsa_group_segment_fixed_size 16384
		.amdhsa_private_segment_fixed_size 0
		.amdhsa_kernarg_size 392
		.amdhsa_user_sgpr_count 13
		.amdhsa_user_sgpr_dispatch_ptr 0
		.amdhsa_user_sgpr_queue_ptr 0
		.amdhsa_user_sgpr_kernarg_segment_ptr 1
		.amdhsa_user_sgpr_dispatch_id 0
		.amdhsa_user_sgpr_private_segment_size 0
		.amdhsa_wavefront_size32 1
		.amdhsa_uses_dynamic_stack 0
		.amdhsa_enable_private_segment 0
		.amdhsa_system_sgpr_workgroup_id_x 1
		.amdhsa_system_sgpr_workgroup_id_y 1
		.amdhsa_system_sgpr_workgroup_id_z 1
		.amdhsa_system_sgpr_workgroup_info 0
		.amdhsa_system_vgpr_workitem_id 1
		.amdhsa_next_free_vgpr 81
		.amdhsa_next_free_sgpr 44
		.amdhsa_reserve_vcc 1
		.amdhsa_float_round_mode_32 0
		.amdhsa_float_round_mode_16_64 0
		.amdhsa_float_denorm_mode_32 3
		.amdhsa_float_denorm_mode_16_64 3
		.amdhsa_dx10_clamp 1
		.amdhsa_ieee_mode 1
		.amdhsa_fp16_overflow 0
		.amdhsa_workgroup_processor_mode 1
		.amdhsa_memory_ordered 1
		.amdhsa_forward_progress 0
		.amdhsa_shared_vgpr_count 0
		.amdhsa_exception_fp_ieee_invalid_op 0
		.amdhsa_exception_fp_denorm_src 0
		.amdhsa_exception_fp_ieee_div_zero 0
		.amdhsa_exception_fp_ieee_overflow 0
		.amdhsa_exception_fp_ieee_underflow 0
		.amdhsa_exception_fp_ieee_inexact 0
		.amdhsa_exception_int_div_zero 0
	.end_amdhsa_kernel
	.section	.text._ZL30rocblas_trmm_outofplace_kernelI19rocblas_complex_numIfELi32ELi2ELb1ELb1ELb1ELb0EPKS1_S2_S1_Ev17rocblas_diagonal_iiT6_lPT7_lllS7_lllPT8_llli,"axG",@progbits,_ZL30rocblas_trmm_outofplace_kernelI19rocblas_complex_numIfELi32ELi2ELb1ELb1ELb1ELb0EPKS1_S2_S1_Ev17rocblas_diagonal_iiT6_lPT7_lllS7_lllPT8_llli,comdat
.Lfunc_end78:
	.size	_ZL30rocblas_trmm_outofplace_kernelI19rocblas_complex_numIfELi32ELi2ELb1ELb1ELb1ELb0EPKS1_S2_S1_Ev17rocblas_diagonal_iiT6_lPT7_lllS7_lllPT8_llli, .Lfunc_end78-_ZL30rocblas_trmm_outofplace_kernelI19rocblas_complex_numIfELi32ELi2ELb1ELb1ELb1ELb0EPKS1_S2_S1_Ev17rocblas_diagonal_iiT6_lPT7_lllS7_lllPT8_llli
                                        ; -- End function
	.section	.AMDGPU.csdata,"",@progbits
; Kernel info:
; codeLenInByte = 7408
; NumSgprs: 46
; NumVgprs: 81
; ScratchSize: 0
; MemoryBound: 1
; FloatMode: 240
; IeeeMode: 1
; LDSByteSize: 16384 bytes/workgroup (compile time only)
; SGPRBlocks: 5
; VGPRBlocks: 10
; NumSGPRsForWavesPerEU: 46
; NumVGPRsForWavesPerEU: 81
; Occupancy: 16
; WaveLimiterHint : 0
; COMPUTE_PGM_RSRC2:SCRATCH_EN: 0
; COMPUTE_PGM_RSRC2:USER_SGPR: 13
; COMPUTE_PGM_RSRC2:TRAP_HANDLER: 0
; COMPUTE_PGM_RSRC2:TGID_X_EN: 1
; COMPUTE_PGM_RSRC2:TGID_Y_EN: 1
; COMPUTE_PGM_RSRC2:TGID_Z_EN: 1
; COMPUTE_PGM_RSRC2:TIDIG_COMP_CNT: 1
	.section	.text._ZL30rocblas_trmm_outofplace_kernelI19rocblas_complex_numIfELi32ELi2ELb1ELb1ELb1ELb0ES1_KS1_S1_Ev17rocblas_diagonal_iiT6_lPT7_lllS6_lllPT8_llli,"axG",@progbits,_ZL30rocblas_trmm_outofplace_kernelI19rocblas_complex_numIfELi32ELi2ELb1ELb1ELb1ELb0ES1_KS1_S1_Ev17rocblas_diagonal_iiT6_lPT7_lllS6_lllPT8_llli,comdat
	.globl	_ZL30rocblas_trmm_outofplace_kernelI19rocblas_complex_numIfELi32ELi2ELb1ELb1ELb1ELb0ES1_KS1_S1_Ev17rocblas_diagonal_iiT6_lPT7_lllS6_lllPT8_llli ; -- Begin function _ZL30rocblas_trmm_outofplace_kernelI19rocblas_complex_numIfELi32ELi2ELb1ELb1ELb1ELb0ES1_KS1_S1_Ev17rocblas_diagonal_iiT6_lPT7_lllS6_lllPT8_llli
	.p2align	8
	.type	_ZL30rocblas_trmm_outofplace_kernelI19rocblas_complex_numIfELi32ELi2ELb1ELb1ELb1ELb0ES1_KS1_S1_Ev17rocblas_diagonal_iiT6_lPT7_lllS6_lllPT8_llli,@function
_ZL30rocblas_trmm_outofplace_kernelI19rocblas_complex_numIfELi32ELi2ELb1ELb1ELb1ELb0ES1_KS1_S1_Ev17rocblas_diagonal_iiT6_lPT7_lllS6_lllPT8_llli: ; @_ZL30rocblas_trmm_outofplace_kernelI19rocblas_complex_numIfELi32ELi2ELb1ELb1ELb1ELb0ES1_KS1_S1_Ev17rocblas_diagonal_iiT6_lPT7_lllS6_lllPT8_llli
; %bb.0:
	s_clause 0x1
	s_load_b128 s[8:11], s[0:1], 0x0
	s_load_b32 s33, s[0:1], 0x10
	s_waitcnt lgkmcnt(0)
	s_or_b32 s2, s11, s33
	s_delay_alu instid0(SALU_CYCLE_1) | instskip(NEXT) | instid1(SALU_CYCLE_1)
	s_bitset0_b32 s2, 31
	s_cmp_eq_u32 s2, 0
	s_cbranch_scc1 .LBB79_63
; %bb.1:
	s_add_i32 s2, s10, -1
	s_delay_alu instid0(SALU_CYCLE_1) | instskip(NEXT) | instid1(SALU_CYCLE_1)
	s_ashr_i32 s3, s2, 31
	s_lshr_b32 s3, s3, 27
	s_delay_alu instid0(SALU_CYCLE_1) | instskip(NEXT) | instid1(SALU_CYCLE_1)
	s_add_i32 s2, s2, s3
	s_ashr_i32 s34, s2, 5
	s_delay_alu instid0(SALU_CYCLE_1)
	s_cmp_gt_i32 s14, s34
	s_cbranch_scc1 .LBB79_63
; %bb.2:
	s_clause 0x2
	s_load_b512 s[16:31], s[0:1], 0x20
	s_load_b256 s[36:43], s[0:1], 0x60
	s_load_b32 s35, s[0:1], 0x8c
	v_and_b32_e32 v29, 0x3ff, v0
	v_bfe_u32 v28, v0, 10, 10
	v_mov_b32_e32 v5, 0
	s_mov_b32 s12, s9
	s_delay_alu instid0(VALU_DEP_3) | instskip(NEXT) | instid1(VALU_DEP_3)
	v_lshlrev_b32_e32 v30, 3, v29
	v_lshlrev_b32_e32 v2, 3, v28
	;; [unrolled: 1-line block ×3, first 2 shown]
	v_lshl_add_u32 v22, s14, 5, v28
	s_delay_alu instid0(VALU_DEP_2) | instskip(SKIP_1) | instid1(VALU_DEP_2)
	v_add_nc_u32_e32 v31, 0x2000, v0
	v_add_nc_u32_e32 v32, v30, v0
	;; [unrolled: 1-line block ×3, first 2 shown]
	s_waitcnt lgkmcnt(0)
	s_mul_i32 s1, s15, s23
	s_mul_hi_u32 s2, s15, s22
	s_mul_i32 s0, s15, s22
	s_add_i32 s1, s2, s1
	s_mul_i32 s2, s15, s43
	s_lshl_b64 s[4:5], s[0:1], 3
	s_mul_hi_u32 s1, s15, s42
	s_add_u32 s3, s16, s4
	s_addc_u32 s22, s17, s5
	s_lshl_b64 s[6:7], s[18:19], 3
	s_mul_i32 s0, s15, s42
	s_add_u32 s3, s3, s6
	s_addc_u32 s42, s22, s7
	s_add_i32 s1, s1, s2
	s_mul_hi_u32 s23, s30, s15
	s_lshl_b64 s[0:1], s[0:1], 3
	s_mul_i32 s22, s30, s15
	s_add_u32 s2, s36, s0
	s_addc_u32 s18, s37, s1
	s_lshl_b64 s[0:1], s[38:39], 3
	s_delay_alu instid0(SALU_CYCLE_1)
	s_add_u32 s36, s2, s0
	s_addc_u32 s37, s18, s1
	s_lshl_b32 s38, s13, 5
	s_cmp_gt_i32 s13, -1
	v_add_nc_u32_e32 v6, s38, v29
	s_mul_i32 s2, s31, s15
	s_cselect_b32 s31, -1, 0
	s_cmpk_eq_i32 s8, 0x84
	s_delay_alu instid0(VALU_DEP_1) | instskip(SKIP_3) | instid1(VALU_DEP_4)
	v_ashrrev_i32_e32 v7, 31, v6
	v_mul_lo_u32 v3, v6, s21
	v_mad_u64_u32 v[0:1], null, v6, s20, 0
	v_add_co_u32 v10, vcc_lo, v6, 16
	v_mul_lo_u32 v4, v7, s20
	v_add_co_ci_u32_e32 v11, vcc_lo, 0, v7, vcc_lo
	v_add_nc_u32_e32 v8, 16, v6
	s_cselect_b32 s15, -1, 0
	s_ashr_i32 s13, s9, 31
	s_ashr_i32 s30, s10, 31
	v_lshlrev_b64 v[14:15], 3, v[6:7]
	s_delay_alu instid0(VALU_DEP_4)
	v_add3_u32 v1, v1, v3, v4
	s_add_u32 s18, s9, -16
	s_addc_u32 s19, s13, -1
	s_add_i32 s23, s23, s2
	v_cmp_le_i32_e64 s0, s9, v6
	v_lshlrev_b64 v[0:1], 3, v[0:1]
	v_cmp_gt_i32_e64 s1, s9, v6
	v_cmp_gt_i32_e64 s2, s9, v8
	s_lshl_b64 s[8:9], s[22:23], 3
	s_lshl_b64 s[22:23], s[26:27], 3
	v_ashrrev_i32_e32 v9, 31, v8
	v_add_co_u32 v0, vcc_lo, s3, v0
	v_add_co_ci_u32_e32 v1, vcc_lo, s42, v1, vcc_lo
	s_add_u32 s8, s8, s22
	s_delay_alu instid0(VALU_DEP_2) | instskip(NEXT) | instid1(VALU_DEP_2)
	v_add_co_u32 v34, vcc_lo, v0, v2
	v_add_co_ci_u32_e32 v35, vcc_lo, 0, v1, vcc_lo
	v_sub_co_u32 v12, vcc_lo, v6, v28
	v_subrev_co_ci_u32_e32 v13, vcc_lo, 0, v7, vcc_lo
	s_addc_u32 s9, s9, s23
	s_delay_alu instid0(VALU_DEP_2) | instskip(NEXT) | instid1(VALU_DEP_2)
	v_add_co_u32 v16, vcc_lo, v12, 16
	v_add_co_ci_u32_e32 v17, vcc_lo, 0, v13, vcc_lo
	v_add_co_u32 v3, vcc_lo, 0x80, v14
	v_add_co_ci_u32_e32 v0, vcc_lo, 0, v15, vcc_lo
	s_add_u32 s8, s24, s8
	s_addc_u32 s24, s25, s9
	s_lshl_b64 s[22:23], s[28:29], 3
	s_lshl_b32 s9, s35, 5
	s_add_u32 s4, s6, s4
	s_addc_u32 s5, s7, s5
	v_mul_lo_u32 v4, s20, v0
	v_mul_lo_u32 v20, s21, v3
	v_mad_u64_u32 v[0:1], null, s20, v3, s[4:5]
	v_add_co_u32 v3, s4, s8, v30
	v_add_co_u32 v18, vcc_lo, v12, -16
	v_add_co_ci_u32_e64 v21, null, s24, 0, s4
	v_add_co_ci_u32_e32 v19, vcc_lo, -1, v13, vcc_lo
	v_add3_u32 v1, v20, v1, v4
	v_add_co_u32 v20, vcc_lo, 0x80, v3
	s_delay_alu instid0(VALU_DEP_4) | instskip(SKIP_1) | instid1(VALU_DEP_4)
	v_add_co_ci_u32_e32 v21, vcc_lo, 0, v21, vcc_lo
	v_add_co_u32 v0, vcc_lo, v0, v2
	v_add_co_ci_u32_e32 v1, vcc_lo, 0, v1, vcc_lo
	v_cmp_le_i64_e64 s3, s[12:13], v[10:11]
	s_delay_alu instid0(VALU_DEP_3) | instskip(NEXT) | instid1(VALU_DEP_3)
	v_add_co_u32 v36, vcc_lo, s16, v0
	v_add_co_ci_u32_e32 v37, vcc_lo, s17, v1, vcc_lo
	v_mov_b32_e32 v4, 1.0
	s_mov_b32 s24, s10
	s_branch .LBB79_4
.LBB79_3:                               ;   in Loop: Header=BB79_4 Depth=1
	s_or_b32 exec_lo, exec_lo, s4
	v_add_nc_u32_e32 v22, s9, v22
	s_add_i32 s14, s35, s14
	s_delay_alu instid0(SALU_CYCLE_1)
	s_cmp_le_i32 s14, s34
	s_cbranch_scc0 .LBB79_63
.LBB79_4:                               ; =>This Loop Header: Depth=1
                                        ;     Child Loop BB79_7 Depth 2
	v_lshl_add_u32 v38, s14, 5, v28
	v_mov_b32_e32 v45, v5
	v_mov_b32_e32 v46, v5
	;; [unrolled: 1-line block ×4, first 2 shown]
	v_ashrrev_i32_e32 v39, 31, v38
	v_mov_b32_e32 v42, v5
	v_mov_b32_e32 v41, v5
	;; [unrolled: 1-line block ×4, first 2 shown]
	s_and_not1_b32 vcc_lo, exec_lo, s31
	s_cbranch_vccnz .LBB79_55
; %bb.5:                                ;   in Loop: Header=BB79_4 Depth=1
	v_ashrrev_i32_e32 v23, 31, v22
	v_mad_u64_u32 v[24:25], null, s22, v22, v[20:21]
	v_mul_lo_u32 v2, s23, v22
	v_mov_b32_e32 v41, 0
	s_delay_alu instid0(VALU_DEP_4) | instskip(SKIP_3) | instid1(VALU_DEP_4)
	v_lshlrev_b64 v[0:1], 3, v[22:23]
	v_mul_lo_u32 v42, s22, v23
	v_dual_mov_b32 v23, 0 :: v_dual_mov_b32 v40, 0
	v_dual_mov_b32 v46, 0 :: v_dual_mov_b32 v45, 0
	v_add_co_u32 v3, vcc_lo, 0x80, v0
	v_add_co_ci_u32_e32 v26, vcc_lo, 0, v1, vcc_lo
	v_sub_co_u32 v0, vcc_lo, s24, v38
	s_delay_alu instid0(VALU_DEP_3) | instskip(NEXT) | instid1(VALU_DEP_3)
	v_mul_lo_u32 v44, s29, v3
	v_mul_lo_u32 v43, s28, v26
	v_mad_u64_u32 v[26:27], null, s28, v3, v[20:21]
	v_sub_co_ci_u32_e32 v1, vcc_lo, s30, v39, vcc_lo
	v_add3_u32 v25, v2, v25, v42
	v_mov_b32_e32 v42, 0
	s_mov_b64 s[16:17], 0
	s_delay_alu instid0(VALU_DEP_3)
	v_cmp_lt_i64_e32 vcc_lo, 0, v[0:1]
	v_cmp_lt_i64_e64 s4, 16, v[0:1]
	v_add3_u32 v27, v44, v27, v43
	v_dual_mov_b32 v44, 0 :: v_dual_mov_b32 v43, 0
	s_mov_b64 s[20:21], 0
	s_branch .LBB79_7
.LBB79_6:                               ;   in Loop: Header=BB79_7 Depth=2
	s_or_b32 exec_lo, exec_lo, s6
	s_waitcnt lgkmcnt(0)
	s_waitcnt_vscnt null, 0x0
	s_barrier
	buffer_gl0_inv
	ds_load_2addr_b64 v[47:50], v30 offset1:16
	ds_load_b128 v[51:54], v31
	ds_load_b128 v[55:58], v31 offset:4096
	ds_load_b128 v[59:62], v31 offset:16
	;; [unrolled: 1-line block ×4, first 2 shown]
	ds_load_2addr_b64 v[67:70], v30 offset0:32 offset1:48
	ds_load_b128 v[71:74], v31 offset:4112
	s_add_u32 s20, s20, 32
	s_addc_u32 s21, s21, 0
	s_sub_i32 s5, s20, 32
	s_add_u32 s16, s16, 0x100
	s_addc_u32 s17, s17, 0
	s_cmp_ge_i32 s5, s38
	s_waitcnt lgkmcnt(6)
	v_dual_mul_f32 v75, v52, v48 :: v_dual_mul_f32 v78, v51, v50
	v_dual_mul_f32 v76, v51, v48 :: v_dual_mul_f32 v77, v52, v50
	s_waitcnt lgkmcnt(5)
	v_mul_f32_e32 v79, v56, v48
	s_delay_alu instid0(VALU_DEP_3)
	v_fma_f32 v75, v51, v47, -v75
	v_mul_f32_e32 v48, v55, v48
	v_fmac_f32_e32 v76, v52, v47
	v_fma_f32 v51, v51, v49, -v77
	v_mul_f32_e32 v80, v56, v50
	v_mul_f32_e32 v50, v55, v50
	v_fmac_f32_e32 v78, v52, v49
	v_fma_f32 v52, v55, v47, -v79
	v_add_f32_e32 v45, v45, v75
	s_delay_alu instid0(VALU_DEP_4)
	v_dual_add_f32 v51, v43, v51 :: v_dual_fmac_f32 v50, v56, v49
	v_fmac_f32_e32 v48, v56, v47
	v_fma_f32 v47, v55, v49, -v80
	s_waitcnt lgkmcnt(1)
	v_mul_f32_e32 v55, v54, v68
	v_mul_f32_e32 v49, v53, v68
	v_dual_add_f32 v23, v23, v50 :: v_dual_add_f32 v46, v46, v76
	v_add_f32_e32 v47, v40, v47
	s_delay_alu instid0(VALU_DEP_3)
	v_dual_add_f32 v44, v44, v78 :: v_dual_fmac_f32 v49, v54, v67
	v_add_f32_e32 v48, v41, v48
	v_fma_f32 v55, v53, v67, -v55
	v_add_f32_e32 v52, v42, v52
	ds_load_2addr_b64 v[40:43], v30 offset0:64 offset1:80
	v_mul_f32_e32 v56, v54, v70
	v_mul_f32_e32 v50, v53, v70
	v_add_f32_e32 v55, v45, v55
	v_dual_add_f32 v49, v46, v49 :: v_dual_mul_f32 v46, v57, v68
	s_delay_alu instid0(VALU_DEP_4) | instskip(SKIP_1) | instid1(VALU_DEP_2)
	v_fma_f32 v45, v53, v69, -v56
	v_mul_f32_e32 v53, v58, v68
	v_add_f32_e32 v51, v51, v45
	s_delay_alu instid0(VALU_DEP_2) | instskip(NEXT) | instid1(VALU_DEP_1)
	v_fma_f32 v45, v57, v67, -v53
	v_dual_mul_f32 v53, v58, v70 :: v_dual_add_f32 v52, v52, v45
	s_waitcnt lgkmcnt(0)
	v_mul_f32_e32 v45, v60, v41
	v_fmac_f32_e32 v50, v54, v69
	v_mul_f32_e32 v54, v57, v70
	s_delay_alu instid0(VALU_DEP_2) | instskip(SKIP_2) | instid1(VALU_DEP_4)
	v_add_f32_e32 v50, v44, v50
	v_fma_f32 v44, v57, v69, -v53
	v_mul_f32_e32 v53, v59, v41
	v_fmac_f32_e32 v54, v58, v69
	v_fmac_f32_e32 v46, v58, v67
	v_fma_f32 v57, v59, v40, -v45
	v_add_f32_e32 v56, v47, v44
	v_fmac_f32_e32 v53, v60, v40
	v_add_f32_e32 v23, v23, v54
	v_add_f32_e32 v48, v48, v46
	ds_load_2addr_b64 v[44:47], v30 offset0:96 offset1:112
	v_mul_f32_e32 v58, v60, v43
	v_add_f32_e32 v54, v55, v57
	v_mul_f32_e32 v55, v59, v43
	v_add_f32_e32 v49, v49, v53
	v_mul_f32_e32 v53, v72, v41
	v_mul_f32_e32 v41, v71, v41
	v_fma_f32 v57, v59, v42, -v58
	v_dual_fmac_f32 v55, v60, v42 :: v_dual_mul_f32 v58, v71, v43
	s_delay_alu instid0(VALU_DEP_4) | instskip(NEXT) | instid1(VALU_DEP_4)
	v_fma_f32 v53, v71, v40, -v53
	v_fmac_f32_e32 v41, v72, v40
	s_delay_alu instid0(VALU_DEP_4) | instskip(SKIP_3) | instid1(VALU_DEP_3)
	v_add_f32_e32 v51, v51, v57
	v_mul_f32_e32 v57, v72, v43
	v_dual_fmac_f32 v58, v72, v42 :: v_dual_add_f32 v55, v50, v55
	v_add_f32_e32 v52, v52, v53
	v_fma_f32 v40, v71, v42, -v57
	s_delay_alu instid0(VALU_DEP_3) | instskip(SKIP_4) | instid1(VALU_DEP_3)
	v_add_f32_e32 v23, v23, v58
	s_waitcnt lgkmcnt(0)
	v_dual_mul_f32 v57, v62, v47 :: v_dual_mul_f32 v50, v61, v45
	v_add_f32_e32 v53, v48, v41
	v_mul_f32_e32 v48, v62, v45
	v_fma_f32 v57, v61, v46, -v57
	v_mul_f32_e32 v58, v61, v47
	s_delay_alu instid0(VALU_DEP_3) | instskip(SKIP_1) | instid1(VALU_DEP_4)
	v_fma_f32 v48, v61, v44, -v48
	v_mul_f32_e32 v61, v74, v47
	v_dual_add_f32 v57, v51, v57 :: v_dual_fmac_f32 v50, v62, v44
	v_add_f32_e32 v56, v56, v40
	ds_load_2addr_b64 v[40:43], v30 offset0:128 offset1:144
	v_add_f32_e32 v54, v54, v48
	v_mul_f32_e32 v48, v74, v45
	v_dual_fmac_f32 v58, v62, v46 :: v_dual_mul_f32 v45, v73, v45
	v_add_f32_e32 v59, v49, v50
	s_delay_alu instid0(VALU_DEP_2)
	v_dual_add_f32 v58, v55, v58 :: v_dual_fmac_f32 v45, v74, v44
	v_mul_f32_e32 v55, v73, v47
	v_fma_f32 v60, v73, v44, -v48
	ds_load_b128 v[48:51], v31 offset:4128
	v_fma_f32 v44, v73, v46, -v61
	v_add_f32_e32 v61, v53, v45
	v_dual_fmac_f32 v55, v74, v46 :: v_dual_add_f32 v60, v52, v60
	s_delay_alu instid0(VALU_DEP_3)
	v_add_f32_e32 v56, v56, v44
	s_waitcnt lgkmcnt(1)
	v_mul_f32_e32 v47, v64, v41
	v_dual_mul_f32 v62, v63, v41 :: v_dual_mul_f32 v53, v64, v43
	v_add_f32_e32 v23, v23, v55
	v_mul_f32_e32 v68, v63, v43
	s_delay_alu instid0(VALU_DEP_4) | instskip(NEXT) | instid1(VALU_DEP_4)
	v_fma_f32 v52, v63, v40, -v47
	v_fmac_f32_e32 v62, v64, v40
	ds_load_2addr_b64 v[44:47], v30 offset0:160 offset1:176
	v_fma_f32 v63, v63, v42, -v53
	v_dual_fmac_f32 v68, v64, v42 :: v_dual_add_f32 v67, v54, v52
	ds_load_b128 v[52:55], v31 offset:4144
	s_waitcnt lgkmcnt(2)
	v_mul_f32_e32 v69, v49, v41
	v_dual_add_f32 v59, v59, v62 :: v_dual_add_f32 v58, v58, v68
	v_mul_f32_e32 v64, v48, v43
	s_delay_alu instid0(VALU_DEP_3) | instskip(SKIP_1) | instid1(VALU_DEP_2)
	v_fma_f32 v62, v48, v40, -v69
	v_add_f32_e32 v57, v57, v63
	v_dual_mul_f32 v63, v49, v43 :: v_dual_add_f32 v60, v60, v62
	s_waitcnt lgkmcnt(1)
	v_mul_f32_e32 v43, v66, v45
	v_dual_mul_f32 v41, v48, v41 :: v_dual_fmac_f32 v64, v49, v42
	s_delay_alu instid0(VALU_DEP_1) | instskip(SKIP_1) | instid1(VALU_DEP_2)
	v_dual_mul_f32 v62, v66, v47 :: v_dual_fmac_f32 v41, v49, v40
	v_mul_f32_e32 v49, v65, v45
	v_fma_f32 v62, v65, v46, -v62
	v_fma_f32 v40, v48, v42, -v63
	s_delay_alu instid0(VALU_DEP_2) | instskip(NEXT) | instid1(VALU_DEP_4)
	v_dual_add_f32 v57, v57, v62 :: v_dual_mul_f32 v62, v51, v47
	v_dual_add_f32 v48, v61, v41 :: v_dual_fmac_f32 v49, v66, v44
	s_delay_alu instid0(VALU_DEP_3)
	v_add_f32_e32 v56, v56, v40
	v_fma_f32 v61, v65, v44, -v43
	ds_load_2addr_b64 v[40:43], v30 offset0:192 offset1:208
	v_add_f32_e32 v49, v59, v49
	v_mul_f32_e32 v59, v51, v45
	v_mul_f32_e32 v45, v50, v45
	s_delay_alu instid0(VALU_DEP_2) | instskip(NEXT) | instid1(VALU_DEP_2)
	v_fma_f32 v59, v50, v44, -v59
	v_fmac_f32_e32 v45, v51, v44
	v_mul_f32_e32 v63, v65, v47
	v_fma_f32 v44, v50, v46, -v62
	v_add_f32_e32 v61, v67, v61
	s_delay_alu instid0(VALU_DEP_3) | instskip(NEXT) | instid1(VALU_DEP_1)
	v_dual_add_f32 v48, v48, v45 :: v_dual_fmac_f32 v63, v66, v46
	v_dual_add_f32 v23, v23, v64 :: v_dual_add_f32 v58, v58, v63
	v_mul_f32_e32 v63, v50, v47
	s_waitcnt lgkmcnt(0)
	v_mul_f32_e32 v62, v0, v43
	v_add_f32_e32 v50, v60, v59
	s_delay_alu instid0(VALU_DEP_3) | instskip(NEXT) | instid1(VALU_DEP_3)
	v_dual_mul_f32 v60, v1, v43 :: v_dual_fmac_f32 v63, v51, v46
	v_dual_add_f32 v51, v56, v44 :: v_dual_fmac_f32 v62, v1, v42
	ds_load_2addr_b64 v[44:47], v30 offset0:224 offset1:240
	v_mul_f32_e32 v59, v1, v41
	v_mul_f32_e32 v56, v0, v41
	v_add_f32_e32 v58, v58, v62
	s_delay_alu instid0(VALU_DEP_3) | instskip(SKIP_3) | instid1(VALU_DEP_4)
	v_fma_f32 v59, v0, v40, -v59
	v_fma_f32 v0, v0, v42, -v60
	v_mul_f32_e32 v60, v53, v41
	v_dual_fmac_f32 v56, v1, v40 :: v_dual_mul_f32 v1, v52, v41
	v_add_f32_e32 v59, v61, v59
	s_delay_alu instid0(VALU_DEP_4) | instskip(NEXT) | instid1(VALU_DEP_4)
	v_add_f32_e32 v57, v57, v0
	v_fma_f32 v0, v52, v40, -v60
	v_mul_f32_e32 v60, v52, v43
	v_add_f32_e32 v56, v49, v56
	s_delay_alu instid0(VALU_DEP_2) | instskip(SKIP_2) | instid1(VALU_DEP_1)
	v_fmac_f32_e32 v60, v53, v42
	s_waitcnt lgkmcnt(0)
	v_dual_mul_f32 v62, v2, v45 :: v_dual_add_f32 v23, v23, v63
	v_dual_mul_f32 v41, v53, v43 :: v_dual_fmac_f32 v62, v3, v44
	v_fmac_f32_e32 v1, v53, v40
	s_delay_alu instid0(VALU_DEP_2) | instskip(NEXT) | instid1(VALU_DEP_4)
	v_fma_f32 v40, v52, v42, -v41
	v_dual_add_f32 v23, v23, v60 :: v_dual_mul_f32 v60, v2, v47
	v_add_f32_e32 v61, v50, v0
	v_dual_mul_f32 v41, v3, v45 :: v_dual_add_nc_u32 v0, 0x800, v30
	s_delay_alu instid0(VALU_DEP_4) | instskip(SKIP_2) | instid1(VALU_DEP_4)
	v_add_f32_e32 v52, v51, v40
	v_add_f32_e32 v64, v56, v62
	v_dual_add_f32 v1, v48, v1 :: v_dual_mul_f32 v62, v55, v47
	v_fma_f32 v53, v2, v44, -v41
	ds_load_2addr_b64 v[40:43], v0 offset1:16
	ds_load_b128 v[48:51], v31 offset:64
	v_fmac_f32_e32 v60, v3, v46
	v_mul_f32_e32 v63, v3, v47
	v_mul_f32_e32 v3, v54, v45
	v_add_f32_e32 v53, v59, v53
	v_mul_f32_e32 v59, v55, v45
	v_add_f32_e32 v65, v58, v60
	s_delay_alu instid0(VALU_DEP_2) | instskip(NEXT) | instid1(VALU_DEP_1)
	v_fma_f32 v45, v54, v44, -v59
	v_add_f32_e32 v66, v61, v45
	v_fma_f32 v2, v2, v46, -v63
	s_waitcnt lgkmcnt(0)
	v_mul_f32_e32 v45, v49, v41
	s_delay_alu instid0(VALU_DEP_2)
	v_add_f32_e32 v2, v57, v2
	ds_load_b128 v[56:59], v31 offset:4160
	v_fmac_f32_e32 v3, v55, v44
	v_fma_f32 v44, v54, v46, -v62
	v_mul_f32_e32 v54, v54, v47
	v_mul_f32_e32 v69, v48, v43
	ds_load_b128 v[60:63], v31 offset:80
	v_dual_add_f32 v1, v1, v3 :: v_dual_fmac_f32 v54, v55, v46
	v_fmac_f32_e32 v69, v49, v42
	v_add_f32_e32 v67, v52, v44
	v_fma_f32 v52, v48, v40, -v45
	ds_load_2addr_b64 v[44:47], v0 offset0:32 offset1:48
	v_mul_f32_e32 v3, v48, v41
	v_mul_f32_e32 v55, v49, v43
	v_add_f32_e32 v23, v23, v54
	s_delay_alu instid0(VALU_DEP_3) | instskip(NEXT) | instid1(VALU_DEP_3)
	v_fmac_f32_e32 v3, v49, v40
	v_fma_f32 v48, v48, v42, -v55
	s_waitcnt lgkmcnt(2)
	s_delay_alu instid0(VALU_DEP_2) | instskip(NEXT) | instid1(VALU_DEP_2)
	v_dual_add_f32 v3, v64, v3 :: v_dual_mul_f32 v64, v57, v41
	v_dual_mul_f32 v41, v56, v41 :: v_dual_add_f32 v2, v2, v48
	v_mul_f32_e32 v48, v57, v43
	v_add_f32_e32 v68, v53, v52
	s_delay_alu instid0(VALU_DEP_4)
	v_fma_f32 v49, v56, v40, -v64
	v_add_f32_e32 v64, v65, v69
	v_fmac_f32_e32 v41, v57, v40
	v_mul_f32_e32 v65, v56, v43
	v_fma_f32 v40, v56, v42, -v48
	s_waitcnt lgkmcnt(0)
	v_mul_f32_e32 v56, v50, v45
	v_add_f32_e32 v48, v66, v49
	v_mul_f32_e32 v43, v51, v45
	v_dual_fmac_f32 v65, v57, v42 :: v_dual_mul_f32 v66, v51, v47
	s_delay_alu instid0(VALU_DEP_4) | instskip(SKIP_1) | instid1(VALU_DEP_4)
	v_fmac_f32_e32 v56, v51, v44
	v_add_f32_e32 v49, v67, v40
	v_fma_f32 v57, v50, v44, -v43
	ds_load_b128 v[52:55], v31 offset:4176
	v_dual_add_f32 v3, v3, v56 :: v_dual_mul_f32 v56, v58, v47
	v_add_f32_e32 v23, v23, v65
	v_mul_f32_e32 v65, v50, v47
	v_fma_f32 v50, v50, v46, -v66
	v_mul_f32_e32 v66, v59, v45
	v_fmac_f32_e32 v56, v59, v46
	s_delay_alu instid0(VALU_DEP_3) | instskip(NEXT) | instid1(VALU_DEP_3)
	v_add_f32_e32 v2, v2, v50
	v_fma_f32 v50, v58, v44, -v66
	s_delay_alu instid0(VALU_DEP_1) | instskip(SKIP_4) | instid1(VALU_DEP_2)
	v_dual_add_f32 v23, v23, v56 :: v_dual_add_f32 v48, v48, v50
	v_add_f32_e32 v1, v1, v41
	ds_load_2addr_b64 v[40:43], v0 offset0:64 offset1:80
	v_mul_f32_e32 v45, v58, v45
	v_add_f32_e32 v57, v68, v57
	v_fmac_f32_e32 v45, v59, v44
	v_mul_f32_e32 v44, v59, v47
	s_delay_alu instid0(VALU_DEP_1) | instskip(NEXT) | instid1(VALU_DEP_1)
	v_fma_f32 v50, v58, v46, -v44
	v_add_f32_e32 v49, v49, v50
	s_waitcnt lgkmcnt(0)
	v_mul_f32_e32 v58, v61, v41
	v_mul_f32_e32 v59, v60, v41
	s_delay_alu instid0(VALU_DEP_2) | instskip(SKIP_1) | instid1(VALU_DEP_3)
	v_fma_f32 v50, v60, v40, -v58
	v_mul_f32_e32 v58, v61, v43
	v_fmac_f32_e32 v59, v61, v40
	s_delay_alu instid0(VALU_DEP_3) | instskip(SKIP_1) | instid1(VALU_DEP_4)
	v_add_f32_e32 v56, v57, v50
	v_fmac_f32_e32 v65, v51, v46
	v_fma_f32 v50, v60, v42, -v58
	v_mul_f32_e32 v57, v53, v41
	v_mul_f32_e32 v41, v52, v41
	s_delay_alu instid0(VALU_DEP_4) | instskip(SKIP_4) | instid1(VALU_DEP_4)
	v_add_f32_e32 v51, v64, v65
	v_mul_f32_e32 v64, v60, v43
	v_add_f32_e32 v2, v2, v50
	v_mul_f32_e32 v50, v53, v43
	v_fmac_f32_e32 v41, v53, v40
	v_fmac_f32_e32 v64, v61, v42
	s_delay_alu instid0(VALU_DEP_1) | instskip(SKIP_3) | instid1(VALU_DEP_3)
	v_add_f32_e32 v58, v51, v64
	v_fma_f32 v51, v52, v40, -v57
	v_mul_f32_e32 v57, v52, v43
	v_fma_f32 v40, v52, v42, -v50
	v_dual_add_f32 v52, v48, v51 :: v_dual_add_f32 v1, v1, v45
	ds_load_2addr_b64 v[44:47], v0 offset0:96 offset1:112
	v_fmac_f32_e32 v57, v53, v42
	s_waitcnt lgkmcnt(0)
	v_mul_f32_e32 v43, v63, v45
	v_dual_mul_f32 v60, v62, v45 :: v_dual_add_f32 v3, v3, v59
	s_delay_alu instid0(VALU_DEP_2) | instskip(NEXT) | instid1(VALU_DEP_2)
	v_fma_f32 v59, v62, v44, -v43
	v_fmac_f32_e32 v60, v63, v44
	s_delay_alu instid0(VALU_DEP_2) | instskip(SKIP_1) | instid1(VALU_DEP_3)
	v_add_f32_e32 v64, v56, v59
	v_mul_f32_e32 v56, v55, v45
	v_add_f32_e32 v3, v3, v60
	v_add_f32_e32 v53, v49, v40
	v_mul_f32_e32 v45, v54, v45
	s_delay_alu instid0(VALU_DEP_4) | instskip(NEXT) | instid1(VALU_DEP_2)
	v_fma_f32 v60, v54, v44, -v56
	v_fmac_f32_e32 v45, v55, v44
	s_delay_alu instid0(VALU_DEP_2) | instskip(SKIP_4) | instid1(VALU_DEP_2)
	v_dual_add_f32 v66, v52, v60 :: v_dual_add_f32 v1, v1, v41
	ds_load_2addr_b64 v[40:43], v0 offset0:128 offset1:144
	ds_load_b128 v[48:51], v31 offset:96
	v_mul_f32_e32 v61, v63, v47
	v_mul_f32_e32 v52, v54, v47
	v_fma_f32 v61, v62, v46, -v61
	s_delay_alu instid0(VALU_DEP_2) | instskip(NEXT) | instid1(VALU_DEP_2)
	v_fmac_f32_e32 v52, v55, v46
	v_dual_add_f32 v2, v2, v61 :: v_dual_mul_f32 v61, v55, v47
	s_delay_alu instid0(VALU_DEP_1) | instskip(SKIP_3) | instid1(VALU_DEP_3)
	v_fma_f32 v44, v54, v46, -v61
	s_waitcnt lgkmcnt(0)
	v_dual_mul_f32 v54, v49, v43 :: v_dual_add_f32 v23, v23, v57
	v_dual_mul_f32 v57, v62, v47 :: v_dual_mul_f32 v68, v48, v41
	v_add_f32_e32 v67, v53, v44
	s_delay_alu instid0(VALU_DEP_2)
	v_fmac_f32_e32 v57, v63, v46
	ds_load_b128 v[60:63], v31 offset:112
	v_mul_f32_e32 v47, v49, v41
	v_dual_fmac_f32 v68, v49, v40 :: v_dual_mul_f32 v69, v48, v43
	v_add_f32_e32 v65, v58, v57
	ds_load_b128 v[56:59], v31 offset:4192
	v_fma_f32 v53, v48, v40, -v47
	v_add_f32_e32 v3, v3, v68
	v_fma_f32 v48, v48, v42, -v54
	s_delay_alu instid0(VALU_DEP_3) | instskip(NEXT) | instid1(VALU_DEP_2)
	v_dual_fmac_f32 v69, v49, v42 :: v_dual_add_f32 v64, v64, v53
	v_add_f32_e32 v2, v2, v48
	s_waitcnt lgkmcnt(0)
	v_dual_mul_f32 v68, v56, v43 :: v_dual_add_f32 v1, v1, v45
	ds_load_2addr_b64 v[44:47], v0 offset0:160 offset1:176
	v_mul_f32_e32 v70, v57, v41
	v_mul_f32_e32 v41, v56, v41
	;; [unrolled: 1-line block ×3, first 2 shown]
	v_fmac_f32_e32 v68, v57, v42
	s_delay_alu instid0(VALU_DEP_4) | instskip(NEXT) | instid1(VALU_DEP_4)
	v_fma_f32 v48, v56, v40, -v70
	v_fmac_f32_e32 v41, v57, v40
	s_delay_alu instid0(VALU_DEP_4) | instskip(NEXT) | instid1(VALU_DEP_2)
	v_fma_f32 v40, v56, v42, -v49
	v_dual_add_f32 v48, v66, v48 :: v_dual_add_f32 v1, v1, v41
	s_delay_alu instid0(VALU_DEP_2) | instskip(SKIP_3) | instid1(VALU_DEP_2)
	v_add_f32_e32 v56, v67, v40
	s_waitcnt lgkmcnt(0)
	v_mul_f32_e32 v43, v51, v45
	v_dual_mul_f32 v49, v50, v45 :: v_dual_mul_f32 v66, v51, v47
	v_fma_f32 v57, v50, v44, -v43
	ds_load_2addr_b64 v[40:43], v0 offset0:192 offset1:208
	v_fmac_f32_e32 v49, v51, v44
	v_dual_add_f32 v57, v64, v57 :: v_dual_mul_f32 v64, v50, v47
	v_fma_f32 v50, v50, v46, -v66
	s_delay_alu instid0(VALU_DEP_3) | instskip(SKIP_1) | instid1(VALU_DEP_4)
	v_add_f32_e32 v3, v3, v49
	v_mul_f32_e32 v49, v59, v45
	v_dual_mul_f32 v45, v58, v45 :: v_dual_fmac_f32 v64, v51, v46
	s_delay_alu instid0(VALU_DEP_4) | instskip(SKIP_1) | instid1(VALU_DEP_4)
	v_add_f32_e32 v2, v2, v50
	v_mul_f32_e32 v50, v59, v47
	v_fma_f32 v49, v58, v44, -v49
	s_delay_alu instid0(VALU_DEP_4) | instskip(NEXT) | instid1(VALU_DEP_3)
	v_fmac_f32_e32 v45, v59, v44
	v_fma_f32 v44, v58, v46, -v50
	s_delay_alu instid0(VALU_DEP_3) | instskip(NEXT) | instid1(VALU_DEP_3)
	v_add_f32_e32 v48, v48, v49
	v_add_f32_e32 v1, v1, v45
	s_waitcnt lgkmcnt(0)
	s_delay_alu instid0(VALU_DEP_3) | instskip(SKIP_1) | instid1(VALU_DEP_1)
	v_dual_mul_f32 v49, v61, v41 :: v_dual_add_f32 v50, v56, v44
	v_add_f32_e32 v65, v65, v69
	v_dual_mul_f32 v56, v60, v41 :: v_dual_add_f32 v51, v65, v64
	v_mul_f32_e32 v64, v58, v47
	v_dual_mul_f32 v58, v60, v43 :: v_dual_add_f32 v23, v23, v52
	ds_load_b128 v[52:55], v31 offset:4208
	v_fmac_f32_e32 v56, v61, v40
	v_fmac_f32_e32 v64, v59, v46
	;; [unrolled: 1-line block ×3, first 2 shown]
	ds_load_2addr_b64 v[44:47], v0 offset0:224 offset1:240
	v_fma_f32 v0, v60, v40, -v49
	v_mul_f32_e32 v49, v61, v43
	v_add_f32_e32 v3, v3, v56
	v_add_f32_e32 v56, v51, v58
	v_add_f32_e32 v23, v23, v68
	v_add_f32_e32 v57, v57, v0
	v_fma_f32 v0, v60, v42, -v49
	s_waitcnt lgkmcnt(1)
	s_delay_alu instid0(VALU_DEP_1) | instskip(SKIP_3) | instid1(VALU_DEP_3)
	v_dual_add_f32 v2, v2, v0 :: v_dual_mul_f32 v49, v53, v41
	v_mul_f32_e32 v41, v52, v41
	s_waitcnt lgkmcnt(0)
	v_dual_mul_f32 v58, v52, v43 :: v_dual_mul_f32 v59, v62, v45
	v_fma_f32 v0, v52, v40, -v49
	v_mul_f32_e32 v49, v53, v43
	v_fmac_f32_e32 v41, v53, v40
	s_delay_alu instid0(VALU_DEP_4) | instskip(NEXT) | instid1(VALU_DEP_4)
	v_dual_mul_f32 v43, v63, v45 :: v_dual_fmac_f32 v58, v53, v42
	v_add_f32_e32 v60, v48, v0
	s_delay_alu instid0(VALU_DEP_4) | instskip(NEXT) | instid1(VALU_DEP_4)
	v_fma_f32 v40, v52, v42, -v49
	v_dual_add_f32 v1, v1, v41 :: v_dual_add_nc_u32 v0, 0x1000, v30
	s_delay_alu instid0(VALU_DEP_4) | instskip(NEXT) | instid1(VALU_DEP_3)
	v_fma_f32 v53, v62, v44, -v43
	v_dual_mul_f32 v61, v63, v47 :: v_dual_add_f32 v52, v50, v40
	ds_load_2addr_b64 v[40:43], v0 offset1:16
	ds_load_b128 v[48:51], v31 offset:128
	v_add_f32_e32 v23, v23, v64
	v_fmac_f32_e32 v59, v63, v44
	v_add_f32_e32 v53, v57, v53
	v_fma_f32 v57, v62, v46, -v61
	v_mul_f32_e32 v61, v55, v45
	v_dual_add_f32 v23, v23, v58 :: v_dual_mul_f32 v58, v62, v47
	v_dual_mul_f32 v45, v54, v45 :: v_dual_mul_f32 v62, v55, v47
	s_delay_alu instid0(VALU_DEP_4) | instskip(NEXT) | instid1(VALU_DEP_3)
	v_dual_add_f32 v3, v3, v59 :: v_dual_add_f32 v2, v2, v57
	v_fmac_f32_e32 v58, v63, v46
	v_fma_f32 v61, v54, v44, -v61
	s_delay_alu instid0(VALU_DEP_4)
	v_fmac_f32_e32 v45, v55, v44
	v_fma_f32 v44, v54, v46, -v62
	v_mul_f32_e32 v54, v54, v47
	v_add_f32_e32 v64, v56, v58
	ds_load_b128 v[56:59], v31 offset:4224
	v_add_f32_e32 v65, v60, v61
	s_waitcnt lgkmcnt(1)
	v_mul_f32_e32 v47, v49, v41
	ds_load_b128 v[60:63], v31 offset:144
	v_dual_add_f32 v1, v1, v45 :: v_dual_fmac_f32 v54, v55, v46
	v_add_f32_e32 v67, v52, v44
	v_fma_f32 v52, v48, v40, -v47
	ds_load_2addr_b64 v[44:47], v0 offset0:32 offset1:48
	v_dual_mul_f32 v66, v48, v41 :: v_dual_mul_f32 v55, v49, v43
	v_mul_f32_e32 v69, v48, v43
	s_delay_alu instid0(VALU_DEP_2) | instskip(NEXT) | instid1(VALU_DEP_3)
	v_dual_add_f32 v23, v23, v54 :: v_dual_fmac_f32 v66, v49, v40
	v_fma_f32 v48, v48, v42, -v55
	s_delay_alu instid0(VALU_DEP_3) | instskip(SKIP_1) | instid1(VALU_DEP_3)
	v_fmac_f32_e32 v69, v49, v42
	s_waitcnt lgkmcnt(2)
	v_dual_add_f32 v3, v3, v66 :: v_dual_mul_f32 v66, v57, v41
	s_delay_alu instid0(VALU_DEP_3) | instskip(SKIP_2) | instid1(VALU_DEP_4)
	v_dual_mul_f32 v41, v56, v41 :: v_dual_add_f32 v2, v2, v48
	v_mul_f32_e32 v48, v57, v43
	v_add_f32_e32 v64, v64, v69
	v_fma_f32 v49, v56, v40, -v66
	s_delay_alu instid0(VALU_DEP_4) | instskip(NEXT) | instid1(VALU_DEP_4)
	v_dual_fmac_f32 v41, v57, v40 :: v_dual_mul_f32 v66, v56, v43
	v_fma_f32 v40, v56, v42, -v48
	s_waitcnt lgkmcnt(0)
	v_mul_f32_e32 v43, v51, v45
	v_add_f32_e32 v48, v65, v49
	v_add_f32_e32 v1, v1, v41
	v_dual_fmac_f32 v66, v57, v42 :: v_dual_add_f32 v49, v67, v40
	v_mul_f32_e32 v56, v50, v45
	v_fma_f32 v57, v50, v44, -v43
	ds_load_2addr_b64 v[40:43], v0 offset0:64 offset1:80
	v_mul_f32_e32 v65, v51, v47
	v_add_f32_e32 v23, v23, v66
	v_fmac_f32_e32 v56, v51, v44
	v_mul_f32_e32 v66, v50, v47
	s_delay_alu instid0(VALU_DEP_4) | instskip(SKIP_3) | instid1(VALU_DEP_4)
	v_fma_f32 v50, v50, v46, -v65
	v_mul_f32_e32 v65, v59, v45
	v_mul_f32_e32 v45, v58, v45
	v_dual_add_f32 v3, v3, v56 :: v_dual_mul_f32 v56, v58, v47
	v_add_f32_e32 v2, v2, v50
	s_delay_alu instid0(VALU_DEP_4) | instskip(NEXT) | instid1(VALU_DEP_4)
	v_fma_f32 v50, v58, v44, -v65
	v_fmac_f32_e32 v45, v59, v44
	v_mul_f32_e32 v44, v59, v47
	v_fmac_f32_e32 v56, v59, v46
	v_add_f32_e32 v68, v53, v52
	ds_load_b128 v[52:55], v31 offset:4240
	v_fmac_f32_e32 v66, v51, v46
	v_dual_add_f32 v48, v48, v50 :: v_dual_add_f32 v1, v1, v45
	v_fma_f32 v50, v58, v46, -v44
	s_waitcnt lgkmcnt(1)
	v_mul_f32_e32 v58, v61, v41
	ds_load_2addr_b64 v[44:47], v0 offset0:96 offset1:112
	v_add_f32_e32 v57, v68, v57
	v_add_f32_e32 v51, v64, v66
	;; [unrolled: 1-line block ×3, first 2 shown]
	v_fma_f32 v50, v60, v40, -v58
	v_mul_f32_e32 v58, v61, v43
	v_dual_mul_f32 v64, v60, v43 :: v_dual_add_f32 v23, v23, v56
	s_delay_alu instid0(VALU_DEP_3) | instskip(NEXT) | instid1(VALU_DEP_3)
	v_dual_mul_f32 v59, v60, v41 :: v_dual_add_f32 v56, v57, v50
	v_fma_f32 v50, v60, v42, -v58
	s_delay_alu instid0(VALU_DEP_3) | instskip(NEXT) | instid1(VALU_DEP_3)
	v_fmac_f32_e32 v64, v61, v42
	v_fmac_f32_e32 v59, v61, v40
	s_waitcnt lgkmcnt(1)
	v_mul_f32_e32 v57, v53, v41
	v_dual_mul_f32 v41, v52, v41 :: v_dual_add_f32 v2, v2, v50
	v_mul_f32_e32 v50, v53, v43
	v_add_f32_e32 v58, v51, v64
	s_delay_alu instid0(VALU_DEP_4) | instskip(NEXT) | instid1(VALU_DEP_4)
	v_fma_f32 v51, v52, v40, -v57
	v_fmac_f32_e32 v41, v53, v40
	v_mul_f32_e32 v57, v52, v43
	v_fma_f32 v40, v52, v42, -v50
	s_waitcnt lgkmcnt(0)
	v_mul_f32_e32 v43, v63, v45
	v_add_f32_e32 v3, v3, v59
	v_dual_add_f32 v52, v48, v51 :: v_dual_add_f32 v1, v1, v41
	v_fmac_f32_e32 v57, v53, v42
	v_add_f32_e32 v53, v49, v40
	v_fma_f32 v59, v62, v44, -v43
	ds_load_2addr_b64 v[40:43], v0 offset0:128 offset1:144
	ds_load_b128 v[48:51], v31 offset:160
	v_dual_mul_f32 v60, v62, v45 :: v_dual_mul_f32 v61, v63, v47
	v_dual_add_f32 v23, v23, v57 :: v_dual_add_f32 v64, v56, v59
	v_mul_f32_e32 v56, v55, v45
	s_delay_alu instid0(VALU_DEP_3) | instskip(NEXT) | instid1(VALU_DEP_4)
	v_fmac_f32_e32 v60, v63, v44
	v_fma_f32 v61, v62, v46, -v61
	v_mul_f32_e32 v45, v54, v45
	v_mul_f32_e32 v57, v62, v47
	s_delay_alu instid0(VALU_DEP_3) | instskip(SKIP_3) | instid1(VALU_DEP_3)
	v_dual_add_f32 v3, v3, v60 :: v_dual_add_f32 v2, v2, v61
	v_fma_f32 v60, v54, v44, -v56
	v_mul_f32_e32 v61, v55, v47
	v_fmac_f32_e32 v45, v55, v44
	v_dual_fmac_f32 v57, v63, v46 :: v_dual_add_f32 v66, v52, v60
	v_mul_f32_e32 v52, v54, v47
	s_delay_alu instid0(VALU_DEP_4)
	v_fma_f32 v44, v54, v46, -v61
	s_waitcnt lgkmcnt(0)
	v_mul_f32_e32 v47, v49, v41
	v_mul_f32_e32 v54, v49, v43
	;; [unrolled: 1-line block ×3, first 2 shown]
	v_dual_fmac_f32 v52, v55, v46 :: v_dual_add_f32 v67, v53, v44
	s_delay_alu instid0(VALU_DEP_4) | instskip(SKIP_2) | instid1(VALU_DEP_4)
	v_fma_f32 v53, v48, v40, -v47
	v_mul_f32_e32 v69, v48, v43
	v_fma_f32 v48, v48, v42, -v54
	v_add_f32_e32 v23, v23, v52
	ds_load_b128 v[60:63], v31 offset:176
	v_add_f32_e32 v64, v64, v53
	ds_load_b128 v[52:55], v31 offset:4272
	;; [unrolled: 2-line block ×3, first 2 shown]
	v_add_f32_e32 v1, v1, v45
	ds_load_2addr_b64 v[44:47], v0 offset0:160 offset1:176
	v_fmac_f32_e32 v68, v49, v40
	v_dual_fmac_f32 v69, v49, v42 :: v_dual_add_f32 v2, v2, v48
	s_delay_alu instid0(VALU_DEP_2) | instskip(NEXT) | instid1(VALU_DEP_2)
	v_add_f32_e32 v3, v3, v68
	v_add_f32_e32 v65, v65, v69
	s_waitcnt lgkmcnt(1)
	v_mul_f32_e32 v70, v57, v41
	v_mul_f32_e32 v41, v56, v41
	;; [unrolled: 1-line block ×3, first 2 shown]
	s_waitcnt lgkmcnt(0)
	v_dual_mul_f32 v68, v56, v43 :: v_dual_mul_f32 v43, v51, v45
	v_fma_f32 v48, v56, v40, -v70
	v_fmac_f32_e32 v41, v57, v40
	v_fma_f32 v40, v56, v42, -v49
	s_delay_alu instid0(VALU_DEP_4) | instskip(NEXT) | instid1(VALU_DEP_4)
	v_dual_fmac_f32 v68, v57, v42 :: v_dual_mul_f32 v49, v50, v45
	v_add_f32_e32 v48, v66, v48
	v_fma_f32 v57, v50, v44, -v43
	v_dual_mul_f32 v66, v51, v47 :: v_dual_add_f32 v1, v1, v41
	v_add_f32_e32 v56, v67, v40
	ds_load_2addr_b64 v[40:43], v0 offset0:192 offset1:208
	v_fmac_f32_e32 v49, v51, v44
	v_dual_add_f32 v57, v64, v57 :: v_dual_mul_f32 v64, v50, v47
	v_fma_f32 v50, v50, v46, -v66
	s_delay_alu instid0(VALU_DEP_3) | instskip(SKIP_1) | instid1(VALU_DEP_4)
	v_add_f32_e32 v3, v3, v49
	v_mul_f32_e32 v49, v59, v45
	v_dual_mul_f32 v45, v58, v45 :: v_dual_fmac_f32 v64, v51, v46
	s_delay_alu instid0(VALU_DEP_4) | instskip(SKIP_1) | instid1(VALU_DEP_4)
	v_add_f32_e32 v2, v2, v50
	v_mul_f32_e32 v50, v59, v47
	v_fma_f32 v49, v58, v44, -v49
	s_delay_alu instid0(VALU_DEP_4) | instskip(SKIP_1) | instid1(VALU_DEP_4)
	v_fmac_f32_e32 v45, v59, v44
	v_dual_add_f32 v51, v65, v64 :: v_dual_mul_f32 v64, v58, v47
	v_fma_f32 v44, v58, v46, -v50
	s_delay_alu instid0(VALU_DEP_4) | instskip(NEXT) | instid1(VALU_DEP_3)
	v_add_f32_e32 v48, v48, v49
	v_dual_add_f32 v1, v1, v45 :: v_dual_fmac_f32 v64, v59, v46
	s_delay_alu instid0(VALU_DEP_3)
	v_add_f32_e32 v50, v56, v44
	ds_load_2addr_b64 v[44:47], v0 offset0:224 offset1:240
	s_waitcnt lgkmcnt(1)
	v_mul_f32_e32 v49, v61, v41
	v_mul_f32_e32 v56, v60, v41
	;; [unrolled: 1-line block ×3, first 2 shown]
	s_delay_alu instid0(VALU_DEP_3) | instskip(SKIP_1) | instid1(VALU_DEP_4)
	v_fma_f32 v0, v60, v40, -v49
	v_mul_f32_e32 v49, v61, v43
	v_fmac_f32_e32 v56, v61, v40
	s_delay_alu instid0(VALU_DEP_4) | instskip(NEXT) | instid1(VALU_DEP_4)
	v_fmac_f32_e32 v58, v61, v42
	v_add_f32_e32 v57, v57, v0
	s_delay_alu instid0(VALU_DEP_4) | instskip(SKIP_3) | instid1(VALU_DEP_4)
	v_fma_f32 v0, v60, v42, -v49
	v_mul_f32_e32 v49, v53, v41
	v_add_f32_e32 v3, v3, v56
	v_dual_mul_f32 v41, v52, v41 :: v_dual_add_f32 v56, v51, v58
	v_add_f32_e32 v2, v2, v0
	s_delay_alu instid0(VALU_DEP_4)
	v_fma_f32 v0, v52, v40, -v49
	v_mul_f32_e32 v49, v53, v43
	s_waitcnt lgkmcnt(0)
	v_dual_mul_f32 v58, v52, v43 :: v_dual_mul_f32 v43, v63, v45
	v_fmac_f32_e32 v41, v53, v40
	v_dual_mul_f32 v61, v63, v47 :: v_dual_add_f32 v60, v48, v0
	s_delay_alu instid0(VALU_DEP_3) | instskip(NEXT) | instid1(VALU_DEP_4)
	v_fmac_f32_e32 v58, v53, v42
	v_fma_f32 v53, v62, v44, -v43
	v_fma_f32 v40, v52, v42, -v49
	v_dual_add_f32 v1, v1, v41 :: v_dual_add_nc_u32 v0, 0x1800, v30
	v_mul_f32_e32 v59, v62, v45
	s_delay_alu instid0(VALU_DEP_4)
	v_add_f32_e32 v53, v57, v53
	v_fma_f32 v57, v62, v46, -v61
	v_dual_mul_f32 v61, v55, v45 :: v_dual_add_f32 v52, v50, v40
	ds_load_2addr_b64 v[40:43], v0 offset1:16
	ds_load_b128 v[48:51], v31 offset:192
	v_fmac_f32_e32 v59, v63, v44
	v_mul_f32_e32 v45, v54, v45
	v_fma_f32 v61, v54, v44, -v61
	s_delay_alu instid0(VALU_DEP_3) | instskip(NEXT) | instid1(VALU_DEP_3)
	v_dual_add_f32 v2, v2, v57 :: v_dual_add_f32 v3, v3, v59
	v_fmac_f32_e32 v45, v55, v44
	s_delay_alu instid0(VALU_DEP_3) | instskip(SKIP_1) | instid1(VALU_DEP_3)
	v_add_f32_e32 v65, v60, v61
	v_add_f32_e32 v23, v23, v68
	v_add_f32_e32 v1, v1, v45
	s_delay_alu instid0(VALU_DEP_2) | instskip(NEXT) | instid1(VALU_DEP_1)
	v_add_f32_e32 v23, v23, v64
	v_dual_add_f32 v23, v23, v58 :: v_dual_mul_f32 v58, v62, v47
	v_mul_f32_e32 v62, v55, v47
	s_waitcnt lgkmcnt(0)
	v_mul_f32_e32 v66, v48, v41
	s_delay_alu instid0(VALU_DEP_3) | instskip(NEXT) | instid1(VALU_DEP_3)
	v_dual_mul_f32 v69, v48, v43 :: v_dual_fmac_f32 v58, v63, v46
	v_fma_f32 v44, v54, v46, -v62
	v_dual_mul_f32 v54, v54, v47 :: v_dual_mul_f32 v47, v49, v41
	s_delay_alu instid0(VALU_DEP_4) | instskip(NEXT) | instid1(VALU_DEP_4)
	v_fmac_f32_e32 v66, v49, v40
	v_add_f32_e32 v64, v56, v58
	ds_load_b128 v[56:59], v31 offset:4288
	ds_load_b128 v[60:63], v31 offset:208
	v_dual_fmac_f32 v54, v55, v46 :: v_dual_add_f32 v67, v52, v44
	v_fma_f32 v52, v48, v40, -v47
	ds_load_2addr_b64 v[44:47], v0 offset0:32 offset1:48
	v_mul_f32_e32 v55, v49, v43
	v_add_f32_e32 v3, v3, v66
	v_fmac_f32_e32 v69, v49, v42
	v_dual_add_f32 v23, v23, v54 :: v_dual_add_f32 v68, v53, v52
	s_delay_alu instid0(VALU_DEP_4)
	v_fma_f32 v48, v48, v42, -v55
	ds_load_b128 v[52:55], v31 offset:4304
	v_add_f32_e32 v64, v64, v69
	v_add_f32_e32 v2, v2, v48
	s_waitcnt lgkmcnt(3)
	v_mul_f32_e32 v66, v57, v41
	v_dual_mul_f32 v41, v56, v41 :: v_dual_mul_f32 v48, v57, v43
	s_delay_alu instid0(VALU_DEP_2) | instskip(NEXT) | instid1(VALU_DEP_2)
	v_fma_f32 v49, v56, v40, -v66
	v_dual_fmac_f32 v41, v57, v40 :: v_dual_mul_f32 v66, v56, v43
	s_delay_alu instid0(VALU_DEP_3)
	v_fma_f32 v40, v56, v42, -v48
	s_waitcnt lgkmcnt(1)
	v_mul_f32_e32 v43, v51, v45
	v_add_f32_e32 v48, v65, v49
	v_add_f32_e32 v1, v1, v41
	v_dual_fmac_f32 v66, v57, v42 :: v_dual_add_f32 v49, v67, v40
	s_delay_alu instid0(VALU_DEP_4) | instskip(SKIP_3) | instid1(VALU_DEP_2)
	v_fma_f32 v57, v50, v44, -v43
	ds_load_2addr_b64 v[40:43], v0 offset0:64 offset1:80
	v_dual_mul_f32 v56, v50, v45 :: v_dual_mul_f32 v65, v51, v47
	v_dual_add_f32 v23, v23, v66 :: v_dual_mul_f32 v66, v50, v47
	v_dual_add_f32 v57, v68, v57 :: v_dual_fmac_f32 v56, v51, v44
	s_delay_alu instid0(VALU_DEP_3) | instskip(SKIP_1) | instid1(VALU_DEP_4)
	v_fma_f32 v50, v50, v46, -v65
	v_mul_f32_e32 v65, v59, v45
	v_dual_mul_f32 v45, v58, v45 :: v_dual_fmac_f32 v66, v51, v46
	s_delay_alu instid0(VALU_DEP_3) | instskip(NEXT) | instid1(VALU_DEP_3)
	v_dual_add_f32 v3, v3, v56 :: v_dual_add_f32 v2, v2, v50
	v_fma_f32 v50, v58, v44, -v65
	s_delay_alu instid0(VALU_DEP_3) | instskip(SKIP_2) | instid1(VALU_DEP_3)
	v_fmac_f32_e32 v45, v59, v44
	v_mul_f32_e32 v44, v59, v47
	v_dual_mul_f32 v56, v58, v47 :: v_dual_add_f32 v51, v64, v66
	v_dual_add_f32 v48, v48, v50 :: v_dual_add_f32 v1, v1, v45
	s_delay_alu instid0(VALU_DEP_3)
	v_fma_f32 v50, v58, v46, -v44
	s_waitcnt lgkmcnt(0)
	v_mul_f32_e32 v58, v61, v41
	v_fmac_f32_e32 v56, v59, v46
	ds_load_2addr_b64 v[44:47], v0 offset0:96 offset1:112
	v_dual_mul_f32 v64, v60, v43 :: v_dual_add_f32 v49, v49, v50
	v_fma_f32 v50, v60, v40, -v58
	v_dual_mul_f32 v58, v61, v43 :: v_dual_add_f32 v23, v23, v56
	s_delay_alu instid0(VALU_DEP_3) | instskip(NEXT) | instid1(VALU_DEP_3)
	v_dual_mul_f32 v59, v60, v41 :: v_dual_fmac_f32 v64, v61, v42
	v_add_f32_e32 v56, v57, v50
	s_delay_alu instid0(VALU_DEP_3)
	v_fma_f32 v50, v60, v42, -v58
	v_mul_f32_e32 v57, v53, v41
	v_mul_f32_e32 v41, v52, v41
	v_fmac_f32_e32 v59, v61, v40
	v_add_f32_e32 v58, v51, v64
	v_add_f32_e32 v2, v2, v50
	v_mul_f32_e32 v50, v53, v43
	v_fma_f32 v51, v52, v40, -v57
	v_fmac_f32_e32 v41, v53, v40
	v_mul_f32_e32 v57, v52, v43
	v_add_f32_e32 v3, v3, v59
	v_fma_f32 v40, v52, v42, -v50
	s_waitcnt lgkmcnt(0)
	v_dual_mul_f32 v43, v63, v45 :: v_dual_add_f32 v52, v48, v51
	v_add_f32_e32 v1, v1, v41
	v_fmac_f32_e32 v57, v53, v42
	v_add_f32_e32 v53, v49, v40
	s_delay_alu instid0(VALU_DEP_4)
	v_fma_f32 v59, v62, v44, -v43
	ds_load_2addr_b64 v[40:43], v0 offset0:128 offset1:144
	ds_load_b128 v[48:51], v31 offset:224
	v_dual_mul_f32 v60, v62, v45 :: v_dual_mul_f32 v61, v63, v47
	v_add_f32_e32 v23, v23, v57
	v_mul_f32_e32 v57, v62, v47
	v_add_f32_e32 v64, v56, v59
	s_delay_alu instid0(VALU_DEP_4) | instskip(SKIP_4) | instid1(VALU_DEP_4)
	v_fmac_f32_e32 v60, v63, v44
	v_fma_f32 v61, v62, v46, -v61
	v_mul_f32_e32 v56, v55, v45
	v_fmac_f32_e32 v57, v63, v46
	v_mul_f32_e32 v45, v54, v45
	v_dual_add_f32 v3, v3, v60 :: v_dual_add_f32 v2, v2, v61
	s_delay_alu instid0(VALU_DEP_4)
	v_fma_f32 v60, v54, v44, -v56
	v_mul_f32_e32 v61, v55, v47
	v_add_f32_e32 v65, v58, v57
	ds_load_b128 v[56:59], v31 offset:4320
	v_fmac_f32_e32 v45, v55, v44
	v_add_f32_e32 v66, v52, v60
	v_mul_f32_e32 v52, v54, v47
	v_fma_f32 v44, v54, v46, -v61
	ds_load_b128 v[60:63], v31 offset:240
	s_waitcnt lgkmcnt(2)
	v_mul_f32_e32 v47, v49, v41
	v_dual_add_f32 v1, v1, v45 :: v_dual_fmac_f32 v52, v55, v46
	v_dual_add_f32 v67, v53, v44 :: v_dual_mul_f32 v68, v48, v41
	s_delay_alu instid0(VALU_DEP_3) | instskip(SKIP_4) | instid1(VALU_DEP_3)
	v_fma_f32 v53, v48, v40, -v47
	ds_load_2addr_b64 v[44:47], v0 offset0:160 offset1:176
	v_mul_f32_e32 v54, v49, v43
	v_dual_mul_f32 v69, v48, v43 :: v_dual_fmac_f32 v68, v49, v40
	v_dual_add_f32 v64, v64, v53 :: v_dual_add_f32 v23, v23, v52
	v_fma_f32 v48, v48, v42, -v54
	s_delay_alu instid0(VALU_DEP_3)
	v_fmac_f32_e32 v69, v49, v42
	s_waitcnt lgkmcnt(2)
	v_mul_f32_e32 v70, v57, v41
	v_mul_f32_e32 v41, v56, v41
	;; [unrolled: 1-line block ×3, first 2 shown]
	v_add_f32_e32 v3, v3, v68
	v_add_f32_e32 v2, v2, v48
	v_fma_f32 v48, v56, v40, -v70
	v_dual_fmac_f32 v41, v57, v40 :: v_dual_mul_f32 v68, v56, v43
	v_fma_f32 v40, v56, v42, -v49
	ds_load_b128 v[52:55], v31 offset:4336
	v_dual_add_f32 v48, v66, v48 :: v_dual_add_f32 v1, v1, v41
	s_waitcnt lgkmcnt(1)
	v_dual_mul_f32 v43, v51, v45 :: v_dual_fmac_f32 v68, v57, v42
	v_dual_mul_f32 v49, v50, v45 :: v_dual_add_f32 v56, v67, v40
	v_mul_f32_e32 v66, v51, v47
	s_delay_alu instid0(VALU_DEP_3)
	v_fma_f32 v57, v50, v44, -v43
	ds_load_2addr_b64 v[40:43], v0 offset0:192 offset1:208
	v_fmac_f32_e32 v49, v51, v44
	v_add_f32_e32 v23, v23, v68
	v_add_f32_e32 v65, v65, v69
	v_dual_add_f32 v57, v64, v57 :: v_dual_mul_f32 v64, v50, v47
	v_fma_f32 v50, v50, v46, -v66
	v_add_f32_e32 v49, v3, v49
	v_mul_f32_e32 v3, v59, v45
	s_delay_alu instid0(VALU_DEP_4) | instskip(NEXT) | instid1(VALU_DEP_4)
	v_dual_mul_f32 v45, v58, v45 :: v_dual_fmac_f32 v64, v51, v46
	v_add_f32_e32 v50, v2, v50
	v_mul_f32_e32 v2, v59, v47
	s_delay_alu instid0(VALU_DEP_4) | instskip(NEXT) | instid1(VALU_DEP_4)
	v_fma_f32 v3, v58, v44, -v3
	v_fmac_f32_e32 v45, v59, v44
	v_dual_mul_f32 v47, v58, v47 :: v_dual_add_f32 v44, v65, v64
	s_delay_alu instid0(VALU_DEP_4) | instskip(NEXT) | instid1(VALU_DEP_3)
	v_fma_f32 v2, v58, v46, -v2
	v_dual_add_f32 v48, v48, v3 :: v_dual_add_f32 v45, v1, v45
	s_waitcnt lgkmcnt(0)
	v_mul_f32_e32 v51, v61, v41
	v_fmac_f32_e32 v47, v59, v46
	v_add_f32_e32 v46, v56, v2
	ds_load_2addr_b64 v[0:3], v0 offset0:224 offset1:240
	v_mul_f32_e32 v56, v60, v41
	v_fma_f32 v51, v60, v40, -v51
	v_add_f32_e32 v23, v23, v47
	v_mul_f32_e32 v47, v61, v43
	v_mul_f32_e32 v58, v60, v43
	v_fmac_f32_e32 v56, v61, v40
	v_add_f32_e32 v51, v57, v51
	v_mul_f32_e32 v57, v53, v41
	v_fma_f32 v47, v60, v42, -v47
	v_mul_f32_e32 v41, v52, v41
	v_add_f32_e32 v49, v49, v56
	v_fmac_f32_e32 v58, v61, v42
	v_fma_f32 v56, v52, v40, -v57
	v_add_f32_e32 v47, v50, v47
	v_mul_f32_e32 v50, v53, v43
	v_fmac_f32_e32 v41, v53, v40
	v_mul_f32_e32 v43, v52, v43
	v_add_f32_e32 v40, v48, v56
	v_add_f32_e32 v44, v44, v58
	v_fma_f32 v48, v52, v42, -v50
	s_waitcnt lgkmcnt(0)
	v_mul_f32_e32 v50, v63, v1
	v_dual_mul_f32 v52, v62, v1 :: v_dual_fmac_f32 v43, v53, v42
	s_delay_alu instid0(VALU_DEP_3) | instskip(NEXT) | instid1(VALU_DEP_3)
	v_dual_add_f32 v41, v45, v41 :: v_dual_add_f32 v48, v46, v48
	v_fma_f32 v42, v62, v0, -v50
	s_delay_alu instid0(VALU_DEP_3) | instskip(SKIP_3) | instid1(VALU_DEP_4)
	v_fmac_f32_e32 v52, v63, v0
	v_mul_f32_e32 v50, v63, v3
	v_mul_f32_e32 v53, v62, v3
	v_add_f32_e32 v23, v23, v43
	v_dual_add_f32 v45, v51, v42 :: v_dual_add_f32 v46, v49, v52
	s_delay_alu instid0(VALU_DEP_4)
	v_fma_f32 v42, v62, v2, -v50
	v_mul_f32_e32 v49, v55, v1
	v_dual_mul_f32 v1, v54, v1 :: v_dual_mul_f32 v50, v55, v3
	v_mul_f32_e32 v3, v54, v3
	v_fmac_f32_e32 v53, v63, v2
	v_add_f32_e32 v43, v47, v42
	v_fma_f32 v42, v54, v0, -v49
	v_fmac_f32_e32 v1, v55, v0
	v_fma_f32 v0, v54, v2, -v50
	v_dual_fmac_f32 v3, v55, v2 :: v_dual_add_f32 v44, v44, v53
	s_delay_alu instid0(VALU_DEP_3) | instskip(NEXT) | instid1(VALU_DEP_2)
	v_dual_add_f32 v42, v40, v42 :: v_dual_add_f32 v41, v41, v1
	v_dual_add_f32 v40, v48, v0 :: v_dual_add_f32 v23, v23, v3
	s_barrier
	buffer_gl0_inv
	s_cbranch_scc1 .LBB79_55
.LBB79_7:                               ;   Parent Loop BB79_4 Depth=1
                                        ; =>  This Inner Loop Header: Depth=2
	v_add_co_u32 v2, s5, v28, s20
	s_delay_alu instid0(VALU_DEP_1) | instskip(SKIP_1) | instid1(VALU_DEP_2)
	v_add_co_ci_u32_e64 v3, null, 0, s21, s5
	v_cmp_eq_u64_e64 s7, s[20:21], v[12:13]
	v_cmp_le_i64_e64 s6, s[12:13], v[2:3]
	v_cmp_gt_i64_e64 s5, v[2:3], v[6:7]
	s_delay_alu instid0(VALU_DEP_3) | instskip(NEXT) | instid1(VALU_DEP_1)
	s_and_b32 s26, s15, s7
	s_or_b32 s7, s6, s5
	s_delay_alu instid0(SALU_CYCLE_1) | instskip(SKIP_1) | instid1(VALU_DEP_1)
	s_or_b32 s8, s7, s26
	v_add_co_u32 v0, s7, v34, s16
	v_add_co_ci_u32_e64 v1, s7, s17, v35, s7
	s_or_b32 s7, s0, s8
	s_delay_alu instid0(SALU_CYCLE_1) | instskip(NEXT) | instid1(SALU_CYCLE_1)
	s_xor_b32 s7, s7, -1
	s_and_saveexec_b32 s8, s7
	s_delay_alu instid0(SALU_CYCLE_1)
	s_xor_b32 s7, exec_lo, s8
	s_cbranch_execz .LBB79_9
; %bb.8:                                ;   in Loop: Header=BB79_7 Depth=2
	global_load_b64 v[47:48], v[0:1], off
	s_waitcnt vmcnt(0)
	ds_store_b64 v32, v[47:48]
.LBB79_9:                               ;   in Loop: Header=BB79_7 Depth=2
	s_or_saveexec_b32 s7, s7
	s_xor_b32 s25, s26, -1
	s_xor_b32 exec_lo, exec_lo, s7
	s_cbranch_execz .LBB79_15
; %bb.10:                               ;   in Loop: Header=BB79_7 Depth=2
	s_and_saveexec_b32 s8, s25
	s_delay_alu instid0(SALU_CYCLE_1)
	s_xor_b32 s8, exec_lo, s8
	s_cbranch_execz .LBB79_12
; %bb.11:                               ;   in Loop: Header=BB79_7 Depth=2
	v_mov_b32_e32 v47, v5
	v_mov_b32_e32 v48, v5
	ds_store_b64 v32, v[47:48]
.LBB79_12:                              ;   in Loop: Header=BB79_7 Depth=2
	s_and_not1_saveexec_b32 s8, s8
	s_cbranch_execz .LBB79_14
; %bb.13:                               ;   in Loop: Header=BB79_7 Depth=2
	ds_store_b64 v32, v[4:5]
.LBB79_14:                              ;   in Loop: Header=BB79_7 Depth=2
	s_or_b32 exec_lo, exec_lo, s8
.LBB79_15:                              ;   in Loop: Header=BB79_7 Depth=2
	s_delay_alu instid0(SALU_CYCLE_1) | instskip(SKIP_2) | instid1(VALU_DEP_2)
	s_or_b32 exec_lo, exec_lo, s7
	v_cmp_eq_u64_e64 s7, s[20:21], v[16:17]
	v_cmp_lt_i64_e64 s8, v[10:11], v[2:3]
	s_and_b32 s7, s15, s7
	s_delay_alu instid0(VALU_DEP_1) | instskip(NEXT) | instid1(SALU_CYCLE_1)
	s_or_b32 s6, s6, s8
	s_or_b32 s6, s6, s7
	s_delay_alu instid0(SALU_CYCLE_1) | instskip(NEXT) | instid1(SALU_CYCLE_1)
	s_or_b32 s6, s3, s6
	s_xor_b32 s6, s6, -1
	s_delay_alu instid0(SALU_CYCLE_1) | instskip(NEXT) | instid1(SALU_CYCLE_1)
	s_and_saveexec_b32 s8, s6
	s_xor_b32 s8, exec_lo, s8
	s_cbranch_execz .LBB79_17
; %bb.16:                               ;   in Loop: Header=BB79_7 Depth=2
	v_add_co_u32 v47, s6, v36, s16
	s_delay_alu instid0(VALU_DEP_1)
	v_add_co_ci_u32_e64 v48, s6, s17, v37, s6
	global_load_b64 v[47:48], v[47:48], off
	s_waitcnt vmcnt(0)
	ds_store_b64 v32, v[47:48] offset:128
.LBB79_17:                              ;   in Loop: Header=BB79_7 Depth=2
	s_and_not1_saveexec_b32 s6, s8
	s_cbranch_execz .LBB79_23
; %bb.18:                               ;   in Loop: Header=BB79_7 Depth=2
	s_xor_b32 s7, s7, -1
	s_delay_alu instid0(SALU_CYCLE_1) | instskip(NEXT) | instid1(SALU_CYCLE_1)
	s_and_saveexec_b32 s8, s7
	s_xor_b32 s7, exec_lo, s8
	s_cbranch_execz .LBB79_20
; %bb.19:                               ;   in Loop: Header=BB79_7 Depth=2
	v_mov_b32_e32 v47, v5
	v_mov_b32_e32 v48, v5
	ds_store_b64 v32, v[47:48] offset:128
.LBB79_20:                              ;   in Loop: Header=BB79_7 Depth=2
	s_and_not1_saveexec_b32 s7, s7
	s_cbranch_execz .LBB79_22
; %bb.21:                               ;   in Loop: Header=BB79_7 Depth=2
	ds_store_b64 v32, v[4:5] offset:128
.LBB79_22:                              ;   in Loop: Header=BB79_7 Depth=2
	s_or_b32 exec_lo, exec_lo, s7
.LBB79_23:                              ;   in Loop: Header=BB79_7 Depth=2
	s_delay_alu instid0(SALU_CYCLE_1) | instskip(SKIP_1) | instid1(VALU_DEP_1)
	s_or_b32 exec_lo, exec_lo, s6
	v_add_co_u32 v2, s6, v2, 16
	v_add_co_ci_u32_e64 v3, s6, 0, v3, s6
	v_cmp_eq_u64_e64 s7, s[20:21], v[18:19]
	s_delay_alu instid0(VALU_DEP_2) | instskip(SKIP_1) | instid1(VALU_DEP_3)
	v_cmp_le_i64_e64 s6, s[12:13], v[2:3]
	v_cmp_gt_i64_e64 s8, v[2:3], v[6:7]
	s_and_b32 s27, s15, s7
	s_delay_alu instid0(VALU_DEP_1) | instskip(NEXT) | instid1(SALU_CYCLE_1)
	s_or_b32 s7, s6, s8
	s_or_b32 s7, s7, s27
	s_delay_alu instid0(SALU_CYCLE_1) | instskip(NEXT) | instid1(SALU_CYCLE_1)
	s_or_b32 s7, s0, s7
	s_xor_b32 s7, s7, -1
	s_delay_alu instid0(SALU_CYCLE_1) | instskip(NEXT) | instid1(SALU_CYCLE_1)
	s_and_saveexec_b32 s8, s7
	s_xor_b32 s7, exec_lo, s8
	s_cbranch_execz .LBB79_25
; %bb.24:                               ;   in Loop: Header=BB79_7 Depth=2
	global_load_b64 v[0:1], v[0:1], off offset:128
	s_waitcnt vmcnt(0)
	ds_store_b64 v32, v[0:1] offset:4096
.LBB79_25:                              ;   in Loop: Header=BB79_7 Depth=2
	s_and_not1_saveexec_b32 s7, s7
	s_cbranch_execz .LBB79_31
; %bb.26:                               ;   in Loop: Header=BB79_7 Depth=2
	s_xor_b32 s8, s27, -1
	s_delay_alu instid0(SALU_CYCLE_1) | instskip(NEXT) | instid1(SALU_CYCLE_1)
	s_and_saveexec_b32 s27, s8
	s_xor_b32 s8, exec_lo, s27
	s_cbranch_execz .LBB79_28
; %bb.27:                               ;   in Loop: Header=BB79_7 Depth=2
	v_mov_b32_e32 v0, v5
	v_mov_b32_e32 v1, v5
	ds_store_b64 v32, v[0:1] offset:4096
.LBB79_28:                              ;   in Loop: Header=BB79_7 Depth=2
	s_and_not1_saveexec_b32 s8, s8
	s_cbranch_execz .LBB79_30
; %bb.29:                               ;   in Loop: Header=BB79_7 Depth=2
	ds_store_b64 v32, v[4:5] offset:4096
.LBB79_30:                              ;   in Loop: Header=BB79_7 Depth=2
	s_or_b32 exec_lo, exec_lo, s8
.LBB79_31:                              ;   in Loop: Header=BB79_7 Depth=2
	s_delay_alu instid0(SALU_CYCLE_1) | instskip(SKIP_1) | instid1(SALU_CYCLE_1)
	s_or_b32 exec_lo, exec_lo, s7
	s_or_b32 s5, s6, s5
	s_or_b32 s5, s5, s26
	s_delay_alu instid0(SALU_CYCLE_1) | instskip(NEXT) | instid1(SALU_CYCLE_1)
	s_or_b32 s5, s3, s5
	s_xor_b32 s5, s5, -1
	s_delay_alu instid0(SALU_CYCLE_1) | instskip(NEXT) | instid1(SALU_CYCLE_1)
	s_and_saveexec_b32 s6, s5
	s_xor_b32 s6, exec_lo, s6
	s_cbranch_execz .LBB79_33
; %bb.32:                               ;   in Loop: Header=BB79_7 Depth=2
	v_add_co_u32 v0, s5, v36, s16
	s_delay_alu instid0(VALU_DEP_1)
	v_add_co_ci_u32_e64 v1, s5, s17, v37, s5
	global_load_b64 v[0:1], v[0:1], off offset:128
	s_waitcnt vmcnt(0)
	ds_store_b64 v32, v[0:1] offset:4224
.LBB79_33:                              ;   in Loop: Header=BB79_7 Depth=2
	s_and_not1_saveexec_b32 s5, s6
	s_cbranch_execz .LBB79_39
; %bb.34:                               ;   in Loop: Header=BB79_7 Depth=2
	s_and_saveexec_b32 s6, s25
	s_delay_alu instid0(SALU_CYCLE_1)
	s_xor_b32 s6, exec_lo, s6
	s_cbranch_execz .LBB79_36
; %bb.35:                               ;   in Loop: Header=BB79_7 Depth=2
	v_mov_b32_e32 v0, v5
	v_mov_b32_e32 v1, v5
	ds_store_b64 v32, v[0:1] offset:4224
.LBB79_36:                              ;   in Loop: Header=BB79_7 Depth=2
	s_and_not1_saveexec_b32 s6, s6
	s_cbranch_execz .LBB79_38
; %bb.37:                               ;   in Loop: Header=BB79_7 Depth=2
	ds_store_b64 v32, v[4:5] offset:4224
.LBB79_38:                              ;   in Loop: Header=BB79_7 Depth=2
	s_or_b32 exec_lo, exec_lo, s6
.LBB79_39:                              ;   in Loop: Header=BB79_7 Depth=2
	s_delay_alu instid0(SALU_CYCLE_1) | instskip(SKIP_1) | instid1(VALU_DEP_1)
	s_or_b32 exec_lo, exec_lo, s5
	v_add_co_u32 v0, s5, v29, s20
	v_add_co_ci_u32_e64 v1, null, 0, s21, s5
	s_delay_alu instid0(VALU_DEP_1) | instskip(NEXT) | instid1(VALU_DEP_1)
	v_cmp_gt_i64_e64 s5, s[12:13], v[0:1]
	s_and_b32 s6, vcc_lo, s5
	s_delay_alu instid0(SALU_CYCLE_1) | instskip(NEXT) | instid1(SALU_CYCLE_1)
	s_xor_b32 s6, s6, -1
	s_and_saveexec_b32 s7, s6
	s_delay_alu instid0(SALU_CYCLE_1)
	s_xor_b32 s6, exec_lo, s7
	s_cbranch_execz .LBB79_41
; %bb.40:                               ;   in Loop: Header=BB79_7 Depth=2
	v_mov_b32_e32 v2, v5
	v_mov_b32_e32 v3, v5
	ds_store_b64 v33, v[2:3]
.LBB79_41:                              ;   in Loop: Header=BB79_7 Depth=2
	s_or_saveexec_b32 s7, s6
	v_add_co_u32 v2, s6, v24, s16
	s_delay_alu instid0(VALU_DEP_1)
	v_add_co_ci_u32_e64 v3, s6, s17, v25, s6
	s_xor_b32 exec_lo, exec_lo, s7
	s_cbranch_execz .LBB79_43
; %bb.42:                               ;   in Loop: Header=BB79_7 Depth=2
	global_load_b64 v[47:48], v[2:3], off offset:-128
	s_waitcnt vmcnt(0)
	ds_store_b64 v33, v[47:48]
.LBB79_43:                              ;   in Loop: Header=BB79_7 Depth=2
	s_or_b32 exec_lo, exec_lo, s7
	v_cmp_gt_i64_e64 s6, s[18:19], v[0:1]
	s_delay_alu instid0(VALU_DEP_1) | instskip(NEXT) | instid1(SALU_CYCLE_1)
	s_and_b32 s7, vcc_lo, s6
	s_xor_b32 s7, s7, -1
	s_delay_alu instid0(SALU_CYCLE_1) | instskip(NEXT) | instid1(SALU_CYCLE_1)
	s_and_saveexec_b32 s8, s7
	s_xor_b32 s7, exec_lo, s8
	s_cbranch_execz .LBB79_45
; %bb.44:                               ;   in Loop: Header=BB79_7 Depth=2
	v_mov_b32_e32 v0, v5
	v_mov_b32_e32 v1, v5
                                        ; implicit-def: $vgpr2_vgpr3
	ds_store_b64 v33, v[0:1] offset:128
.LBB79_45:                              ;   in Loop: Header=BB79_7 Depth=2
	s_and_not1_saveexec_b32 s7, s7
	s_cbranch_execz .LBB79_47
; %bb.46:                               ;   in Loop: Header=BB79_7 Depth=2
	global_load_b64 v[0:1], v[2:3], off
	s_waitcnt vmcnt(0)
	ds_store_b64 v33, v[0:1] offset:128
.LBB79_47:                              ;   in Loop: Header=BB79_7 Depth=2
	s_or_b32 exec_lo, exec_lo, s7
	s_and_b32 s5, s4, s5
	s_delay_alu instid0(SALU_CYCLE_1) | instskip(NEXT) | instid1(SALU_CYCLE_1)
	s_xor_b32 s5, s5, -1
	s_and_saveexec_b32 s7, s5
	s_delay_alu instid0(SALU_CYCLE_1)
	s_xor_b32 s5, exec_lo, s7
	s_cbranch_execz .LBB79_49
; %bb.48:                               ;   in Loop: Header=BB79_7 Depth=2
	v_mov_b32_e32 v0, v5
	v_mov_b32_e32 v1, v5
	ds_store_b64 v33, v[0:1] offset:4096
.LBB79_49:                              ;   in Loop: Header=BB79_7 Depth=2
	s_and_not1_saveexec_b32 s7, s5
	s_cbranch_execz .LBB79_51
; %bb.50:                               ;   in Loop: Header=BB79_7 Depth=2
	v_add_co_u32 v0, s5, v26, s16
	s_delay_alu instid0(VALU_DEP_1)
	v_add_co_ci_u32_e64 v1, s5, s17, v27, s5
	global_load_b64 v[0:1], v[0:1], off offset:-128
	s_waitcnt vmcnt(0)
	ds_store_b64 v33, v[0:1] offset:4096
.LBB79_51:                              ;   in Loop: Header=BB79_7 Depth=2
	s_or_b32 exec_lo, exec_lo, s7
	s_and_b32 s5, s4, s6
	s_delay_alu instid0(SALU_CYCLE_1) | instskip(NEXT) | instid1(SALU_CYCLE_1)
	s_xor_b32 s5, s5, -1
	s_and_saveexec_b32 s6, s5
	s_delay_alu instid0(SALU_CYCLE_1)
	s_xor_b32 s5, exec_lo, s6
	s_cbranch_execz .LBB79_53
; %bb.52:                               ;   in Loop: Header=BB79_7 Depth=2
	v_mov_b32_e32 v0, v5
	v_mov_b32_e32 v1, v5
	ds_store_b64 v33, v[0:1] offset:4224
.LBB79_53:                              ;   in Loop: Header=BB79_7 Depth=2
	s_and_not1_saveexec_b32 s6, s5
	s_cbranch_execz .LBB79_6
; %bb.54:                               ;   in Loop: Header=BB79_7 Depth=2
	v_add_co_u32 v0, s5, v26, s16
	s_delay_alu instid0(VALU_DEP_1)
	v_add_co_ci_u32_e64 v1, s5, s17, v27, s5
	global_load_b64 v[0:1], v[0:1], off
	s_waitcnt vmcnt(0)
	ds_store_b64 v33, v[0:1] offset:4224
	s_branch .LBB79_6
.LBB79_55:                              ;   in Loop: Header=BB79_4 Depth=1
	v_mul_lo_u32 v2, v39, s40
	v_mul_lo_u32 v3, v38, s41
	v_mad_u64_u32 v[0:1], null, v38, s40, 0
	v_cmp_gt_i32_e32 vcc_lo, s10, v38
	s_delay_alu instid0(VALU_DEP_2) | instskip(NEXT) | instid1(VALU_DEP_1)
	v_add3_u32 v1, v1, v3, v2
	v_lshlrev_b64 v[0:1], 3, v[0:1]
	s_delay_alu instid0(VALU_DEP_1) | instskip(NEXT) | instid1(VALU_DEP_1)
	v_add_co_u32 v0, s4, s36, v0
	v_add_co_ci_u32_e64 v1, s4, s37, v1, s4
	s_and_b32 s4, s1, vcc_lo
	s_delay_alu instid0(SALU_CYCLE_1)
	s_and_saveexec_b32 s5, s4
	s_cbranch_execz .LBB79_57
; %bb.56:                               ;   in Loop: Header=BB79_4 Depth=1
	v_add_co_u32 v2, s4, v0, v14
	s_delay_alu instid0(VALU_DEP_1)
	v_add_co_ci_u32_e64 v3, s4, v1, v15, s4
	v_mul_f32_e32 v27, s11, v46
	v_mul_f32_e32 v26, s33, v46
	global_load_b64 v[24:25], v[2:3], off
	v_fmac_f32_e32 v27, s33, v45
	v_fma_f32 v26, v45, s11, -v26
	s_waitcnt vmcnt(0)
	s_delay_alu instid0(VALU_DEP_1)
	v_dual_add_f32 v24, v24, v26 :: v_dual_add_f32 v25, v25, v27
	global_store_b64 v[2:3], v[24:25], off
.LBB79_57:                              ;   in Loop: Header=BB79_4 Depth=1
	s_or_b32 exec_lo, exec_lo, s5
	s_and_b32 s5, s2, vcc_lo
	s_delay_alu instid0(SALU_CYCLE_1)
	s_and_saveexec_b32 s4, s5
	s_cbranch_execz .LBB79_59
; %bb.58:                               ;   in Loop: Header=BB79_4 Depth=1
	v_lshlrev_b64 v[2:3], 3, v[8:9]
	v_mul_f32_e32 v25, s11, v44
	s_delay_alu instid0(VALU_DEP_1) | instskip(NEXT) | instid1(VALU_DEP_3)
	v_dual_mul_f32 v24, s33, v44 :: v_dual_fmac_f32 v25, s33, v43
	v_add_co_u32 v0, vcc_lo, v0, v2
	s_delay_alu instid0(VALU_DEP_4) | instskip(NEXT) | instid1(VALU_DEP_3)
	v_add_co_ci_u32_e32 v1, vcc_lo, v1, v3, vcc_lo
	v_fma_f32 v24, v43, s11, -v24
	global_load_b64 v[2:3], v[0:1], off
	s_waitcnt vmcnt(0)
	v_dual_add_f32 v2, v2, v24 :: v_dual_add_f32 v3, v3, v25
	global_store_b64 v[0:1], v[2:3], off
.LBB79_59:                              ;   in Loop: Header=BB79_4 Depth=1
	s_or_b32 exec_lo, exec_lo, s4
	v_add_nc_u32_e32 v2, 16, v38
	s_delay_alu instid0(VALU_DEP_1) | instskip(SKIP_3) | instid1(VALU_DEP_4)
	v_ashrrev_i32_e32 v3, 31, v2
	v_mul_lo_u32 v24, v2, s41
	v_mad_u64_u32 v[0:1], null, v2, s40, 0
	v_cmp_gt_i32_e32 vcc_lo, s10, v2
	v_mul_lo_u32 v3, v3, s40
	s_delay_alu instid0(VALU_DEP_1) | instskip(NEXT) | instid1(VALU_DEP_1)
	v_add3_u32 v1, v1, v24, v3
	v_lshlrev_b64 v[0:1], 3, v[0:1]
	s_delay_alu instid0(VALU_DEP_1) | instskip(NEXT) | instid1(VALU_DEP_1)
	v_add_co_u32 v0, s4, s36, v0
	v_add_co_ci_u32_e64 v1, s4, s37, v1, s4
	s_and_b32 s4, s1, vcc_lo
	s_delay_alu instid0(SALU_CYCLE_1)
	s_and_saveexec_b32 s5, s4
	s_cbranch_execz .LBB79_61
; %bb.60:                               ;   in Loop: Header=BB79_4 Depth=1
	v_add_co_u32 v2, s4, v0, v14
	s_delay_alu instid0(VALU_DEP_1) | instskip(SKIP_2) | instid1(VALU_DEP_1)
	v_add_co_ci_u32_e64 v3, s4, v1, v15, s4
	global_load_b64 v[24:25], v[2:3], off
	v_mul_f32_e32 v27, s11, v41
	v_dual_mul_f32 v26, s33, v41 :: v_dual_fmac_f32 v27, s33, v42
	s_delay_alu instid0(VALU_DEP_1) | instskip(SKIP_1) | instid1(VALU_DEP_1)
	v_fma_f32 v26, v42, s11, -v26
	s_waitcnt vmcnt(0)
	v_dual_add_f32 v24, v24, v26 :: v_dual_add_f32 v25, v25, v27
	global_store_b64 v[2:3], v[24:25], off
.LBB79_61:                              ;   in Loop: Header=BB79_4 Depth=1
	s_or_b32 exec_lo, exec_lo, s5
	s_and_b32 s5, s2, vcc_lo
	s_delay_alu instid0(SALU_CYCLE_1)
	s_and_saveexec_b32 s4, s5
	s_cbranch_execz .LBB79_3
; %bb.62:                               ;   in Loop: Header=BB79_4 Depth=1
	v_lshlrev_b64 v[2:3], 3, v[8:9]
	v_mul_f32_e32 v24, s33, v23
	s_delay_alu instid0(VALU_DEP_2) | instskip(NEXT) | instid1(VALU_DEP_3)
	v_add_co_u32 v0, vcc_lo, v0, v2
	v_add_co_ci_u32_e32 v1, vcc_lo, v1, v3, vcc_lo
	global_load_b64 v[2:3], v[0:1], off
	v_mul_f32_e32 v23, s11, v23
	s_delay_alu instid0(VALU_DEP_1) | instskip(SKIP_2) | instid1(VALU_DEP_1)
	v_fmac_f32_e32 v23, s33, v40
	v_fma_f32 v24, v40, s11, -v24
	s_waitcnt vmcnt(0)
	v_dual_add_f32 v2, v2, v24 :: v_dual_add_f32 v3, v3, v23
	global_store_b64 v[0:1], v[2:3], off
	s_branch .LBB79_3
.LBB79_63:
	s_nop 0
	s_sendmsg sendmsg(MSG_DEALLOC_VGPRS)
	s_endpgm
	.section	.rodata,"a",@progbits
	.p2align	6, 0x0
	.amdhsa_kernel _ZL30rocblas_trmm_outofplace_kernelI19rocblas_complex_numIfELi32ELi2ELb1ELb1ELb1ELb0ES1_KS1_S1_Ev17rocblas_diagonal_iiT6_lPT7_lllS6_lllPT8_llli
		.amdhsa_group_segment_fixed_size 16384
		.amdhsa_private_segment_fixed_size 0
		.amdhsa_kernarg_size 392
		.amdhsa_user_sgpr_count 13
		.amdhsa_user_sgpr_dispatch_ptr 0
		.amdhsa_user_sgpr_queue_ptr 0
		.amdhsa_user_sgpr_kernarg_segment_ptr 1
		.amdhsa_user_sgpr_dispatch_id 0
		.amdhsa_user_sgpr_private_segment_size 0
		.amdhsa_wavefront_size32 1
		.amdhsa_uses_dynamic_stack 0
		.amdhsa_enable_private_segment 0
		.amdhsa_system_sgpr_workgroup_id_x 1
		.amdhsa_system_sgpr_workgroup_id_y 1
		.amdhsa_system_sgpr_workgroup_id_z 1
		.amdhsa_system_sgpr_workgroup_info 0
		.amdhsa_system_vgpr_workitem_id 1
		.amdhsa_next_free_vgpr 81
		.amdhsa_next_free_sgpr 44
		.amdhsa_reserve_vcc 1
		.amdhsa_float_round_mode_32 0
		.amdhsa_float_round_mode_16_64 0
		.amdhsa_float_denorm_mode_32 3
		.amdhsa_float_denorm_mode_16_64 3
		.amdhsa_dx10_clamp 1
		.amdhsa_ieee_mode 1
		.amdhsa_fp16_overflow 0
		.amdhsa_workgroup_processor_mode 1
		.amdhsa_memory_ordered 1
		.amdhsa_forward_progress 0
		.amdhsa_shared_vgpr_count 0
		.amdhsa_exception_fp_ieee_invalid_op 0
		.amdhsa_exception_fp_denorm_src 0
		.amdhsa_exception_fp_ieee_div_zero 0
		.amdhsa_exception_fp_ieee_overflow 0
		.amdhsa_exception_fp_ieee_underflow 0
		.amdhsa_exception_fp_ieee_inexact 0
		.amdhsa_exception_int_div_zero 0
	.end_amdhsa_kernel
	.section	.text._ZL30rocblas_trmm_outofplace_kernelI19rocblas_complex_numIfELi32ELi2ELb1ELb1ELb1ELb0ES1_KS1_S1_Ev17rocblas_diagonal_iiT6_lPT7_lllS6_lllPT8_llli,"axG",@progbits,_ZL30rocblas_trmm_outofplace_kernelI19rocblas_complex_numIfELi32ELi2ELb1ELb1ELb1ELb0ES1_KS1_S1_Ev17rocblas_diagonal_iiT6_lPT7_lllS6_lllPT8_llli,comdat
.Lfunc_end79:
	.size	_ZL30rocblas_trmm_outofplace_kernelI19rocblas_complex_numIfELi32ELi2ELb1ELb1ELb1ELb0ES1_KS1_S1_Ev17rocblas_diagonal_iiT6_lPT7_lllS6_lllPT8_llli, .Lfunc_end79-_ZL30rocblas_trmm_outofplace_kernelI19rocblas_complex_numIfELi32ELi2ELb1ELb1ELb1ELb0ES1_KS1_S1_Ev17rocblas_diagonal_iiT6_lPT7_lllS6_lllPT8_llli
                                        ; -- End function
	.section	.AMDGPU.csdata,"",@progbits
; Kernel info:
; codeLenInByte = 7368
; NumSgprs: 46
; NumVgprs: 81
; ScratchSize: 0
; MemoryBound: 1
; FloatMode: 240
; IeeeMode: 1
; LDSByteSize: 16384 bytes/workgroup (compile time only)
; SGPRBlocks: 5
; VGPRBlocks: 10
; NumSGPRsForWavesPerEU: 46
; NumVGPRsForWavesPerEU: 81
; Occupancy: 16
; WaveLimiterHint : 0
; COMPUTE_PGM_RSRC2:SCRATCH_EN: 0
; COMPUTE_PGM_RSRC2:USER_SGPR: 13
; COMPUTE_PGM_RSRC2:TRAP_HANDLER: 0
; COMPUTE_PGM_RSRC2:TGID_X_EN: 1
; COMPUTE_PGM_RSRC2:TGID_Y_EN: 1
; COMPUTE_PGM_RSRC2:TGID_Z_EN: 1
; COMPUTE_PGM_RSRC2:TIDIG_COMP_CNT: 1
	.section	.text._ZL30rocblas_trmm_outofplace_kernelI19rocblas_complex_numIfELi32ELi2ELb1ELb0ELb1ELb1EPKS1_S2_S1_Ev17rocblas_diagonal_iiT6_lPT7_lllS7_lllPT8_llli,"axG",@progbits,_ZL30rocblas_trmm_outofplace_kernelI19rocblas_complex_numIfELi32ELi2ELb1ELb0ELb1ELb1EPKS1_S2_S1_Ev17rocblas_diagonal_iiT6_lPT7_lllS7_lllPT8_llli,comdat
	.globl	_ZL30rocblas_trmm_outofplace_kernelI19rocblas_complex_numIfELi32ELi2ELb1ELb0ELb1ELb1EPKS1_S2_S1_Ev17rocblas_diagonal_iiT6_lPT7_lllS7_lllPT8_llli ; -- Begin function _ZL30rocblas_trmm_outofplace_kernelI19rocblas_complex_numIfELi32ELi2ELb1ELb0ELb1ELb1EPKS1_S2_S1_Ev17rocblas_diagonal_iiT6_lPT7_lllS7_lllPT8_llli
	.p2align	8
	.type	_ZL30rocblas_trmm_outofplace_kernelI19rocblas_complex_numIfELi32ELi2ELb1ELb0ELb1ELb1EPKS1_S2_S1_Ev17rocblas_diagonal_iiT6_lPT7_lllS7_lllPT8_llli,@function
_ZL30rocblas_trmm_outofplace_kernelI19rocblas_complex_numIfELi32ELi2ELb1ELb0ELb1ELb1EPKS1_S2_S1_Ev17rocblas_diagonal_iiT6_lPT7_lllS7_lllPT8_llli: ; @_ZL30rocblas_trmm_outofplace_kernelI19rocblas_complex_numIfELi32ELi2ELb1ELb0ELb1ELb1EPKS1_S2_S1_Ev17rocblas_diagonal_iiT6_lPT7_lllS7_lllPT8_llli
; %bb.0:
	s_load_b512 s[16:31], s[0:1], 0x10
	s_waitcnt lgkmcnt(0)
	s_mul_i32 s2, s15, s19
	s_mul_hi_u32 s3, s15, s18
	s_delay_alu instid0(SALU_CYCLE_1) | instskip(SKIP_1) | instid1(SALU_CYCLE_1)
	s_add_i32 s3, s3, s2
	s_mul_i32 s2, s15, s18
	s_lshl_b64 s[2:3], s[2:3], 3
	s_delay_alu instid0(SALU_CYCLE_1) | instskip(SKIP_4) | instid1(SALU_CYCLE_1)
	s_add_u32 s2, s16, s2
	s_addc_u32 s3, s17, s3
	s_load_b64 s[34:35], s[2:3], 0x0
	s_waitcnt lgkmcnt(0)
	s_or_b32 s2, s34, s35
	s_bitset0_b32 s2, 31
	s_delay_alu instid0(SALU_CYCLE_1)
	s_cmp_eq_u32 s2, 0
	s_cbranch_scc1 .LBB80_63
; %bb.1:
	s_load_b128 s[8:11], s[0:1], 0x0
	s_waitcnt lgkmcnt(0)
	s_add_i32 s2, s10, -1
	s_delay_alu instid0(SALU_CYCLE_1) | instskip(NEXT) | instid1(SALU_CYCLE_1)
	s_ashr_i32 s3, s2, 31
	s_lshr_b32 s3, s3, 27
	s_delay_alu instid0(SALU_CYCLE_1) | instskip(NEXT) | instid1(SALU_CYCLE_1)
	s_add_i32 s2, s2, s3
	s_ashr_i32 s11, s2, 5
	s_delay_alu instid0(SALU_CYCLE_1)
	s_cmp_gt_i32 s14, s11
	s_cbranch_scc1 .LBB80_63
; %bb.2:
	s_clause 0x1
	s_load_b128 s[16:19], s[0:1], 0x70
	s_load_b256 s[36:43], s[0:1], 0x50
	s_mul_i32 s3, s15, s27
	s_mul_hi_u32 s4, s15, s26
	s_mul_i32 s2, s15, s26
	s_add_i32 s3, s4, s3
	s_load_b32 s26, s[0:1], 0x8c
	s_lshl_b64 s[4:5], s[2:3], 3
	v_bfe_u32 v30, v0, 10, 10
	s_add_u32 s2, s20, s4
	s_addc_u32 s3, s21, s5
	s_lshl_b64 s[6:7], s[22:23], 3
	v_dual_mov_b32 v25, 0 :: v_dual_and_b32 v0, 0x3ff, v0
	s_add_u32 s2, s2, s6
	s_addc_u32 s3, s3, s7
	v_dual_mov_b32 v24, 1.0 :: v_dual_lshlrev_b32 v1, 8, v30
	s_delay_alu instid0(VALU_DEP_2)
	v_lshlrev_b32_e32 v31, 3, v0
	s_waitcnt lgkmcnt(0)
	s_mul_i32 s1, s15, s19
	s_mul_hi_u32 s12, s15, s18
	s_mul_i32 s0, s15, s18
	s_add_i32 s1, s12, s1
	v_add_nc_u32_e32 v32, v31, v1
	s_lshl_b64 s[0:1], s[0:1], 3
	v_add_nc_u32_e32 v33, 0x2000, v1
	s_add_u32 s12, s40, s0
	s_addc_u32 s18, s41, s1
	s_lshl_b64 s[0:1], s[42:43], 3
	s_delay_alu instid0(SALU_CYCLE_1)
	s_add_u32 s27, s12, s0
	s_addc_u32 s33, s18, s1
	s_lshl_b32 s0, s13, 5
	s_mov_b32 s12, s9
	v_add_nc_u32_e32 v4, s0, v0
	v_add_nc_u32_e32 v6, s0, v30
	s_sub_i32 s40, s9, s0
	v_add_nc_u32_e32 v34, v33, v31
	s_cmp_gt_i32 s40, 0
	v_ashrrev_i32_e32 v5, 31, v4
	v_mul_lo_u32 v2, v4, s25
	v_mad_u64_u32 v[0:1], null, v4, s24, 0
	v_ashrrev_i32_e32 v7, 31, v6
	s_delay_alu instid0(VALU_DEP_4)
	v_mul_lo_u32 v3, v5, s24
	v_add_co_u32 v10, vcc_lo, v4, 16
	v_add_co_ci_u32_e32 v11, vcc_lo, 0, v5, vcc_lo
	v_lshlrev_b64 v[12:13], 3, v[4:5]
	s_cselect_b32 s41, -1, 0
	s_cmpk_eq_i32 s8, 0x84
	s_delay_alu instid0(VALU_DEP_4)
	v_add3_u32 v1, v1, v2, v3
	v_lshlrev_b64 v[2:3], 3, v[6:7]
	s_cselect_b32 s42, -1, 0
	s_ashr_i32 s13, s9, 31
	s_ashr_i32 s43, s10, 31
	v_lshlrev_b64 v[0:1], 3, v[0:1]
	s_add_u32 s18, s9, -16
	s_addc_u32 s19, s13, -1
	s_add_u32 s4, s6, s4
	s_addc_u32 s5, s7, s5
	s_lshl_b64 s[6:7], s[30:31], 3
	v_add_co_u32 v0, vcc_lo, s2, v0
	v_add_co_ci_u32_e32 v1, vcc_lo, s3, v1, vcc_lo
	v_add_nc_u32_e32 v8, 16, v4
	s_delay_alu instid0(VALU_DEP_3) | instskip(NEXT) | instid1(VALU_DEP_3)
	v_add_co_u32 v35, vcc_lo, v0, v2
	v_add_co_ci_u32_e32 v36, vcc_lo, v1, v3, vcc_lo
	v_add_co_u32 v20, vcc_lo, 0x80, v12
	v_add_co_ci_u32_e32 v21, vcc_lo, 0, v13, vcc_lo
	v_sub_co_u32 v14, vcc_lo, v4, v6
	s_delay_alu instid0(VALU_DEP_3) | instskip(NEXT) | instid1(VALU_DEP_3)
	v_mul_lo_u32 v23, s25, v20
	v_mul_lo_u32 v22, s24, v21
	v_mad_u64_u32 v[0:1], null, s24, v20, s[4:5]
	v_sub_co_ci_u32_e32 v15, vcc_lo, v5, v7, vcc_lo
	v_add_co_u32 v16, vcc_lo, v14, 16
	s_mul_i32 s4, s39, s15
	s_delay_alu instid0(VALU_DEP_2)
	v_add_co_ci_u32_e32 v17, vcc_lo, 0, v15, vcc_lo
	v_add_co_u32 v18, vcc_lo, v14, -16
	v_add3_u32 v1, v23, v1, v22
	s_mul_hi_u32 s5, s38, s15
	v_add_co_ci_u32_e32 v19, vcc_lo, -1, v15, vcc_lo
	s_add_i32 s5, s5, s4
	s_mul_i32 s4, s38, s15
	v_add_co_u32 v0, vcc_lo, v0, v2
	v_add_co_ci_u32_e32 v1, vcc_lo, v1, v3, vcc_lo
	s_lshl_b64 s[4:5], s[4:5], 3
	s_delay_alu instid0(VALU_DEP_2)
	v_add_co_u32 v37, vcc_lo, s20, v0
	s_add_u32 s4, s4, s6
	s_addc_u32 s5, s5, s7
	s_add_u32 s4, s28, s4
	v_add_co_ci_u32_e32 v38, vcc_lo, s21, v1, vcc_lo
	s_addc_u32 s5, s29, s5
	v_add_co_u32 v20, vcc_lo, v20, s4
	v_cmp_le_i64_e64 s1, s[12:13], v[10:11]
	v_cmp_le_i32_e64 s0, s9, v4
	v_cmp_gt_i32_e64 s2, s9, v4
	v_cmp_gt_i32_e64 s3, s9, v8
	v_ashrrev_i32_e32 v9, 31, v8
	v_add_co_ci_u32_e32 v21, vcc_lo, s5, v21, vcc_lo
	v_lshl_add_u32 v22, s14, 5, v30
	s_lshl_b64 s[20:21], s[36:37], 3
	s_lshl_b32 s9, s26, 5
	s_branch .LBB80_4
.LBB80_3:                               ;   in Loop: Header=BB80_4 Depth=1
	s_or_b32 exec_lo, exec_lo, s4
	v_add_nc_u32_e32 v22, s9, v22
	s_add_i32 s14, s26, s14
	s_delay_alu instid0(SALU_CYCLE_1)
	s_cmp_le_i32 s14, s11
	s_cbranch_scc0 .LBB80_63
.LBB80_4:                               ; =>This Loop Header: Depth=1
                                        ;     Child Loop BB80_7 Depth 2
	v_lshl_add_u32 v39, s14, 5, v30
	v_mov_b32_e32 v46, v25
	v_mov_b32_e32 v47, v25
	;; [unrolled: 1-line block ×4, first 2 shown]
	v_ashrrev_i32_e32 v40, 31, v39
	v_mov_b32_e32 v43, v25
	v_mov_b32_e32 v42, v25
	;; [unrolled: 1-line block ×4, first 2 shown]
	s_and_not1_b32 vcc_lo, exec_lo, s41
	s_cbranch_vccnz .LBB80_55
; %bb.5:                                ;   in Loop: Header=BB80_4 Depth=1
	v_ashrrev_i32_e32 v23, 31, v22
	v_mad_u64_u32 v[26:27], null, s20, v22, v[20:21]
	v_mul_lo_u32 v2, s21, v22
	v_mov_b32_e32 v41, 0
	s_delay_alu instid0(VALU_DEP_4) | instskip(SKIP_4) | instid1(VALU_DEP_4)
	v_lshlrev_b64 v[0:1], 3, v[22:23]
	v_mul_lo_u32 v43, s20, v23
	v_dual_mov_b32 v23, 0 :: v_dual_mov_b32 v42, 0
	v_mov_b32_e32 v47, 0
	s_mov_b64 s[22:23], 0
	v_add_co_u32 v3, vcc_lo, 0x80, v0
	v_add_co_ci_u32_e32 v28, vcc_lo, 0, v1, vcc_lo
	v_sub_co_u32 v0, vcc_lo, s10, v39
	s_delay_alu instid0(VALU_DEP_3) | instskip(NEXT) | instid1(VALU_DEP_3)
	v_mul_lo_u32 v45, s37, v3
	v_mul_lo_u32 v44, s36, v28
	v_mad_u64_u32 v[28:29], null, s36, v3, v[20:21]
	v_sub_co_ci_u32_e32 v1, vcc_lo, s43, v40, vcc_lo
	v_add3_u32 v27, v2, v27, v43
	v_dual_mov_b32 v43, 0 :: v_dual_mov_b32 v46, 0
	s_delay_alu instid0(VALU_DEP_3)
	v_cmp_lt_i64_e32 vcc_lo, 0, v[0:1]
	v_cmp_lt_i64_e64 s4, 16, v[0:1]
	v_add3_u32 v29, v45, v29, v44
	v_dual_mov_b32 v45, 0 :: v_dual_mov_b32 v44, 0
	s_mov_b64 s[24:25], 0
	s_branch .LBB80_7
.LBB80_6:                               ;   in Loop: Header=BB80_7 Depth=2
	s_or_b32 exec_lo, exec_lo, s6
	s_waitcnt lgkmcnt(0)
	s_waitcnt_vscnt null, 0x0
	s_barrier
	buffer_gl0_inv
	ds_load_2addr_b64 v[48:51], v31 offset1:16
	ds_load_b128 v[52:55], v33
	ds_load_b128 v[56:59], v33 offset:4096
	ds_load_b128 v[60:63], v33 offset:16
	;; [unrolled: 1-line block ×4, first 2 shown]
	ds_load_2addr_b64 v[68:71], v31 offset0:32 offset1:48
	ds_load_b128 v[72:75], v33 offset:4112
	s_add_u32 s24, s24, 32
	s_addc_u32 s25, s25, 0
	s_add_u32 s22, s22, 0x100
	s_addc_u32 s23, s23, 0
	s_cmp_ge_i32 s24, s40
	s_waitcnt lgkmcnt(6)
	v_dual_mul_f32 v76, v53, v49 :: v_dual_mul_f32 v79, v52, v51
	v_dual_mul_f32 v77, v52, v49 :: v_dual_mul_f32 v78, v53, v51
	s_waitcnt lgkmcnt(5)
	v_mul_f32_e32 v80, v57, v49
	s_delay_alu instid0(VALU_DEP_3)
	v_fma_f32 v76, v52, v48, -v76
	v_mul_f32_e32 v49, v56, v49
	v_fmac_f32_e32 v77, v53, v48
	v_fma_f32 v52, v52, v50, -v78
	v_mul_f32_e32 v81, v57, v51
	v_mul_f32_e32 v51, v56, v51
	v_fmac_f32_e32 v79, v53, v50
	v_fma_f32 v53, v56, v48, -v80
	v_add_f32_e32 v46, v46, v76
	v_fmac_f32_e32 v49, v57, v48
	v_add_f32_e32 v52, v44, v52
	v_fma_f32 v48, v56, v50, -v81
	s_waitcnt lgkmcnt(1)
	v_dual_mul_f32 v56, v55, v69 :: v_dual_fmac_f32 v51, v57, v50
	v_dual_mul_f32 v50, v54, v69 :: v_dual_mul_f32 v57, v55, v71
	s_delay_alu instid0(VALU_DEP_3) | instskip(NEXT) | instid1(VALU_DEP_3)
	v_dual_add_f32 v47, v47, v77 :: v_dual_add_f32 v48, v41, v48
	v_fma_f32 v56, v54, v68, -v56
	s_delay_alu instid0(VALU_DEP_3)
	v_dual_add_f32 v45, v45, v79 :: v_dual_fmac_f32 v50, v55, v68
	v_add_f32_e32 v53, v43, v53
	v_add_f32_e32 v23, v23, v51
	v_mul_f32_e32 v51, v54, v71
	v_add_f32_e32 v56, v46, v56
	v_fma_f32 v46, v54, v70, -v57
	v_mul_f32_e32 v54, v59, v69
	v_dual_add_f32 v49, v42, v49 :: v_dual_add_f32 v50, v47, v50
	ds_load_2addr_b64 v[41:44], v31 offset0:64 offset1:80
	v_fmac_f32_e32 v51, v55, v70
	v_add_f32_e32 v52, v52, v46
	v_fma_f32 v46, v58, v68, -v54
	v_mul_f32_e32 v54, v59, v71
	v_mul_f32_e32 v55, v58, v71
	v_add_f32_e32 v51, v45, v51
	v_mul_f32_e32 v47, v58, v69
	s_delay_alu instid0(VALU_DEP_4) | instskip(NEXT) | instid1(VALU_DEP_4)
	v_fma_f32 v45, v58, v70, -v54
	v_fmac_f32_e32 v55, v59, v70
	s_delay_alu instid0(VALU_DEP_2) | instskip(SKIP_2) | instid1(VALU_DEP_1)
	v_add_f32_e32 v57, v48, v45
	s_waitcnt lgkmcnt(0)
	v_mul_f32_e32 v54, v60, v42
	v_fmac_f32_e32 v54, v61, v41
	s_delay_alu instid0(VALU_DEP_1) | instskip(SKIP_4) | instid1(VALU_DEP_3)
	v_add_f32_e32 v50, v50, v54
	v_add_f32_e32 v53, v53, v46
	v_dual_mul_f32 v46, v61, v42 :: v_dual_add_f32 v23, v23, v55
	v_mul_f32_e32 v54, v73, v42
	v_mul_f32_e32 v42, v72, v42
	v_fma_f32 v58, v60, v41, -v46
	s_delay_alu instid0(VALU_DEP_3) | instskip(NEXT) | instid1(VALU_DEP_2)
	v_fma_f32 v54, v72, v41, -v54
	v_dual_fmac_f32 v42, v73, v41 :: v_dual_add_f32 v55, v56, v58
	v_mul_f32_e32 v56, v60, v44
	v_fmac_f32_e32 v47, v59, v68
	v_mul_f32_e32 v59, v61, v44
	s_delay_alu instid0(VALU_DEP_3) | instskip(NEXT) | instid1(VALU_DEP_2)
	v_fmac_f32_e32 v56, v61, v43
	v_fma_f32 v58, v60, v43, -v59
	s_delay_alu instid0(VALU_DEP_4)
	v_add_f32_e32 v49, v49, v47
	ds_load_2addr_b64 v[45:48], v31 offset0:96 offset1:112
	v_dual_add_f32 v56, v51, v56 :: v_dual_add_f32 v53, v53, v54
	v_add_f32_e32 v52, v52, v58
	v_mul_f32_e32 v58, v73, v44
	v_dual_mul_f32 v59, v72, v44 :: v_dual_add_f32 v54, v49, v42
	s_delay_alu instid0(VALU_DEP_2) | instskip(SKIP_1) | instid1(VALU_DEP_1)
	v_fma_f32 v41, v72, v43, -v58
	s_waitcnt lgkmcnt(0)
	v_dual_add_f32 v57, v57, v41 :: v_dual_mul_f32 v58, v63, v48
	v_mul_f32_e32 v49, v63, v46
	v_mul_f32_e32 v51, v62, v46
	s_delay_alu instid0(VALU_DEP_3) | instskip(SKIP_4) | instid1(VALU_DEP_1)
	v_fma_f32 v58, v62, v47, -v58
	v_fmac_f32_e32 v59, v73, v43
	ds_load_2addr_b64 v[41:44], v31 offset0:128 offset1:144
	v_dual_add_f32 v58, v52, v58 :: v_dual_add_f32 v23, v23, v59
	v_mul_f32_e32 v59, v62, v48
	v_fmac_f32_e32 v59, v63, v47
	s_delay_alu instid0(VALU_DEP_1)
	v_dual_add_f32 v59, v56, v59 :: v_dual_mul_f32 v56, v74, v48
	v_fma_f32 v49, v62, v45, -v49
	v_mul_f32_e32 v62, v75, v48
	s_waitcnt lgkmcnt(0)
	v_mul_f32_e32 v48, v65, v42
	v_fmac_f32_e32 v56, v75, v47
	v_add_f32_e32 v55, v55, v49
	v_mul_f32_e32 v49, v75, v46
	v_dual_mul_f32 v46, v74, v46 :: v_dual_mul_f32 v69, v64, v44
	s_delay_alu instid0(VALU_DEP_2) | instskip(NEXT) | instid1(VALU_DEP_2)
	v_fma_f32 v61, v74, v45, -v49
	v_fmac_f32_e32 v46, v75, v45
	v_fmac_f32_e32 v51, v63, v45
	v_fma_f32 v45, v74, v47, -v62
	s_delay_alu instid0(VALU_DEP_3) | instskip(NEXT) | instid1(VALU_DEP_3)
	v_dual_add_f32 v61, v53, v61 :: v_dual_add_f32 v62, v54, v46
	v_add_f32_e32 v60, v50, v51
	ds_load_b128 v[49:52], v33 offset:4128
	v_fma_f32 v53, v64, v41, -v48
	v_dual_mul_f32 v54, v65, v44 :: v_dual_mul_f32 v63, v64, v42
	v_add_f32_e32 v23, v23, v56
	s_delay_alu instid0(VALU_DEP_3) | instskip(NEXT) | instid1(VALU_DEP_3)
	v_add_f32_e32 v68, v55, v53
	v_fma_f32 v64, v64, v43, -v54
	ds_load_b128 v[53:56], v33 offset:4144
	v_add_f32_e32 v57, v57, v45
	ds_load_2addr_b64 v[45:48], v31 offset0:160 offset1:176
	v_dual_fmac_f32 v69, v65, v43 :: v_dual_add_f32 v58, v58, v64
	s_waitcnt lgkmcnt(2)
	v_mul_f32_e32 v70, v50, v42
	v_mul_f32_e32 v42, v49, v42
	;; [unrolled: 1-line block ×3, first 2 shown]
	s_delay_alu instid0(VALU_DEP_2) | instskip(SKIP_3) | instid1(VALU_DEP_2)
	v_fmac_f32_e32 v42, v50, v41
	v_fmac_f32_e32 v63, v65, v41
	s_waitcnt lgkmcnt(0)
	v_dual_mul_f32 v65, v49, v44 :: v_dual_mul_f32 v44, v67, v46
	v_add_f32_e32 v60, v60, v63
	s_delay_alu instid0(VALU_DEP_2) | instskip(SKIP_4) | instid1(VALU_DEP_4)
	v_fmac_f32_e32 v65, v50, v43
	v_mul_f32_e32 v50, v66, v46
	v_fma_f32 v63, v49, v41, -v70
	v_fma_f32 v41, v49, v43, -v64
	v_mul_f32_e32 v64, v66, v48
	v_dual_add_f32 v49, v62, v42 :: v_dual_fmac_f32 v50, v67, v45
	s_delay_alu instid0(VALU_DEP_4) | instskip(NEXT) | instid1(VALU_DEP_4)
	v_add_f32_e32 v61, v61, v63
	v_add_f32_e32 v57, v57, v41
	v_fma_f32 v62, v66, v45, -v44
	s_delay_alu instid0(VALU_DEP_4) | instskip(SKIP_2) | instid1(VALU_DEP_4)
	v_dual_add_f32 v59, v59, v69 :: v_dual_add_f32 v50, v60, v50
	v_mul_f32_e32 v60, v52, v46
	v_mul_f32_e32 v46, v51, v46
	v_dual_add_f32 v62, v68, v62 :: v_dual_mul_f32 v63, v67, v48
	ds_load_2addr_b64 v[41:44], v31 offset0:192 offset1:208
	v_fmac_f32_e32 v64, v67, v47
	v_fmac_f32_e32 v46, v52, v45
	v_fma_f32 v60, v51, v45, -v60
	v_fma_f32 v63, v66, v47, -v63
	v_add_f32_e32 v23, v23, v65
	v_add_f32_e32 v59, v59, v64
	v_dual_mul_f32 v64, v51, v48 :: v_dual_add_f32 v49, v49, v46
	s_delay_alu instid0(VALU_DEP_4) | instskip(NEXT) | instid1(VALU_DEP_2)
	v_dual_add_f32 v58, v58, v63 :: v_dual_mul_f32 v63, v52, v48
	v_fmac_f32_e32 v64, v52, v47
	s_delay_alu instid0(VALU_DEP_2) | instskip(SKIP_1) | instid1(VALU_DEP_1)
	v_fma_f32 v45, v51, v47, -v63
	s_waitcnt lgkmcnt(0)
	v_dual_add_f32 v52, v57, v45 :: v_dual_mul_f32 v57, v0, v42
	ds_load_2addr_b64 v[45:48], v31 offset0:224 offset1:240
	v_add_f32_e32 v51, v61, v60
	v_mul_f32_e32 v60, v1, v42
	v_mul_f32_e32 v61, v1, v44
	;; [unrolled: 1-line block ×3, first 2 shown]
	s_delay_alu instid0(VALU_DEP_3) | instskip(SKIP_1) | instid1(VALU_DEP_4)
	v_fma_f32 v60, v0, v41, -v60
	v_fmac_f32_e32 v57, v1, v41
	v_fma_f32 v0, v0, v43, -v61
	v_mul_f32_e32 v61, v54, v42
	v_fmac_f32_e32 v63, v1, v43
	v_dual_mul_f32 v1, v53, v42 :: v_dual_mul_f32 v42, v54, v44
	s_delay_alu instid0(VALU_DEP_4) | instskip(NEXT) | instid1(VALU_DEP_4)
	v_add_f32_e32 v58, v58, v0
	v_fma_f32 v0, v53, v41, -v61
	v_mul_f32_e32 v61, v53, v44
	s_delay_alu instid0(VALU_DEP_4)
	v_fmac_f32_e32 v1, v54, v41
	v_fma_f32 v41, v53, v43, -v42
	v_add_f32_e32 v60, v62, v60
	s_waitcnt lgkmcnt(0)
	v_mul_f32_e32 v42, v3, v46
	v_add_f32_e32 v62, v51, v0
	v_dual_add_f32 v53, v52, v41 :: v_dual_add_nc_u32 v0, 0x800, v31
	v_fmac_f32_e32 v61, v54, v43
	s_delay_alu instid0(VALU_DEP_4)
	v_fma_f32 v54, v2, v45, -v42
	v_add_f32_e32 v23, v23, v64
	v_dual_add_f32 v57, v50, v57 :: v_dual_mul_f32 v64, v3, v48
	v_add_f32_e32 v1, v49, v1
	ds_load_2addr_b64 v[41:44], v0 offset1:16
	ds_load_b128 v[49:52], v33 offset:64
	v_dual_add_f32 v54, v60, v54 :: v_dual_add_f32 v23, v23, v61
	v_mul_f32_e32 v61, v2, v48
	v_dual_add_f32 v59, v59, v63 :: v_dual_mul_f32 v60, v56, v46
	s_delay_alu instid0(VALU_DEP_2) | instskip(SKIP_2) | instid1(VALU_DEP_3)
	v_fmac_f32_e32 v61, v3, v47
	v_mul_f32_e32 v63, v2, v46
	v_fma_f32 v2, v2, v47, -v64
	v_add_f32_e32 v66, v59, v61
	s_delay_alu instid0(VALU_DEP_3) | instskip(SKIP_1) | instid1(VALU_DEP_4)
	v_fmac_f32_e32 v63, v3, v45
	v_mul_f32_e32 v3, v55, v46
	v_add_f32_e32 v2, v58, v2
	v_fma_f32 v46, v55, v45, -v60
	s_delay_alu instid0(VALU_DEP_4)
	v_add_f32_e32 v65, v57, v63
	v_mul_f32_e32 v63, v56, v48
	v_fmac_f32_e32 v3, v56, v45
	ds_load_b128 v[57:60], v33 offset:4160
	s_waitcnt lgkmcnt(1)
	v_mul_f32_e32 v70, v49, v44
	v_fma_f32 v45, v55, v47, -v63
	s_delay_alu instid0(VALU_DEP_2) | instskip(NEXT) | instid1(VALU_DEP_2)
	v_dual_mul_f32 v55, v55, v48 :: v_dual_fmac_f32 v70, v50, v43
	v_dual_add_f32 v68, v53, v45 :: v_dual_add_f32 v67, v62, v46
	v_mul_f32_e32 v46, v50, v42
	ds_load_b128 v[61:64], v33 offset:80
	v_dual_fmac_f32 v55, v56, v47 :: v_dual_mul_f32 v56, v50, v44
	v_fma_f32 v53, v49, v41, -v46
	ds_load_2addr_b64 v[45:48], v0 offset0:32 offset1:48
	v_add_f32_e32 v1, v1, v3
	v_mul_f32_e32 v3, v49, v42
	v_fma_f32 v49, v49, v43, -v56
	s_delay_alu instid0(VALU_DEP_2) | instskip(NEXT) | instid1(VALU_DEP_2)
	v_fmac_f32_e32 v3, v50, v41
	v_add_f32_e32 v2, v2, v49
	s_waitcnt lgkmcnt(2)
	v_mul_f32_e32 v49, v58, v44
	s_delay_alu instid0(VALU_DEP_3) | instskip(SKIP_2) | instid1(VALU_DEP_2)
	v_add_f32_e32 v3, v65, v3
	v_mul_f32_e32 v65, v58, v42
	v_dual_mul_f32 v42, v57, v42 :: v_dual_add_f32 v23, v23, v55
	v_fma_f32 v50, v57, v41, -v65
	v_dual_add_f32 v65, v66, v70 :: v_dual_mul_f32 v66, v57, v44
	s_delay_alu instid0(VALU_DEP_3) | instskip(SKIP_1) | instid1(VALU_DEP_4)
	v_fmac_f32_e32 v42, v58, v41
	v_fma_f32 v41, v57, v43, -v49
	v_add_f32_e32 v49, v67, v50
	s_waitcnt lgkmcnt(0)
	v_mul_f32_e32 v44, v52, v46
	v_dual_fmac_f32 v66, v58, v43 :: v_dual_mul_f32 v67, v52, v48
	v_dual_mul_f32 v57, v51, v46 :: v_dual_add_f32 v50, v68, v41
	s_delay_alu instid0(VALU_DEP_3) | instskip(NEXT) | instid1(VALU_DEP_3)
	v_fma_f32 v58, v51, v45, -v44
	v_add_f32_e32 v23, v23, v66
	v_mul_f32_e32 v66, v51, v48
	v_fma_f32 v51, v51, v47, -v67
	v_mul_f32_e32 v67, v60, v46
	v_dual_mul_f32 v46, v59, v46 :: v_dual_fmac_f32 v57, v52, v45
	s_delay_alu instid0(VALU_DEP_4) | instskip(NEXT) | instid1(VALU_DEP_4)
	v_fmac_f32_e32 v66, v52, v47
	v_dual_add_f32 v2, v2, v51 :: v_dual_add_f32 v1, v1, v42
	ds_load_2addr_b64 v[41:44], v0 offset0:64 offset1:80
	v_fma_f32 v51, v59, v45, -v67
	v_fmac_f32_e32 v46, v60, v45
	v_mul_f32_e32 v45, v60, v48
	v_add_f32_e32 v69, v54, v53
	ds_load_b128 v[53:56], v33 offset:4176
	v_add_f32_e32 v3, v3, v57
	v_mul_f32_e32 v57, v59, v48
	v_add_f32_e32 v49, v49, v51
	v_fma_f32 v51, v59, v47, -v45
	v_add_f32_e32 v58, v69, v58
	s_delay_alu instid0(VALU_DEP_4) | instskip(NEXT) | instid1(VALU_DEP_1)
	v_dual_add_f32 v52, v65, v66 :: v_dual_fmac_f32 v57, v60, v47
	v_dual_add_f32 v50, v50, v51 :: v_dual_add_f32 v23, v23, v57
	s_waitcnt lgkmcnt(1)
	v_mul_f32_e32 v59, v62, v42
	v_mul_f32_e32 v65, v61, v44
	;; [unrolled: 1-line block ×3, first 2 shown]
	s_delay_alu instid0(VALU_DEP_3) | instskip(SKIP_1) | instid1(VALU_DEP_4)
	v_fma_f32 v51, v61, v41, -v59
	v_mul_f32_e32 v59, v62, v44
	v_fmac_f32_e32 v65, v62, v43
	s_delay_alu instid0(VALU_DEP_4) | instskip(NEXT) | instid1(VALU_DEP_4)
	v_fmac_f32_e32 v60, v62, v41
	v_add_f32_e32 v57, v58, v51
	s_delay_alu instid0(VALU_DEP_4) | instskip(SKIP_3) | instid1(VALU_DEP_3)
	v_fma_f32 v51, v61, v43, -v59
	s_waitcnt lgkmcnt(0)
	v_dual_mul_f32 v58, v54, v42 :: v_dual_add_f32 v59, v52, v65
	v_mul_f32_e32 v42, v53, v42
	v_dual_add_f32 v2, v2, v51 :: v_dual_add_f32 v1, v1, v46
	ds_load_2addr_b64 v[45:48], v0 offset0:96 offset1:112
	v_fma_f32 v52, v53, v41, -v58
	v_mul_f32_e32 v58, v53, v44
	v_mul_f32_e32 v51, v54, v44
	v_fmac_f32_e32 v42, v54, v41
	s_delay_alu instid0(VALU_DEP_3) | instskip(NEXT) | instid1(VALU_DEP_3)
	v_fmac_f32_e32 v58, v54, v43
	v_fma_f32 v41, v53, v43, -v51
	s_delay_alu instid0(VALU_DEP_1)
	v_dual_add_f32 v23, v23, v58 :: v_dual_add_f32 v54, v50, v41
	s_waitcnt lgkmcnt(0)
	v_mul_f32_e32 v44, v64, v46
	v_mul_f32_e32 v62, v64, v48
	;; [unrolled: 1-line block ×4, first 2 shown]
	s_delay_alu instid0(VALU_DEP_3) | instskip(NEXT) | instid1(VALU_DEP_3)
	v_fma_f32 v62, v63, v47, -v62
	v_dual_fmac_f32 v58, v64, v47 :: v_dual_add_f32 v3, v3, v60
	v_fma_f32 v60, v63, v45, -v44
	s_delay_alu instid0(VALU_DEP_3) | instskip(SKIP_1) | instid1(VALU_DEP_3)
	v_add_f32_e32 v2, v2, v62
	v_dual_mul_f32 v62, v56, v48 :: v_dual_add_f32 v1, v1, v42
	v_add_f32_e32 v65, v57, v60
	v_mul_f32_e32 v57, v56, v46
	v_dual_mul_f32 v46, v55, v46 :: v_dual_add_f32 v53, v49, v52
	ds_load_2addr_b64 v[41:44], v0 offset0:128 offset1:144
	ds_load_b128 v[49:52], v33 offset:96
	v_add_f32_e32 v66, v59, v58
	v_fmac_f32_e32 v46, v56, v45
	s_waitcnt lgkmcnt(0)
	v_mul_f32_e32 v70, v49, v44
	s_delay_alu instid0(VALU_DEP_1) | instskip(NEXT) | instid1(VALU_DEP_1)
	v_dual_mul_f32 v69, v49, v42 :: v_dual_fmac_f32 v70, v50, v43
	v_dual_fmac_f32 v61, v64, v45 :: v_dual_add_f32 v66, v66, v70
	s_delay_alu instid0(VALU_DEP_1)
	v_add_f32_e32 v3, v3, v61
	v_fma_f32 v61, v55, v45, -v57
	ds_load_b128 v[57:60], v33 offset:4192
	v_fma_f32 v45, v55, v47, -v62
	v_add_f32_e32 v67, v53, v61
	ds_load_b128 v[61:64], v33 offset:112
	v_dual_mul_f32 v53, v55, v48 :: v_dual_mul_f32 v48, v50, v42
	v_add_f32_e32 v68, v54, v45
	v_mul_f32_e32 v55, v50, v44
	v_fmac_f32_e32 v69, v50, v41
	s_delay_alu instid0(VALU_DEP_4) | instskip(SKIP_1) | instid1(VALU_DEP_4)
	v_fmac_f32_e32 v53, v56, v47
	v_fma_f32 v54, v49, v41, -v48
	v_fma_f32 v49, v49, v43, -v55
	s_delay_alu instid0(VALU_DEP_4) | instskip(NEXT) | instid1(VALU_DEP_2)
	v_add_f32_e32 v3, v3, v69
	v_add_f32_e32 v2, v2, v49
	s_waitcnt lgkmcnt(1)
	v_mul_f32_e32 v71, v58, v42
	v_mul_f32_e32 v42, v57, v42
	;; [unrolled: 1-line block ×4, first 2 shown]
	s_delay_alu instid0(VALU_DEP_4) | instskip(NEXT) | instid1(VALU_DEP_4)
	v_fma_f32 v49, v57, v41, -v71
	v_dual_fmac_f32 v42, v58, v41 :: v_dual_add_f32 v1, v1, v46
	ds_load_2addr_b64 v[45:48], v0 offset0:160 offset1:176
	v_fma_f32 v41, v57, v43, -v50
	v_fmac_f32_e32 v69, v58, v43
	v_add_f32_e32 v1, v1, v42
	s_delay_alu instid0(VALU_DEP_3) | instskip(SKIP_3) | instid1(VALU_DEP_2)
	v_add_f32_e32 v57, v68, v41
	s_waitcnt lgkmcnt(0)
	v_mul_f32_e32 v44, v52, v46
	v_mul_f32_e32 v50, v51, v46
	v_fma_f32 v58, v51, v45, -v44
	ds_load_2addr_b64 v[41:44], v0 offset0:192 offset1:208
	v_fmac_f32_e32 v50, v52, v45
	s_delay_alu instid0(VALU_DEP_1)
	v_add_f32_e32 v3, v3, v50
	v_mul_f32_e32 v50, v60, v46
	v_add_f32_e32 v65, v65, v54
	v_mul_f32_e32 v46, v59, v46
	;; [unrolled: 2-line block ×3, first 2 shown]
	v_fma_f32 v50, v59, v45, -v50
	v_dual_add_f32 v58, v65, v58 :: v_dual_mul_f32 v65, v51, v48
	v_fmac_f32_e32 v46, v60, v45
	s_delay_alu instid0(VALU_DEP_4) | instskip(NEXT) | instid1(VALU_DEP_4)
	v_fma_f32 v51, v51, v47, -v67
	v_add_f32_e32 v49, v49, v50
	s_waitcnt lgkmcnt(0)
	v_dual_fmac_f32 v65, v52, v47 :: v_dual_mul_f32 v50, v62, v42
	s_delay_alu instid0(VALU_DEP_3) | instskip(NEXT) | instid1(VALU_DEP_2)
	v_dual_add_f32 v2, v2, v51 :: v_dual_mul_f32 v51, v60, v48
	v_dual_add_f32 v1, v1, v46 :: v_dual_add_f32 v52, v66, v65
	v_mul_f32_e32 v65, v59, v48
	s_delay_alu instid0(VALU_DEP_3) | instskip(SKIP_1) | instid1(VALU_DEP_3)
	v_fma_f32 v45, v59, v47, -v51
	v_mul_f32_e32 v59, v61, v44
	v_fmac_f32_e32 v65, v60, v47
	s_delay_alu instid0(VALU_DEP_3) | instskip(SKIP_4) | instid1(VALU_DEP_3)
	v_add_f32_e32 v51, v57, v45
	ds_load_2addr_b64 v[45:48], v0 offset0:224 offset1:240
	v_fma_f32 v0, v61, v41, -v50
	v_dual_mul_f32 v50, v62, v44 :: v_dual_mul_f32 v57, v61, v42
	v_fmac_f32_e32 v59, v62, v43
	v_dual_add_f32 v58, v58, v0 :: v_dual_add_f32 v23, v23, v53
	ds_load_b128 v[53:56], v33 offset:4208
	v_fma_f32 v0, v61, v43, -v50
	v_fmac_f32_e32 v57, v62, v41
	s_delay_alu instid0(VALU_DEP_1) | instskip(SKIP_3) | instid1(VALU_DEP_2)
	v_dual_add_f32 v2, v2, v0 :: v_dual_add_f32 v3, v3, v57
	s_waitcnt lgkmcnt(1)
	v_dual_add_f32 v57, v52, v59 :: v_dual_mul_f32 v60, v63, v46
	v_mul_f32_e32 v62, v64, v48
	v_fmac_f32_e32 v60, v64, v45
	s_waitcnt lgkmcnt(0)
	v_mul_f32_e32 v50, v54, v42
	v_mul_f32_e32 v42, v53, v42
	;; [unrolled: 1-line block ×3, first 2 shown]
	v_add_f32_e32 v23, v23, v69
	s_delay_alu instid0(VALU_DEP_4) | instskip(SKIP_3) | instid1(VALU_DEP_4)
	v_fma_f32 v0, v53, v41, -v50
	v_mul_f32_e32 v50, v54, v44
	v_fmac_f32_e32 v42, v54, v41
	v_dual_mul_f32 v44, v64, v46 :: v_dual_fmac_f32 v59, v54, v43
	v_add_f32_e32 v61, v49, v0
	s_delay_alu instid0(VALU_DEP_4) | instskip(NEXT) | instid1(VALU_DEP_4)
	v_fma_f32 v41, v53, v43, -v50
	v_dual_add_f32 v1, v1, v42 :: v_dual_add_nc_u32 v0, 0x1000, v31
	s_delay_alu instid0(VALU_DEP_4) | instskip(NEXT) | instid1(VALU_DEP_3)
	v_fma_f32 v54, v63, v45, -v44
	v_add_f32_e32 v53, v51, v41
	ds_load_2addr_b64 v[41:44], v0 offset1:16
	ds_load_b128 v[49:52], v33 offset:128
	v_add_f32_e32 v54, v58, v54
	v_fma_f32 v58, v63, v47, -v62
	v_mul_f32_e32 v62, v56, v46
	v_mul_f32_e32 v46, v55, v46
	s_delay_alu instid0(VALU_DEP_3) | instskip(NEXT) | instid1(VALU_DEP_3)
	v_add_f32_e32 v2, v2, v58
	v_fma_f32 v62, v55, v45, -v62
	s_delay_alu instid0(VALU_DEP_3) | instskip(NEXT) | instid1(VALU_DEP_2)
	v_fmac_f32_e32 v46, v56, v45
	v_add_f32_e32 v66, v61, v62
	s_delay_alu instid0(VALU_DEP_2) | instskip(SKIP_2) | instid1(VALU_DEP_1)
	v_add_f32_e32 v1, v1, v46
	s_waitcnt lgkmcnt(0)
	v_dual_mul_f32 v70, v49, v44 :: v_dual_add_f32 v23, v23, v65
	v_dual_mul_f32 v67, v49, v42 :: v_dual_fmac_f32 v70, v50, v43
	s_delay_alu instid0(VALU_DEP_2) | instskip(SKIP_2) | instid1(VALU_DEP_1)
	v_add_f32_e32 v23, v23, v59
	v_mul_f32_e32 v59, v63, v48
	v_mul_f32_e32 v63, v56, v48
	v_fma_f32 v45, v55, v47, -v63
	v_dual_mul_f32 v55, v55, v48 :: v_dual_mul_f32 v48, v50, v42
	s_delay_alu instid0(VALU_DEP_1) | instskip(NEXT) | instid1(VALU_DEP_2)
	v_dual_add_f32 v68, v53, v45 :: v_dual_fmac_f32 v55, v56, v47
	v_fma_f32 v53, v49, v41, -v48
	s_delay_alu instid0(VALU_DEP_2) | instskip(NEXT) | instid1(VALU_DEP_2)
	v_dual_mul_f32 v56, v50, v44 :: v_dual_add_f32 v23, v23, v55
	v_add_f32_e32 v69, v54, v53
	s_delay_alu instid0(VALU_DEP_2)
	v_fma_f32 v49, v49, v43, -v56
	ds_load_b128 v[53:56], v33 offset:4240
	v_fmac_f32_e32 v59, v64, v47
	v_add_f32_e32 v3, v3, v60
	ds_load_2addr_b64 v[45:48], v0 offset0:32 offset1:48
	ds_load_b128 v[61:64], v33 offset:144
	v_fmac_f32_e32 v67, v50, v41
	v_add_f32_e32 v65, v57, v59
	ds_load_b128 v[57:60], v33 offset:4224
	v_dual_add_f32 v2, v2, v49 :: v_dual_add_f32 v3, v3, v67
	v_add_f32_e32 v65, v65, v70
	s_waitcnt lgkmcnt(0)
	v_mul_f32_e32 v67, v58, v42
	v_dual_mul_f32 v42, v57, v42 :: v_dual_mul_f32 v49, v58, v44
	s_delay_alu instid0(VALU_DEP_2) | instskip(NEXT) | instid1(VALU_DEP_2)
	v_fma_f32 v50, v57, v41, -v67
	v_dual_fmac_f32 v42, v58, v41 :: v_dual_mul_f32 v67, v57, v44
	s_delay_alu instid0(VALU_DEP_3) | instskip(SKIP_1) | instid1(VALU_DEP_4)
	v_fma_f32 v41, v57, v43, -v49
	v_mul_f32_e32 v44, v52, v46
	v_add_f32_e32 v49, v66, v50
	s_delay_alu instid0(VALU_DEP_4) | instskip(NEXT) | instid1(VALU_DEP_4)
	v_add_f32_e32 v1, v1, v42
	v_dual_fmac_f32 v67, v58, v43 :: v_dual_add_f32 v50, v68, v41
	s_delay_alu instid0(VALU_DEP_4) | instskip(SKIP_4) | instid1(VALU_DEP_3)
	v_fma_f32 v58, v51, v45, -v44
	ds_load_2addr_b64 v[41:44], v0 offset0:64 offset1:80
	v_dual_mul_f32 v57, v51, v46 :: v_dual_mul_f32 v66, v52, v48
	v_add_f32_e32 v23, v23, v67
	v_dual_mul_f32 v67, v51, v48 :: v_dual_add_f32 v58, v69, v58
	v_fmac_f32_e32 v57, v52, v45
	s_delay_alu instid0(VALU_DEP_4) | instskip(SKIP_1) | instid1(VALU_DEP_4)
	v_fma_f32 v51, v51, v47, -v66
	v_mul_f32_e32 v66, v60, v46
	v_dual_mul_f32 v46, v59, v46 :: v_dual_fmac_f32 v67, v52, v47
	s_delay_alu instid0(VALU_DEP_3) | instskip(NEXT) | instid1(VALU_DEP_3)
	v_dual_add_f32 v3, v3, v57 :: v_dual_add_f32 v2, v2, v51
	v_fma_f32 v51, v59, v45, -v66
	s_delay_alu instid0(VALU_DEP_3) | instskip(SKIP_2) | instid1(VALU_DEP_4)
	v_fmac_f32_e32 v46, v60, v45
	v_mul_f32_e32 v45, v60, v48
	v_dual_mul_f32 v57, v59, v48 :: v_dual_add_f32 v52, v65, v67
	v_add_f32_e32 v49, v49, v51
	s_delay_alu instid0(VALU_DEP_4) | instskip(NEXT) | instid1(VALU_DEP_4)
	v_add_f32_e32 v1, v1, v46
	v_fma_f32 v51, v59, v47, -v45
	s_waitcnt lgkmcnt(0)
	v_mul_f32_e32 v59, v62, v42
	v_fmac_f32_e32 v57, v60, v47
	ds_load_2addr_b64 v[45:48], v0 offset0:96 offset1:112
	v_dual_mul_f32 v65, v61, v44 :: v_dual_add_f32 v50, v50, v51
	v_fma_f32 v51, v61, v41, -v59
	v_mul_f32_e32 v59, v62, v44
	v_dual_add_f32 v23, v23, v57 :: v_dual_mul_f32 v60, v61, v42
	s_delay_alu instid0(VALU_DEP_4) | instskip(NEXT) | instid1(VALU_DEP_4)
	v_fmac_f32_e32 v65, v62, v43
	v_add_f32_e32 v57, v58, v51
	s_delay_alu instid0(VALU_DEP_4) | instskip(SKIP_3) | instid1(VALU_DEP_4)
	v_fma_f32 v51, v61, v43, -v59
	v_mul_f32_e32 v58, v54, v42
	v_mul_f32_e32 v42, v53, v42
	v_fmac_f32_e32 v60, v62, v41
	v_dual_add_f32 v59, v52, v65 :: v_dual_add_f32 v2, v2, v51
	v_mul_f32_e32 v51, v54, v44
	v_fma_f32 v52, v53, v41, -v58
	v_fmac_f32_e32 v42, v54, v41
	v_mul_f32_e32 v58, v53, v44
	v_add_f32_e32 v3, v3, v60
	v_fma_f32 v41, v53, v43, -v51
	s_waitcnt lgkmcnt(0)
	v_dual_mul_f32 v44, v64, v46 :: v_dual_add_f32 v53, v49, v52
	v_dual_add_f32 v1, v1, v42 :: v_dual_fmac_f32 v58, v54, v43
	s_delay_alu instid0(VALU_DEP_3) | instskip(NEXT) | instid1(VALU_DEP_3)
	v_add_f32_e32 v54, v50, v41
	v_fma_f32 v60, v63, v45, -v44
	ds_load_2addr_b64 v[41:44], v0 offset0:128 offset1:144
	ds_load_b128 v[49:52], v33 offset:160
	v_dual_mul_f32 v61, v63, v46 :: v_dual_mul_f32 v62, v64, v48
	v_add_f32_e32 v23, v23, v58
	v_mul_f32_e32 v58, v63, v48
	v_add_f32_e32 v65, v57, v60
	s_delay_alu instid0(VALU_DEP_4) | instskip(SKIP_4) | instid1(VALU_DEP_4)
	v_fmac_f32_e32 v61, v64, v45
	v_fma_f32 v62, v63, v47, -v62
	v_mul_f32_e32 v57, v56, v46
	v_fmac_f32_e32 v58, v64, v47
	v_mul_f32_e32 v46, v55, v46
	v_dual_add_f32 v3, v3, v61 :: v_dual_add_f32 v2, v2, v62
	s_delay_alu instid0(VALU_DEP_4)
	v_fma_f32 v61, v55, v45, -v57
	v_mul_f32_e32 v62, v56, v48
	v_add_f32_e32 v66, v59, v58
	ds_load_b128 v[57:60], v33 offset:4256
	v_fmac_f32_e32 v46, v56, v45
	v_add_f32_e32 v67, v53, v61
	v_fma_f32 v45, v55, v47, -v62
	ds_load_b128 v[61:64], v33 offset:176
	s_waitcnt lgkmcnt(2)
	v_dual_mul_f32 v53, v55, v48 :: v_dual_mul_f32 v48, v50, v42
	v_mul_f32_e32 v55, v50, v44
	v_dual_add_f32 v68, v54, v45 :: v_dual_mul_f32 v69, v49, v42
	s_delay_alu instid0(VALU_DEP_3) | instskip(NEXT) | instid1(VALU_DEP_4)
	v_fmac_f32_e32 v53, v56, v47
	v_fma_f32 v54, v49, v41, -v48
	v_mul_f32_e32 v70, v49, v44
	v_fma_f32 v49, v49, v43, -v55
	v_fmac_f32_e32 v69, v50, v41
	v_add_f32_e32 v23, v23, v53
	v_add_f32_e32 v65, v65, v54
	ds_load_b128 v[53:56], v33 offset:4272
	v_add_f32_e32 v1, v1, v46
	ds_load_2addr_b64 v[45:48], v0 offset0:160 offset1:176
	s_waitcnt lgkmcnt(3)
	v_mul_f32_e32 v71, v58, v42
	v_dual_add_f32 v3, v3, v69 :: v_dual_fmac_f32 v70, v50, v43
	v_mul_f32_e32 v42, v57, v42
	v_add_f32_e32 v2, v2, v49
	s_delay_alu instid0(VALU_DEP_4) | instskip(SKIP_1) | instid1(VALU_DEP_4)
	v_fma_f32 v49, v57, v41, -v71
	v_mul_f32_e32 v50, v58, v44
	v_dual_mul_f32 v69, v57, v44 :: v_dual_fmac_f32 v42, v58, v41
	s_delay_alu instid0(VALU_DEP_3) | instskip(NEXT) | instid1(VALU_DEP_3)
	v_dual_add_f32 v66, v66, v70 :: v_dual_add_f32 v49, v67, v49
	v_fma_f32 v41, v57, v43, -v50
	s_delay_alu instid0(VALU_DEP_3) | instskip(NEXT) | instid1(VALU_DEP_4)
	v_fmac_f32_e32 v69, v58, v43
	v_add_f32_e32 v1, v1, v42
	s_delay_alu instid0(VALU_DEP_3) | instskip(SKIP_3) | instid1(VALU_DEP_2)
	v_add_f32_e32 v57, v68, v41
	s_waitcnt lgkmcnt(0)
	v_mul_f32_e32 v44, v52, v46
	v_dual_mul_f32 v50, v51, v46 :: v_dual_mul_f32 v67, v52, v48
	v_fma_f32 v58, v51, v45, -v44
	ds_load_2addr_b64 v[41:44], v0 offset0:192 offset1:208
	v_fmac_f32_e32 v50, v52, v45
	v_dual_add_f32 v58, v65, v58 :: v_dual_mul_f32 v65, v51, v48
	v_fma_f32 v51, v51, v47, -v67
	s_delay_alu instid0(VALU_DEP_3) | instskip(SKIP_1) | instid1(VALU_DEP_4)
	v_add_f32_e32 v3, v3, v50
	v_mul_f32_e32 v50, v60, v46
	v_dual_mul_f32 v46, v59, v46 :: v_dual_fmac_f32 v65, v52, v47
	s_delay_alu instid0(VALU_DEP_4) | instskip(NEXT) | instid1(VALU_DEP_3)
	v_dual_add_f32 v2, v2, v51 :: v_dual_mul_f32 v51, v60, v48
	v_fma_f32 v50, v59, v45, -v50
	s_delay_alu instid0(VALU_DEP_3) | instskip(NEXT) | instid1(VALU_DEP_4)
	v_fmac_f32_e32 v46, v60, v45
	v_dual_add_f32 v52, v66, v65 :: v_dual_mul_f32 v65, v59, v48
	s_delay_alu instid0(VALU_DEP_4) | instskip(NEXT) | instid1(VALU_DEP_4)
	v_fma_f32 v45, v59, v47, -v51
	v_add_f32_e32 v49, v49, v50
	s_delay_alu instid0(VALU_DEP_4)
	v_add_f32_e32 v1, v1, v46
	s_waitcnt lgkmcnt(0)
	v_dual_mul_f32 v50, v62, v42 :: v_dual_fmac_f32 v65, v60, v47
	v_add_f32_e32 v51, v57, v45
	ds_load_2addr_b64 v[45:48], v0 offset0:224 offset1:240
	v_mul_f32_e32 v57, v61, v42
	v_fma_f32 v0, v61, v41, -v50
	v_mul_f32_e32 v50, v62, v44
	v_mul_f32_e32 v59, v61, v44
	s_delay_alu instid0(VALU_DEP_4) | instskip(NEXT) | instid1(VALU_DEP_4)
	v_fmac_f32_e32 v57, v62, v41
	v_add_f32_e32 v58, v58, v0
	s_delay_alu instid0(VALU_DEP_4) | instskip(SKIP_3) | instid1(VALU_DEP_4)
	v_fma_f32 v0, v61, v43, -v50
	v_mul_f32_e32 v50, v54, v42
	v_fmac_f32_e32 v59, v62, v43
	v_dual_add_f32 v3, v3, v57 :: v_dual_mul_f32 v42, v53, v42
	v_add_f32_e32 v2, v2, v0
	s_delay_alu instid0(VALU_DEP_4) | instskip(NEXT) | instid1(VALU_DEP_4)
	v_fma_f32 v0, v53, v41, -v50
	v_dual_mul_f32 v50, v54, v44 :: v_dual_add_f32 v57, v52, v59
	s_delay_alu instid0(VALU_DEP_4) | instskip(SKIP_1) | instid1(VALU_DEP_3)
	v_dual_mul_f32 v59, v53, v44 :: v_dual_fmac_f32 v42, v54, v41
	s_waitcnt lgkmcnt(0)
	v_dual_add_f32 v61, v49, v0 :: v_dual_mul_f32 v44, v64, v46
	s_delay_alu instid0(VALU_DEP_2) | instskip(SKIP_2) | instid1(VALU_DEP_4)
	v_dual_mul_f32 v62, v64, v48 :: v_dual_fmac_f32 v59, v54, v43
	v_fma_f32 v41, v53, v43, -v50
	v_add_nc_u32_e32 v0, 0x1800, v31
	v_fma_f32 v54, v63, v45, -v44
	v_add_f32_e32 v1, v1, v42
	v_mul_f32_e32 v60, v63, v46
	v_add_f32_e32 v53, v51, v41
	ds_load_2addr_b64 v[41:44], v0 offset1:16
	ds_load_b128 v[49:52], v33 offset:192
	v_add_f32_e32 v54, v58, v54
	v_fma_f32 v58, v63, v47, -v62
	v_fmac_f32_e32 v60, v64, v45
	v_mul_f32_e32 v62, v56, v46
	v_mul_f32_e32 v46, v55, v46
	s_delay_alu instid0(VALU_DEP_4) | instskip(NEXT) | instid1(VALU_DEP_4)
	v_dual_add_f32 v2, v2, v58 :: v_dual_add_f32 v23, v23, v69
	v_add_f32_e32 v3, v3, v60
	s_delay_alu instid0(VALU_DEP_4) | instskip(NEXT) | instid1(VALU_DEP_4)
	v_fma_f32 v62, v55, v45, -v62
	v_fmac_f32_e32 v46, v56, v45
	s_delay_alu instid0(VALU_DEP_2) | instskip(NEXT) | instid1(VALU_DEP_2)
	v_dual_add_f32 v23, v23, v65 :: v_dual_add_f32 v66, v61, v62
	v_add_f32_e32 v1, v1, v46
	s_delay_alu instid0(VALU_DEP_2) | instskip(SKIP_4) | instid1(VALU_DEP_3)
	v_add_f32_e32 v23, v23, v59
	v_mul_f32_e32 v59, v63, v48
	v_mul_f32_e32 v63, v56, v48
	s_waitcnt lgkmcnt(0)
	v_mul_f32_e32 v67, v49, v42
	v_dual_mul_f32 v70, v49, v44 :: v_dual_fmac_f32 v59, v64, v47
	s_delay_alu instid0(VALU_DEP_3) | instskip(SKIP_1) | instid1(VALU_DEP_4)
	v_fma_f32 v45, v55, v47, -v63
	v_dual_mul_f32 v55, v55, v48 :: v_dual_mul_f32 v48, v50, v42
	v_fmac_f32_e32 v67, v50, v41
	s_delay_alu instid0(VALU_DEP_4)
	v_add_f32_e32 v65, v57, v59
	ds_load_b128 v[57:60], v33 offset:4288
	ds_load_b128 v[61:64], v33 offset:208
	v_dual_fmac_f32 v55, v56, v47 :: v_dual_add_f32 v68, v53, v45
	v_fma_f32 v53, v49, v41, -v48
	ds_load_2addr_b64 v[45:48], v0 offset0:32 offset1:48
	v_dual_mul_f32 v56, v50, v44 :: v_dual_add_f32 v3, v3, v67
	v_fmac_f32_e32 v70, v50, v43
	v_add_f32_e32 v23, v23, v55
	v_add_f32_e32 v69, v54, v53
	s_delay_alu instid0(VALU_DEP_4)
	v_fma_f32 v49, v49, v43, -v56
	ds_load_b128 v[53:56], v33 offset:4304
	v_dual_add_f32 v65, v65, v70 :: v_dual_add_f32 v2, v2, v49
	s_waitcnt lgkmcnt(3)
	v_mul_f32_e32 v67, v58, v42
	v_dual_mul_f32 v42, v57, v42 :: v_dual_mul_f32 v49, v58, v44
	s_delay_alu instid0(VALU_DEP_2) | instskip(NEXT) | instid1(VALU_DEP_2)
	v_fma_f32 v50, v57, v41, -v67
	v_dual_fmac_f32 v42, v58, v41 :: v_dual_mul_f32 v67, v57, v44
	s_delay_alu instid0(VALU_DEP_3)
	v_fma_f32 v41, v57, v43, -v49
	s_waitcnt lgkmcnt(1)
	v_mul_f32_e32 v44, v52, v46
	v_add_f32_e32 v49, v66, v50
	v_add_f32_e32 v1, v1, v42
	v_dual_fmac_f32 v67, v58, v43 :: v_dual_add_f32 v50, v68, v41
	s_delay_alu instid0(VALU_DEP_4) | instskip(SKIP_4) | instid1(VALU_DEP_3)
	v_fma_f32 v58, v51, v45, -v44
	ds_load_2addr_b64 v[41:44], v0 offset0:64 offset1:80
	v_dual_mul_f32 v57, v51, v46 :: v_dual_mul_f32 v66, v52, v48
	v_add_f32_e32 v23, v23, v67
	v_dual_mul_f32 v67, v51, v48 :: v_dual_add_f32 v58, v69, v58
	v_fmac_f32_e32 v57, v52, v45
	s_delay_alu instid0(VALU_DEP_4) | instskip(SKIP_1) | instid1(VALU_DEP_4)
	v_fma_f32 v51, v51, v47, -v66
	v_mul_f32_e32 v66, v60, v46
	v_dual_mul_f32 v46, v59, v46 :: v_dual_fmac_f32 v67, v52, v47
	s_delay_alu instid0(VALU_DEP_3) | instskip(NEXT) | instid1(VALU_DEP_3)
	v_dual_add_f32 v3, v3, v57 :: v_dual_add_f32 v2, v2, v51
	v_fma_f32 v51, v59, v45, -v66
	s_delay_alu instid0(VALU_DEP_3) | instskip(SKIP_2) | instid1(VALU_DEP_4)
	v_fmac_f32_e32 v46, v60, v45
	v_mul_f32_e32 v45, v60, v48
	v_dual_mul_f32 v57, v59, v48 :: v_dual_add_f32 v52, v65, v67
	v_add_f32_e32 v49, v49, v51
	s_delay_alu instid0(VALU_DEP_4) | instskip(NEXT) | instid1(VALU_DEP_4)
	v_add_f32_e32 v1, v1, v46
	v_fma_f32 v51, v59, v47, -v45
	s_waitcnt lgkmcnt(0)
	v_mul_f32_e32 v59, v62, v42
	v_fmac_f32_e32 v57, v60, v47
	ds_load_2addr_b64 v[45:48], v0 offset0:96 offset1:112
	v_dual_mul_f32 v65, v61, v44 :: v_dual_add_f32 v50, v50, v51
	v_fma_f32 v51, v61, v41, -v59
	v_mul_f32_e32 v59, v62, v44
	v_dual_add_f32 v23, v23, v57 :: v_dual_mul_f32 v60, v61, v42
	s_delay_alu instid0(VALU_DEP_4) | instskip(NEXT) | instid1(VALU_DEP_4)
	v_fmac_f32_e32 v65, v62, v43
	v_add_f32_e32 v57, v58, v51
	s_delay_alu instid0(VALU_DEP_4) | instskip(SKIP_3) | instid1(VALU_DEP_4)
	v_fma_f32 v51, v61, v43, -v59
	v_mul_f32_e32 v58, v54, v42
	v_mul_f32_e32 v42, v53, v42
	v_fmac_f32_e32 v60, v62, v41
	v_dual_add_f32 v59, v52, v65 :: v_dual_add_f32 v2, v2, v51
	v_mul_f32_e32 v51, v54, v44
	v_fma_f32 v52, v53, v41, -v58
	v_fmac_f32_e32 v42, v54, v41
	v_mul_f32_e32 v58, v53, v44
	v_add_f32_e32 v3, v3, v60
	v_fma_f32 v41, v53, v43, -v51
	s_waitcnt lgkmcnt(0)
	v_dual_mul_f32 v44, v64, v46 :: v_dual_add_f32 v53, v49, v52
	v_dual_add_f32 v1, v1, v42 :: v_dual_fmac_f32 v58, v54, v43
	s_delay_alu instid0(VALU_DEP_3) | instskip(NEXT) | instid1(VALU_DEP_3)
	v_add_f32_e32 v54, v50, v41
	v_fma_f32 v60, v63, v45, -v44
	ds_load_2addr_b64 v[41:44], v0 offset0:128 offset1:144
	ds_load_b128 v[49:52], v33 offset:224
	v_dual_mul_f32 v61, v63, v46 :: v_dual_mul_f32 v62, v64, v48
	v_add_f32_e32 v23, v23, v58
	v_mul_f32_e32 v58, v63, v48
	v_add_f32_e32 v65, v57, v60
	s_delay_alu instid0(VALU_DEP_4) | instskip(SKIP_4) | instid1(VALU_DEP_4)
	v_fmac_f32_e32 v61, v64, v45
	v_fma_f32 v62, v63, v47, -v62
	v_mul_f32_e32 v57, v56, v46
	v_fmac_f32_e32 v58, v64, v47
	v_mul_f32_e32 v46, v55, v46
	v_dual_add_f32 v3, v3, v61 :: v_dual_add_f32 v2, v2, v62
	s_delay_alu instid0(VALU_DEP_4)
	v_fma_f32 v61, v55, v45, -v57
	v_mul_f32_e32 v62, v56, v48
	v_add_f32_e32 v66, v59, v58
	ds_load_b128 v[57:60], v33 offset:4320
	v_fmac_f32_e32 v46, v56, v45
	v_add_f32_e32 v67, v53, v61
	v_mul_f32_e32 v53, v55, v48
	v_fma_f32 v45, v55, v47, -v62
	ds_load_b128 v[61:64], v33 offset:240
	s_waitcnt lgkmcnt(2)
	v_mul_f32_e32 v48, v50, v42
	v_add_f32_e32 v1, v1, v46
	v_dual_fmac_f32 v53, v56, v47 :: v_dual_add_f32 v68, v54, v45
	v_mul_f32_e32 v69, v49, v42
	s_delay_alu instid0(VALU_DEP_4)
	v_fma_f32 v54, v49, v41, -v48
	ds_load_2addr_b64 v[45:48], v0 offset0:160 offset1:176
	v_mul_f32_e32 v55, v50, v44
	v_dual_mul_f32 v70, v49, v44 :: v_dual_fmac_f32 v69, v50, v41
	v_add_f32_e32 v65, v65, v54
	v_add_f32_e32 v23, v23, v53
	s_delay_alu instid0(VALU_DEP_4) | instskip(NEXT) | instid1(VALU_DEP_4)
	v_fma_f32 v49, v49, v43, -v55
	v_fmac_f32_e32 v70, v50, v43
	s_waitcnt lgkmcnt(2)
	v_mul_f32_e32 v71, v58, v42
	v_mul_f32_e32 v42, v57, v42
	v_dual_mul_f32 v50, v58, v44 :: v_dual_add_f32 v3, v3, v69
	v_add_f32_e32 v2, v2, v49
	s_delay_alu instid0(VALU_DEP_4) | instskip(NEXT) | instid1(VALU_DEP_4)
	v_fma_f32 v49, v57, v41, -v71
	v_dual_fmac_f32 v42, v58, v41 :: v_dual_mul_f32 v69, v57, v44
	s_delay_alu instid0(VALU_DEP_4)
	v_fma_f32 v41, v57, v43, -v50
	ds_load_b128 v[53:56], v33 offset:4336
	v_add_f32_e32 v49, v67, v49
	v_add_f32_e32 v1, v1, v42
	s_waitcnt lgkmcnt(1)
	v_dual_mul_f32 v44, v52, v46 :: v_dual_fmac_f32 v69, v58, v43
	v_dual_mul_f32 v50, v51, v46 :: v_dual_add_f32 v57, v68, v41
	v_mul_f32_e32 v67, v52, v48
	s_delay_alu instid0(VALU_DEP_3)
	v_fma_f32 v58, v51, v45, -v44
	ds_load_2addr_b64 v[41:44], v0 offset0:192 offset1:208
	v_fmac_f32_e32 v50, v52, v45
	v_dual_add_f32 v23, v23, v69 :: v_dual_add_f32 v66, v66, v70
	v_dual_add_f32 v58, v65, v58 :: v_dual_mul_f32 v65, v51, v48
	v_fma_f32 v51, v51, v47, -v67
	s_delay_alu instid0(VALU_DEP_4) | instskip(SKIP_1) | instid1(VALU_DEP_4)
	v_add_f32_e32 v50, v3, v50
	v_mul_f32_e32 v3, v60, v46
	v_dual_mul_f32 v46, v59, v46 :: v_dual_fmac_f32 v65, v52, v47
	s_delay_alu instid0(VALU_DEP_4) | instskip(NEXT) | instid1(VALU_DEP_3)
	v_dual_add_f32 v51, v2, v51 :: v_dual_mul_f32 v2, v60, v48
	v_fma_f32 v3, v59, v45, -v3
	s_delay_alu instid0(VALU_DEP_3) | instskip(NEXT) | instid1(VALU_DEP_4)
	v_fmac_f32_e32 v46, v60, v45
	v_dual_mul_f32 v48, v59, v48 :: v_dual_add_f32 v45, v66, v65
	s_delay_alu instid0(VALU_DEP_4) | instskip(NEXT) | instid1(VALU_DEP_4)
	v_fma_f32 v2, v59, v47, -v2
	v_add_f32_e32 v49, v49, v3
	s_delay_alu instid0(VALU_DEP_4)
	v_add_f32_e32 v46, v1, v46
	s_waitcnt lgkmcnt(0)
	v_mul_f32_e32 v52, v62, v42
	v_dual_fmac_f32 v48, v60, v47 :: v_dual_add_f32 v47, v57, v2
	ds_load_2addr_b64 v[0:3], v0 offset0:224 offset1:240
	v_mul_f32_e32 v57, v61, v42
	v_fma_f32 v52, v61, v41, -v52
	v_add_f32_e32 v23, v23, v48
	v_mul_f32_e32 v48, v62, v44
	v_mul_f32_e32 v59, v61, v44
	v_fmac_f32_e32 v57, v62, v41
	v_add_f32_e32 v52, v58, v52
	v_mul_f32_e32 v58, v54, v42
	v_fma_f32 v48, v61, v43, -v48
	v_mul_f32_e32 v42, v53, v42
	v_add_f32_e32 v50, v50, v57
	v_fmac_f32_e32 v59, v62, v43
	v_fma_f32 v57, v53, v41, -v58
	v_add_f32_e32 v48, v51, v48
	v_mul_f32_e32 v51, v54, v44
	v_fmac_f32_e32 v42, v54, v41
	v_mul_f32_e32 v44, v53, v44
	v_add_f32_e32 v41, v49, v57
	v_add_f32_e32 v45, v45, v59
	v_fma_f32 v49, v53, v43, -v51
	s_waitcnt lgkmcnt(0)
	v_mul_f32_e32 v51, v64, v1
	v_dual_mul_f32 v53, v63, v1 :: v_dual_fmac_f32 v44, v54, v43
	s_delay_alu instid0(VALU_DEP_3) | instskip(NEXT) | instid1(VALU_DEP_3)
	v_dual_add_f32 v42, v46, v42 :: v_dual_add_f32 v49, v47, v49
	v_fma_f32 v43, v63, v0, -v51
	s_delay_alu instid0(VALU_DEP_3) | instskip(SKIP_2) | instid1(VALU_DEP_4)
	v_fmac_f32_e32 v53, v64, v0
	v_mul_f32_e32 v51, v64, v3
	v_mul_f32_e32 v54, v63, v3
	v_dual_add_f32 v23, v23, v44 :: v_dual_add_f32 v46, v52, v43
	s_delay_alu instid0(VALU_DEP_4) | instskip(NEXT) | instid1(VALU_DEP_4)
	v_add_f32_e32 v47, v50, v53
	v_fma_f32 v43, v63, v2, -v51
	v_mul_f32_e32 v50, v56, v1
	v_mul_f32_e32 v1, v55, v1
	;; [unrolled: 1-line block ×3, first 2 shown]
	v_dual_mul_f32 v3, v55, v3 :: v_dual_fmac_f32 v54, v64, v2
	v_add_f32_e32 v44, v48, v43
	v_fma_f32 v43, v55, v0, -v50
	v_fmac_f32_e32 v1, v56, v0
	v_fma_f32 v0, v55, v2, -v51
	v_fmac_f32_e32 v3, v56, v2
	v_add_f32_e32 v45, v45, v54
	s_delay_alu instid0(VALU_DEP_4) | instskip(NEXT) | instid1(VALU_DEP_4)
	v_dual_add_f32 v43, v41, v43 :: v_dual_add_f32 v42, v42, v1
	v_add_f32_e32 v41, v49, v0
	s_delay_alu instid0(VALU_DEP_4)
	v_add_f32_e32 v23, v23, v3
	s_barrier
	buffer_gl0_inv
	s_cbranch_scc1 .LBB80_55
.LBB80_7:                               ;   Parent Loop BB80_4 Depth=1
                                        ; =>  This Inner Loop Header: Depth=2
	v_add_co_u32 v2, s5, v6, s24
	s_delay_alu instid0(VALU_DEP_1) | instskip(SKIP_1) | instid1(VALU_DEP_2)
	v_add_co_ci_u32_e64 v3, s5, s25, v7, s5
	v_cmp_eq_u64_e64 s7, s[24:25], v[14:15]
	v_cmp_le_i64_e64 s6, s[12:13], v[2:3]
	v_cmp_lt_i64_e64 s5, v[2:3], v[4:5]
	s_delay_alu instid0(VALU_DEP_3) | instskip(NEXT) | instid1(VALU_DEP_1)
	s_and_b32 s28, s42, s7
	s_or_b32 s7, s6, s5
	s_delay_alu instid0(SALU_CYCLE_1) | instskip(SKIP_1) | instid1(VALU_DEP_1)
	s_or_b32 s8, s7, s28
	v_add_co_u32 v0, s7, v35, s22
	v_add_co_ci_u32_e64 v1, s7, s23, v36, s7
	s_or_b32 s7, s0, s8
	s_delay_alu instid0(SALU_CYCLE_1) | instskip(NEXT) | instid1(SALU_CYCLE_1)
	s_xor_b32 s7, s7, -1
	s_and_saveexec_b32 s8, s7
	s_delay_alu instid0(SALU_CYCLE_1)
	s_xor_b32 s7, exec_lo, s8
	s_cbranch_execz .LBB80_9
; %bb.8:                                ;   in Loop: Header=BB80_7 Depth=2
	global_load_b64 v[48:49], v[0:1], off
	s_waitcnt vmcnt(0)
	v_xor_b32_e32 v49, 0x80000000, v49
	ds_store_b64 v32, v[48:49]
.LBB80_9:                               ;   in Loop: Header=BB80_7 Depth=2
	s_or_saveexec_b32 s7, s7
	s_xor_b32 s15, s28, -1
	s_xor_b32 exec_lo, exec_lo, s7
	s_cbranch_execz .LBB80_15
; %bb.10:                               ;   in Loop: Header=BB80_7 Depth=2
	s_and_saveexec_b32 s8, s15
	s_delay_alu instid0(SALU_CYCLE_1)
	s_xor_b32 s8, exec_lo, s8
	s_cbranch_execz .LBB80_12
; %bb.11:                               ;   in Loop: Header=BB80_7 Depth=2
	v_mov_b32_e32 v48, v25
	v_mov_b32_e32 v49, v25
	ds_store_b64 v32, v[48:49]
.LBB80_12:                              ;   in Loop: Header=BB80_7 Depth=2
	s_and_not1_saveexec_b32 s8, s8
	s_cbranch_execz .LBB80_14
; %bb.13:                               ;   in Loop: Header=BB80_7 Depth=2
	ds_store_b64 v32, v[24:25]
.LBB80_14:                              ;   in Loop: Header=BB80_7 Depth=2
	s_or_b32 exec_lo, exec_lo, s8
.LBB80_15:                              ;   in Loop: Header=BB80_7 Depth=2
	s_delay_alu instid0(SALU_CYCLE_1) | instskip(SKIP_2) | instid1(VALU_DEP_2)
	s_or_b32 exec_lo, exec_lo, s7
	v_cmp_eq_u64_e64 s7, s[24:25], v[16:17]
	v_cmp_gt_i64_e64 s8, v[10:11], v[2:3]
	s_and_b32 s7, s42, s7
	s_delay_alu instid0(VALU_DEP_1) | instskip(NEXT) | instid1(SALU_CYCLE_1)
	s_or_b32 s6, s6, s8
	s_or_b32 s6, s6, s7
	s_delay_alu instid0(SALU_CYCLE_1) | instskip(NEXT) | instid1(SALU_CYCLE_1)
	s_or_b32 s6, s1, s6
	s_xor_b32 s6, s6, -1
	s_delay_alu instid0(SALU_CYCLE_1) | instskip(NEXT) | instid1(SALU_CYCLE_1)
	s_and_saveexec_b32 s8, s6
	s_xor_b32 s8, exec_lo, s8
	s_cbranch_execz .LBB80_17
; %bb.16:                               ;   in Loop: Header=BB80_7 Depth=2
	v_add_co_u32 v48, s6, v37, s22
	s_delay_alu instid0(VALU_DEP_1)
	v_add_co_ci_u32_e64 v49, s6, s23, v38, s6
	global_load_b64 v[48:49], v[48:49], off
	s_waitcnt vmcnt(0)
	v_xor_b32_e32 v49, 0x80000000, v49
	ds_store_b64 v32, v[48:49] offset:128
.LBB80_17:                              ;   in Loop: Header=BB80_7 Depth=2
	s_and_not1_saveexec_b32 s6, s8
	s_cbranch_execz .LBB80_23
; %bb.18:                               ;   in Loop: Header=BB80_7 Depth=2
	s_xor_b32 s7, s7, -1
	s_delay_alu instid0(SALU_CYCLE_1) | instskip(NEXT) | instid1(SALU_CYCLE_1)
	s_and_saveexec_b32 s8, s7
	s_xor_b32 s7, exec_lo, s8
	s_cbranch_execz .LBB80_20
; %bb.19:                               ;   in Loop: Header=BB80_7 Depth=2
	v_mov_b32_e32 v48, v25
	v_mov_b32_e32 v49, v25
	ds_store_b64 v32, v[48:49] offset:128
.LBB80_20:                              ;   in Loop: Header=BB80_7 Depth=2
	s_and_not1_saveexec_b32 s7, s7
	s_cbranch_execz .LBB80_22
; %bb.21:                               ;   in Loop: Header=BB80_7 Depth=2
	ds_store_b64 v32, v[24:25] offset:128
.LBB80_22:                              ;   in Loop: Header=BB80_7 Depth=2
	s_or_b32 exec_lo, exec_lo, s7
.LBB80_23:                              ;   in Loop: Header=BB80_7 Depth=2
	s_delay_alu instid0(SALU_CYCLE_1) | instskip(SKIP_1) | instid1(VALU_DEP_1)
	s_or_b32 exec_lo, exec_lo, s6
	v_add_co_u32 v2, s6, v2, 16
	v_add_co_ci_u32_e64 v3, s6, 0, v3, s6
	v_cmp_eq_u64_e64 s7, s[24:25], v[18:19]
	s_delay_alu instid0(VALU_DEP_2) | instskip(SKIP_1) | instid1(VALU_DEP_3)
	v_cmp_le_i64_e64 s6, s[12:13], v[2:3]
	v_cmp_lt_i64_e64 s8, v[2:3], v[4:5]
	s_and_b32 s29, s42, s7
	s_delay_alu instid0(VALU_DEP_1) | instskip(NEXT) | instid1(SALU_CYCLE_1)
	s_or_b32 s7, s6, s8
	s_or_b32 s7, s7, s29
	s_delay_alu instid0(SALU_CYCLE_1) | instskip(NEXT) | instid1(SALU_CYCLE_1)
	s_or_b32 s7, s0, s7
	s_xor_b32 s7, s7, -1
	s_delay_alu instid0(SALU_CYCLE_1) | instskip(NEXT) | instid1(SALU_CYCLE_1)
	s_and_saveexec_b32 s8, s7
	s_xor_b32 s7, exec_lo, s8
	s_cbranch_execz .LBB80_25
; %bb.24:                               ;   in Loop: Header=BB80_7 Depth=2
	global_load_b64 v[0:1], v[0:1], off offset:128
	s_waitcnt vmcnt(0)
	v_xor_b32_e32 v1, 0x80000000, v1
	ds_store_b64 v32, v[0:1] offset:4096
.LBB80_25:                              ;   in Loop: Header=BB80_7 Depth=2
	s_and_not1_saveexec_b32 s7, s7
	s_cbranch_execz .LBB80_31
; %bb.26:                               ;   in Loop: Header=BB80_7 Depth=2
	s_xor_b32 s8, s29, -1
	s_delay_alu instid0(SALU_CYCLE_1) | instskip(NEXT) | instid1(SALU_CYCLE_1)
	s_and_saveexec_b32 s29, s8
	s_xor_b32 s8, exec_lo, s29
	s_cbranch_execz .LBB80_28
; %bb.27:                               ;   in Loop: Header=BB80_7 Depth=2
	v_mov_b32_e32 v0, v25
	v_mov_b32_e32 v1, v25
	ds_store_b64 v32, v[0:1] offset:4096
.LBB80_28:                              ;   in Loop: Header=BB80_7 Depth=2
	s_and_not1_saveexec_b32 s8, s8
	s_cbranch_execz .LBB80_30
; %bb.29:                               ;   in Loop: Header=BB80_7 Depth=2
	ds_store_b64 v32, v[24:25] offset:4096
.LBB80_30:                              ;   in Loop: Header=BB80_7 Depth=2
	s_or_b32 exec_lo, exec_lo, s8
.LBB80_31:                              ;   in Loop: Header=BB80_7 Depth=2
	s_delay_alu instid0(SALU_CYCLE_1) | instskip(SKIP_1) | instid1(SALU_CYCLE_1)
	s_or_b32 exec_lo, exec_lo, s7
	s_or_b32 s5, s6, s5
	s_or_b32 s5, s5, s28
	s_delay_alu instid0(SALU_CYCLE_1) | instskip(NEXT) | instid1(SALU_CYCLE_1)
	s_or_b32 s5, s1, s5
	s_xor_b32 s5, s5, -1
	s_delay_alu instid0(SALU_CYCLE_1) | instskip(NEXT) | instid1(SALU_CYCLE_1)
	s_and_saveexec_b32 s6, s5
	s_xor_b32 s6, exec_lo, s6
	s_cbranch_execz .LBB80_33
; %bb.32:                               ;   in Loop: Header=BB80_7 Depth=2
	v_add_co_u32 v0, s5, v37, s22
	s_delay_alu instid0(VALU_DEP_1)
	v_add_co_ci_u32_e64 v1, s5, s23, v38, s5
	global_load_b64 v[0:1], v[0:1], off offset:128
	s_waitcnt vmcnt(0)
	v_xor_b32_e32 v1, 0x80000000, v1
	ds_store_b64 v32, v[0:1] offset:4224
.LBB80_33:                              ;   in Loop: Header=BB80_7 Depth=2
	s_and_not1_saveexec_b32 s5, s6
	s_cbranch_execz .LBB80_39
; %bb.34:                               ;   in Loop: Header=BB80_7 Depth=2
	s_and_saveexec_b32 s6, s15
	s_delay_alu instid0(SALU_CYCLE_1)
	s_xor_b32 s6, exec_lo, s6
	s_cbranch_execz .LBB80_36
; %bb.35:                               ;   in Loop: Header=BB80_7 Depth=2
	v_mov_b32_e32 v0, v25
	v_mov_b32_e32 v1, v25
	ds_store_b64 v32, v[0:1] offset:4224
.LBB80_36:                              ;   in Loop: Header=BB80_7 Depth=2
	s_and_not1_saveexec_b32 s6, s6
	s_cbranch_execz .LBB80_38
; %bb.37:                               ;   in Loop: Header=BB80_7 Depth=2
	ds_store_b64 v32, v[24:25] offset:4224
.LBB80_38:                              ;   in Loop: Header=BB80_7 Depth=2
	s_or_b32 exec_lo, exec_lo, s6
.LBB80_39:                              ;   in Loop: Header=BB80_7 Depth=2
	s_delay_alu instid0(SALU_CYCLE_1) | instskip(SKIP_1) | instid1(VALU_DEP_1)
	s_or_b32 exec_lo, exec_lo, s5
	v_add_co_u32 v0, s5, v4, s24
	v_add_co_ci_u32_e64 v1, s5, s25, v5, s5
	s_delay_alu instid0(VALU_DEP_1) | instskip(NEXT) | instid1(VALU_DEP_1)
	v_cmp_gt_i64_e64 s5, s[12:13], v[0:1]
	s_and_b32 s6, vcc_lo, s5
	s_delay_alu instid0(SALU_CYCLE_1) | instskip(NEXT) | instid1(SALU_CYCLE_1)
	s_xor_b32 s6, s6, -1
	s_and_saveexec_b32 s7, s6
	s_delay_alu instid0(SALU_CYCLE_1)
	s_xor_b32 s6, exec_lo, s7
	s_cbranch_execz .LBB80_41
; %bb.40:                               ;   in Loop: Header=BB80_7 Depth=2
	v_mov_b32_e32 v2, v25
	v_mov_b32_e32 v3, v25
	ds_store_b64 v34, v[2:3]
.LBB80_41:                              ;   in Loop: Header=BB80_7 Depth=2
	s_or_saveexec_b32 s7, s6
	v_add_co_u32 v2, s6, v26, s22
	s_delay_alu instid0(VALU_DEP_1)
	v_add_co_ci_u32_e64 v3, s6, s23, v27, s6
	s_xor_b32 exec_lo, exec_lo, s7
	s_cbranch_execz .LBB80_43
; %bb.42:                               ;   in Loop: Header=BB80_7 Depth=2
	global_load_b64 v[48:49], v[2:3], off offset:-128
	s_waitcnt vmcnt(0)
	ds_store_b64 v34, v[48:49]
.LBB80_43:                              ;   in Loop: Header=BB80_7 Depth=2
	s_or_b32 exec_lo, exec_lo, s7
	v_cmp_gt_i64_e64 s6, s[18:19], v[0:1]
	s_delay_alu instid0(VALU_DEP_1) | instskip(NEXT) | instid1(SALU_CYCLE_1)
	s_and_b32 s7, vcc_lo, s6
	s_xor_b32 s7, s7, -1
	s_delay_alu instid0(SALU_CYCLE_1) | instskip(NEXT) | instid1(SALU_CYCLE_1)
	s_and_saveexec_b32 s8, s7
	s_xor_b32 s7, exec_lo, s8
	s_cbranch_execz .LBB80_45
; %bb.44:                               ;   in Loop: Header=BB80_7 Depth=2
	v_mov_b32_e32 v0, v25
	v_mov_b32_e32 v1, v25
                                        ; implicit-def: $vgpr2_vgpr3
	ds_store_b64 v34, v[0:1] offset:128
.LBB80_45:                              ;   in Loop: Header=BB80_7 Depth=2
	s_and_not1_saveexec_b32 s7, s7
	s_cbranch_execz .LBB80_47
; %bb.46:                               ;   in Loop: Header=BB80_7 Depth=2
	global_load_b64 v[0:1], v[2:3], off
	s_waitcnt vmcnt(0)
	ds_store_b64 v34, v[0:1] offset:128
.LBB80_47:                              ;   in Loop: Header=BB80_7 Depth=2
	s_or_b32 exec_lo, exec_lo, s7
	s_and_b32 s5, s4, s5
	s_delay_alu instid0(SALU_CYCLE_1) | instskip(NEXT) | instid1(SALU_CYCLE_1)
	s_xor_b32 s5, s5, -1
	s_and_saveexec_b32 s7, s5
	s_delay_alu instid0(SALU_CYCLE_1)
	s_xor_b32 s5, exec_lo, s7
	s_cbranch_execz .LBB80_49
; %bb.48:                               ;   in Loop: Header=BB80_7 Depth=2
	v_mov_b32_e32 v0, v25
	v_mov_b32_e32 v1, v25
	ds_store_b64 v34, v[0:1] offset:4096
.LBB80_49:                              ;   in Loop: Header=BB80_7 Depth=2
	s_and_not1_saveexec_b32 s7, s5
	s_cbranch_execz .LBB80_51
; %bb.50:                               ;   in Loop: Header=BB80_7 Depth=2
	v_add_co_u32 v0, s5, v28, s22
	s_delay_alu instid0(VALU_DEP_1)
	v_add_co_ci_u32_e64 v1, s5, s23, v29, s5
	global_load_b64 v[0:1], v[0:1], off offset:-128
	s_waitcnt vmcnt(0)
	ds_store_b64 v34, v[0:1] offset:4096
.LBB80_51:                              ;   in Loop: Header=BB80_7 Depth=2
	s_or_b32 exec_lo, exec_lo, s7
	s_and_b32 s5, s4, s6
	s_delay_alu instid0(SALU_CYCLE_1) | instskip(NEXT) | instid1(SALU_CYCLE_1)
	s_xor_b32 s5, s5, -1
	s_and_saveexec_b32 s6, s5
	s_delay_alu instid0(SALU_CYCLE_1)
	s_xor_b32 s5, exec_lo, s6
	s_cbranch_execz .LBB80_53
; %bb.52:                               ;   in Loop: Header=BB80_7 Depth=2
	v_mov_b32_e32 v0, v25
	v_mov_b32_e32 v1, v25
	ds_store_b64 v34, v[0:1] offset:4224
.LBB80_53:                              ;   in Loop: Header=BB80_7 Depth=2
	s_and_not1_saveexec_b32 s6, s5
	s_cbranch_execz .LBB80_6
; %bb.54:                               ;   in Loop: Header=BB80_7 Depth=2
	v_add_co_u32 v0, s5, v28, s22
	s_delay_alu instid0(VALU_DEP_1)
	v_add_co_ci_u32_e64 v1, s5, s23, v29, s5
	global_load_b64 v[0:1], v[0:1], off
	s_waitcnt vmcnt(0)
	ds_store_b64 v34, v[0:1] offset:4224
	s_branch .LBB80_6
.LBB80_55:                              ;   in Loop: Header=BB80_4 Depth=1
	v_mul_lo_u32 v2, v40, s16
	v_mul_lo_u32 v3, v39, s17
	v_mad_u64_u32 v[0:1], null, v39, s16, 0
	v_cmp_gt_i32_e32 vcc_lo, s10, v39
	s_delay_alu instid0(VALU_DEP_2) | instskip(NEXT) | instid1(VALU_DEP_1)
	v_add3_u32 v1, v1, v3, v2
	v_lshlrev_b64 v[0:1], 3, v[0:1]
	s_delay_alu instid0(VALU_DEP_1) | instskip(NEXT) | instid1(VALU_DEP_1)
	v_add_co_u32 v0, s4, s27, v0
	v_add_co_ci_u32_e64 v1, s4, s33, v1, s4
	s_and_b32 s4, s2, vcc_lo
	s_delay_alu instid0(SALU_CYCLE_1)
	s_and_saveexec_b32 s5, s4
	s_cbranch_execz .LBB80_57
; %bb.56:                               ;   in Loop: Header=BB80_4 Depth=1
	v_add_co_u32 v2, s4, v0, v12
	s_delay_alu instid0(VALU_DEP_1) | instskip(SKIP_2) | instid1(VALU_DEP_1)
	v_add_co_ci_u32_e64 v3, s4, v1, v13, s4
	global_load_b64 v[26:27], v[2:3], off
	v_mul_f32_e32 v29, s34, v47
	v_dual_mul_f32 v28, s35, v47 :: v_dual_fmac_f32 v29, s35, v46
	s_delay_alu instid0(VALU_DEP_1) | instskip(SKIP_1) | instid1(VALU_DEP_1)
	v_fma_f32 v28, v46, s34, -v28
	s_waitcnt vmcnt(0)
	v_dual_add_f32 v26, v26, v28 :: v_dual_add_f32 v27, v27, v29
	global_store_b64 v[2:3], v[26:27], off
.LBB80_57:                              ;   in Loop: Header=BB80_4 Depth=1
	s_or_b32 exec_lo, exec_lo, s5
	s_and_b32 s5, s3, vcc_lo
	s_delay_alu instid0(SALU_CYCLE_1)
	s_and_saveexec_b32 s4, s5
	s_cbranch_execz .LBB80_59
; %bb.58:                               ;   in Loop: Header=BB80_4 Depth=1
	v_lshlrev_b64 v[2:3], 3, v[8:9]
	s_delay_alu instid0(VALU_DEP_1) | instskip(NEXT) | instid1(VALU_DEP_2)
	v_add_co_u32 v0, vcc_lo, v0, v2
	v_add_co_ci_u32_e32 v1, vcc_lo, v1, v3, vcc_lo
	global_load_b64 v[2:3], v[0:1], off
	v_mul_f32_e32 v27, s34, v45
	s_delay_alu instid0(VALU_DEP_1) | instskip(NEXT) | instid1(VALU_DEP_1)
	v_dual_mul_f32 v26, s35, v45 :: v_dual_fmac_f32 v27, s35, v44
	v_fma_f32 v26, v44, s34, -v26
	s_waitcnt vmcnt(0)
	s_delay_alu instid0(VALU_DEP_1)
	v_dual_add_f32 v2, v2, v26 :: v_dual_add_f32 v3, v3, v27
	global_store_b64 v[0:1], v[2:3], off
.LBB80_59:                              ;   in Loop: Header=BB80_4 Depth=1
	s_or_b32 exec_lo, exec_lo, s4
	v_add_nc_u32_e32 v2, 16, v39
	s_delay_alu instid0(VALU_DEP_1) | instskip(SKIP_3) | instid1(VALU_DEP_4)
	v_ashrrev_i32_e32 v3, 31, v2
	v_mul_lo_u32 v26, v2, s17
	v_mad_u64_u32 v[0:1], null, v2, s16, 0
	v_cmp_gt_i32_e32 vcc_lo, s10, v2
	v_mul_lo_u32 v3, v3, s16
	s_delay_alu instid0(VALU_DEP_1) | instskip(NEXT) | instid1(VALU_DEP_1)
	v_add3_u32 v1, v1, v26, v3
	v_lshlrev_b64 v[0:1], 3, v[0:1]
	s_delay_alu instid0(VALU_DEP_1) | instskip(NEXT) | instid1(VALU_DEP_1)
	v_add_co_u32 v0, s4, s27, v0
	v_add_co_ci_u32_e64 v1, s4, s33, v1, s4
	s_and_b32 s4, s2, vcc_lo
	s_delay_alu instid0(SALU_CYCLE_1)
	s_and_saveexec_b32 s5, s4
	s_cbranch_execz .LBB80_61
; %bb.60:                               ;   in Loop: Header=BB80_4 Depth=1
	v_add_co_u32 v2, s4, v0, v12
	s_delay_alu instid0(VALU_DEP_1) | instskip(SKIP_2) | instid1(VALU_DEP_1)
	v_add_co_ci_u32_e64 v3, s4, v1, v13, s4
	global_load_b64 v[26:27], v[2:3], off
	v_mul_f32_e32 v29, s34, v42
	v_dual_mul_f32 v28, s35, v42 :: v_dual_fmac_f32 v29, s35, v43
	s_delay_alu instid0(VALU_DEP_1) | instskip(SKIP_1) | instid1(VALU_DEP_1)
	v_fma_f32 v28, v43, s34, -v28
	s_waitcnt vmcnt(0)
	v_dual_add_f32 v26, v26, v28 :: v_dual_add_f32 v27, v27, v29
	global_store_b64 v[2:3], v[26:27], off
.LBB80_61:                              ;   in Loop: Header=BB80_4 Depth=1
	s_or_b32 exec_lo, exec_lo, s5
	s_and_b32 s5, s3, vcc_lo
	s_delay_alu instid0(SALU_CYCLE_1)
	s_and_saveexec_b32 s4, s5
	s_cbranch_execz .LBB80_3
; %bb.62:                               ;   in Loop: Header=BB80_4 Depth=1
	v_lshlrev_b64 v[2:3], 3, v[8:9]
	v_mul_f32_e32 v26, s35, v23
	s_delay_alu instid0(VALU_DEP_2) | instskip(NEXT) | instid1(VALU_DEP_3)
	v_add_co_u32 v0, vcc_lo, v0, v2
	v_add_co_ci_u32_e32 v1, vcc_lo, v1, v3, vcc_lo
	global_load_b64 v[2:3], v[0:1], off
	v_mul_f32_e32 v23, s34, v23
	s_delay_alu instid0(VALU_DEP_1) | instskip(SKIP_2) | instid1(VALU_DEP_1)
	v_fmac_f32_e32 v23, s35, v41
	v_fma_f32 v26, v41, s34, -v26
	s_waitcnt vmcnt(0)
	v_dual_add_f32 v2, v2, v26 :: v_dual_add_f32 v3, v3, v23
	global_store_b64 v[0:1], v[2:3], off
	s_branch .LBB80_3
.LBB80_63:
	s_nop 0
	s_sendmsg sendmsg(MSG_DEALLOC_VGPRS)
	s_endpgm
	.section	.rodata,"a",@progbits
	.p2align	6, 0x0
	.amdhsa_kernel _ZL30rocblas_trmm_outofplace_kernelI19rocblas_complex_numIfELi32ELi2ELb1ELb0ELb1ELb1EPKS1_S2_S1_Ev17rocblas_diagonal_iiT6_lPT7_lllS7_lllPT8_llli
		.amdhsa_group_segment_fixed_size 16384
		.amdhsa_private_segment_fixed_size 0
		.amdhsa_kernarg_size 392
		.amdhsa_user_sgpr_count 13
		.amdhsa_user_sgpr_dispatch_ptr 0
		.amdhsa_user_sgpr_queue_ptr 0
		.amdhsa_user_sgpr_kernarg_segment_ptr 1
		.amdhsa_user_sgpr_dispatch_id 0
		.amdhsa_user_sgpr_private_segment_size 0
		.amdhsa_wavefront_size32 1
		.amdhsa_uses_dynamic_stack 0
		.amdhsa_enable_private_segment 0
		.amdhsa_system_sgpr_workgroup_id_x 1
		.amdhsa_system_sgpr_workgroup_id_y 1
		.amdhsa_system_sgpr_workgroup_id_z 1
		.amdhsa_system_sgpr_workgroup_info 0
		.amdhsa_system_vgpr_workitem_id 1
		.amdhsa_next_free_vgpr 82
		.amdhsa_next_free_sgpr 44
		.amdhsa_reserve_vcc 1
		.amdhsa_float_round_mode_32 0
		.amdhsa_float_round_mode_16_64 0
		.amdhsa_float_denorm_mode_32 3
		.amdhsa_float_denorm_mode_16_64 3
		.amdhsa_dx10_clamp 1
		.amdhsa_ieee_mode 1
		.amdhsa_fp16_overflow 0
		.amdhsa_workgroup_processor_mode 1
		.amdhsa_memory_ordered 1
		.amdhsa_forward_progress 0
		.amdhsa_shared_vgpr_count 0
		.amdhsa_exception_fp_ieee_invalid_op 0
		.amdhsa_exception_fp_denorm_src 0
		.amdhsa_exception_fp_ieee_div_zero 0
		.amdhsa_exception_fp_ieee_overflow 0
		.amdhsa_exception_fp_ieee_underflow 0
		.amdhsa_exception_fp_ieee_inexact 0
		.amdhsa_exception_int_div_zero 0
	.end_amdhsa_kernel
	.section	.text._ZL30rocblas_trmm_outofplace_kernelI19rocblas_complex_numIfELi32ELi2ELb1ELb0ELb1ELb1EPKS1_S2_S1_Ev17rocblas_diagonal_iiT6_lPT7_lllS7_lllPT8_llli,"axG",@progbits,_ZL30rocblas_trmm_outofplace_kernelI19rocblas_complex_numIfELi32ELi2ELb1ELb0ELb1ELb1EPKS1_S2_S1_Ev17rocblas_diagonal_iiT6_lPT7_lllS7_lllPT8_llli,comdat
.Lfunc_end80:
	.size	_ZL30rocblas_trmm_outofplace_kernelI19rocblas_complex_numIfELi32ELi2ELb1ELb0ELb1ELb1EPKS1_S2_S1_Ev17rocblas_diagonal_iiT6_lPT7_lllS7_lllPT8_llli, .Lfunc_end80-_ZL30rocblas_trmm_outofplace_kernelI19rocblas_complex_numIfELi32ELi2ELb1ELb0ELb1ELb1EPKS1_S2_S1_Ev17rocblas_diagonal_iiT6_lPT7_lllS7_lllPT8_llli
                                        ; -- End function
	.section	.AMDGPU.csdata,"",@progbits
; Kernel info:
; codeLenInByte = 7480
; NumSgprs: 46
; NumVgprs: 82
; ScratchSize: 0
; MemoryBound: 0
; FloatMode: 240
; IeeeMode: 1
; LDSByteSize: 16384 bytes/workgroup (compile time only)
; SGPRBlocks: 5
; VGPRBlocks: 10
; NumSGPRsForWavesPerEU: 46
; NumVGPRsForWavesPerEU: 82
; Occupancy: 16
; WaveLimiterHint : 0
; COMPUTE_PGM_RSRC2:SCRATCH_EN: 0
; COMPUTE_PGM_RSRC2:USER_SGPR: 13
; COMPUTE_PGM_RSRC2:TRAP_HANDLER: 0
; COMPUTE_PGM_RSRC2:TGID_X_EN: 1
; COMPUTE_PGM_RSRC2:TGID_Y_EN: 1
; COMPUTE_PGM_RSRC2:TGID_Z_EN: 1
; COMPUTE_PGM_RSRC2:TIDIG_COMP_CNT: 1
	.section	.text._ZL30rocblas_trmm_outofplace_kernelI19rocblas_complex_numIfELi32ELi2ELb1ELb0ELb1ELb1ES1_KS1_S1_Ev17rocblas_diagonal_iiT6_lPT7_lllS6_lllPT8_llli,"axG",@progbits,_ZL30rocblas_trmm_outofplace_kernelI19rocblas_complex_numIfELi32ELi2ELb1ELb0ELb1ELb1ES1_KS1_S1_Ev17rocblas_diagonal_iiT6_lPT7_lllS6_lllPT8_llli,comdat
	.globl	_ZL30rocblas_trmm_outofplace_kernelI19rocblas_complex_numIfELi32ELi2ELb1ELb0ELb1ELb1ES1_KS1_S1_Ev17rocblas_diagonal_iiT6_lPT7_lllS6_lllPT8_llli ; -- Begin function _ZL30rocblas_trmm_outofplace_kernelI19rocblas_complex_numIfELi32ELi2ELb1ELb0ELb1ELb1ES1_KS1_S1_Ev17rocblas_diagonal_iiT6_lPT7_lllS6_lllPT8_llli
	.p2align	8
	.type	_ZL30rocblas_trmm_outofplace_kernelI19rocblas_complex_numIfELi32ELi2ELb1ELb0ELb1ELb1ES1_KS1_S1_Ev17rocblas_diagonal_iiT6_lPT7_lllS6_lllPT8_llli,@function
_ZL30rocblas_trmm_outofplace_kernelI19rocblas_complex_numIfELi32ELi2ELb1ELb0ELb1ELb1ES1_KS1_S1_Ev17rocblas_diagonal_iiT6_lPT7_lllS6_lllPT8_llli: ; @_ZL30rocblas_trmm_outofplace_kernelI19rocblas_complex_numIfELi32ELi2ELb1ELb0ELb1ELb1ES1_KS1_S1_Ev17rocblas_diagonal_iiT6_lPT7_lllS6_lllPT8_llli
; %bb.0:
	s_clause 0x1
	s_load_b128 s[8:11], s[0:1], 0x0
	s_load_b32 s33, s[0:1], 0x10
	s_waitcnt lgkmcnt(0)
	s_or_b32 s2, s11, s33
	s_delay_alu instid0(SALU_CYCLE_1) | instskip(NEXT) | instid1(SALU_CYCLE_1)
	s_bitset0_b32 s2, 31
	s_cmp_eq_u32 s2, 0
	s_cbranch_scc1 .LBB81_63
; %bb.1:
	s_add_i32 s2, s10, -1
	s_delay_alu instid0(SALU_CYCLE_1) | instskip(NEXT) | instid1(SALU_CYCLE_1)
	s_ashr_i32 s3, s2, 31
	s_lshr_b32 s3, s3, 27
	s_delay_alu instid0(SALU_CYCLE_1) | instskip(NEXT) | instid1(SALU_CYCLE_1)
	s_add_i32 s2, s2, s3
	s_ashr_i32 s34, s2, 5
	s_delay_alu instid0(SALU_CYCLE_1)
	s_cmp_gt_i32 s14, s34
	s_cbranch_scc1 .LBB81_63
; %bb.2:
	s_clause 0x1
	s_load_b512 s[16:31], s[0:1], 0x20
	s_load_b256 s[36:43], s[0:1], 0x60
	v_bfe_u32 v30, v0, 10, 10
	v_dual_mov_b32 v25, 0 :: v_dual_and_b32 v0, 0x3ff, v0
	s_mov_b32 s12, s9
	s_delay_alu instid0(VALU_DEP_2) | instskip(NEXT) | instid1(VALU_DEP_2)
	v_dual_mov_b32 v24, 1.0 :: v_dual_lshlrev_b32 v1, 8, v30
	v_lshlrev_b32_e32 v31, 3, v0
	s_delay_alu instid0(VALU_DEP_2) | instskip(NEXT) | instid1(VALU_DEP_2)
	v_add_nc_u32_e32 v33, 0x2000, v1
	v_add_nc_u32_e32 v32, v31, v1
	s_delay_alu instid0(VALU_DEP_2)
	v_add_nc_u32_e32 v34, v33, v31
	s_waitcnt lgkmcnt(0)
	s_mul_i32 s3, s15, s23
	s_mul_hi_u32 s4, s15, s22
	s_mul_i32 s2, s15, s22
	s_add_i32 s3, s4, s3
	s_mul_i32 s22, s15, s43
	s_lshl_b64 s[4:5], s[2:3], 3
	s_mul_hi_u32 s3, s15, s42
	s_add_u32 s23, s16, s4
	s_addc_u32 s35, s17, s5
	s_lshl_b64 s[6:7], s[18:19], 3
	s_mul_i32 s2, s15, s42
	s_add_u32 s23, s23, s6
	s_addc_u32 s44, s35, s7
	s_add_i32 s3, s3, s22
	s_load_b32 s35, s[0:1], 0x8c
	s_lshl_b64 s[2:3], s[2:3], 3
	s_delay_alu instid0(SALU_CYCLE_1) | instskip(SKIP_2) | instid1(SALU_CYCLE_1)
	s_add_u32 s2, s36, s2
	s_addc_u32 s3, s37, s3
	s_lshl_b64 s[0:1], s[38:39], 3
	s_add_u32 s36, s2, s0
	s_addc_u32 s37, s3, s1
	s_lshl_b32 s0, s13, 5
	s_delay_alu instid0(SALU_CYCLE_1) | instskip(SKIP_2) | instid1(SALU_CYCLE_1)
	v_add_nc_u32_e32 v6, s0, v0
	v_add_nc_u32_e32 v4, s0, v30
	s_sub_i32 s38, s9, s0
	s_cmp_gt_i32 s38, 0
	s_delay_alu instid0(VALU_DEP_2) | instskip(SKIP_3) | instid1(VALU_DEP_4)
	v_ashrrev_i32_e32 v7, 31, v6
	v_mul_lo_u32 v9, v6, s21
	v_mad_u64_u32 v[0:1], null, v6, s20, 0
	v_ashrrev_i32_e32 v5, 31, v4
	v_mul_lo_u32 v10, v7, s20
	v_lshlrev_b64 v[12:13], 3, v[6:7]
	s_cselect_b32 s39, -1, 0
	s_cmpk_eq_i32 s8, 0x84
	v_lshlrev_b64 v[2:3], 3, v[4:5]
	s_cselect_b32 s42, -1, 0
	s_ashr_i32 s13, s9, 31
	s_ashr_i32 s43, s10, 31
	v_add3_u32 v1, v1, v9, v10
	v_add_co_u32 v10, vcc_lo, v6, 16
	v_add_co_ci_u32_e32 v11, vcc_lo, 0, v7, vcc_lo
	s_delay_alu instid0(VALU_DEP_3)
	v_lshlrev_b64 v[0:1], 3, v[0:1]
	s_add_u32 s18, s9, -16
	s_addc_u32 s19, s13, -1
	s_add_u32 s4, s6, s4
	s_addc_u32 s5, s7, s5
	s_lshl_b64 s[6:7], s[26:27], 3
	v_add_co_u32 v0, vcc_lo, s23, v0
	v_add_co_ci_u32_e32 v1, vcc_lo, s44, v1, vcc_lo
	v_add_co_u32 v20, vcc_lo, 0x80, v12
	v_add_co_ci_u32_e32 v21, vcc_lo, 0, v13, vcc_lo
	s_delay_alu instid0(VALU_DEP_4) | instskip(NEXT) | instid1(VALU_DEP_4)
	v_add_co_u32 v35, vcc_lo, v0, v2
	v_add_co_ci_u32_e32 v36, vcc_lo, v1, v3, vcc_lo
	v_sub_co_u32 v14, vcc_lo, v6, v4
	s_delay_alu instid0(VALU_DEP_4)
	v_mul_lo_u32 v22, s20, v21
	v_mul_lo_u32 v23, s21, v20
	v_mad_u64_u32 v[0:1], null, s20, v20, s[4:5]
	v_sub_co_ci_u32_e32 v15, vcc_lo, v7, v5, vcc_lo
	v_add_co_u32 v16, vcc_lo, v14, 16
	s_mul_i32 s4, s31, s15
	s_delay_alu instid0(VALU_DEP_2)
	v_add_co_ci_u32_e32 v17, vcc_lo, 0, v15, vcc_lo
	v_add_co_u32 v18, vcc_lo, v14, -16
	v_add3_u32 v1, v23, v1, v22
	s_mul_hi_u32 s5, s30, s15
	v_add_co_ci_u32_e32 v19, vcc_lo, -1, v15, vcc_lo
	s_add_i32 s5, s5, s4
	s_mul_i32 s4, s30, s15
	v_add_co_u32 v0, vcc_lo, v0, v2
	v_add_co_ci_u32_e32 v1, vcc_lo, v1, v3, vcc_lo
	s_lshl_b64 s[4:5], s[4:5], 3
	v_add_nc_u32_e32 v8, 16, v6
	s_add_u32 s4, s4, s6
	v_add_co_u32 v37, vcc_lo, s16, v0
	s_addc_u32 s5, s5, s7
	s_add_u32 s4, s24, s4
	v_add_co_ci_u32_e32 v38, vcc_lo, s17, v1, vcc_lo
	s_addc_u32 s5, s25, s5
	v_add_co_u32 v20, vcc_lo, v20, s4
	v_cmp_le_i64_e64 s3, s[12:13], v[10:11]
	v_cmp_le_i32_e64 s0, s9, v6
	v_cmp_gt_i32_e64 s1, s9, v6
	v_cmp_gt_i32_e64 s2, s9, v8
	v_ashrrev_i32_e32 v9, 31, v8
	v_add_co_ci_u32_e32 v21, vcc_lo, s5, v21, vcc_lo
	v_lshl_add_u32 v22, s14, 5, v30
	s_mov_b32 s9, s10
	s_lshl_b64 s[16:17], s[28:29], 3
	s_waitcnt lgkmcnt(0)
	s_lshl_b32 s15, s35, 5
	s_branch .LBB81_4
.LBB81_3:                               ;   in Loop: Header=BB81_4 Depth=1
	s_or_b32 exec_lo, exec_lo, s4
	v_add_nc_u32_e32 v22, s15, v22
	s_add_i32 s14, s35, s14
	s_delay_alu instid0(SALU_CYCLE_1)
	s_cmp_le_i32 s14, s34
	s_cbranch_scc0 .LBB81_63
.LBB81_4:                               ; =>This Loop Header: Depth=1
                                        ;     Child Loop BB81_7 Depth 2
	v_lshl_add_u32 v39, s14, 5, v30
	v_mov_b32_e32 v46, v25
	v_mov_b32_e32 v47, v25
	;; [unrolled: 1-line block ×4, first 2 shown]
	v_ashrrev_i32_e32 v40, 31, v39
	v_mov_b32_e32 v43, v25
	v_mov_b32_e32 v42, v25
	;; [unrolled: 1-line block ×4, first 2 shown]
	s_and_not1_b32 vcc_lo, exec_lo, s39
	s_cbranch_vccnz .LBB81_55
; %bb.5:                                ;   in Loop: Header=BB81_4 Depth=1
	v_ashrrev_i32_e32 v23, 31, v22
	v_mad_u64_u32 v[26:27], null, s16, v22, v[20:21]
	v_mul_lo_u32 v2, s17, v22
	v_mov_b32_e32 v41, 0
	s_delay_alu instid0(VALU_DEP_4) | instskip(SKIP_4) | instid1(VALU_DEP_4)
	v_lshlrev_b64 v[0:1], 3, v[22:23]
	v_mul_lo_u32 v43, s16, v23
	v_dual_mov_b32 v23, 0 :: v_dual_mov_b32 v42, 0
	v_mov_b32_e32 v47, 0
	s_mov_b64 s[20:21], 0
	v_add_co_u32 v3, vcc_lo, 0x80, v0
	v_add_co_ci_u32_e32 v28, vcc_lo, 0, v1, vcc_lo
	v_sub_co_u32 v0, vcc_lo, s9, v39
	s_delay_alu instid0(VALU_DEP_3) | instskip(NEXT) | instid1(VALU_DEP_3)
	v_mul_lo_u32 v45, s29, v3
	v_mul_lo_u32 v44, s28, v28
	v_mad_u64_u32 v[28:29], null, s28, v3, v[20:21]
	v_sub_co_ci_u32_e32 v1, vcc_lo, s43, v40, vcc_lo
	v_add3_u32 v27, v2, v27, v43
	v_dual_mov_b32 v43, 0 :: v_dual_mov_b32 v46, 0
	s_delay_alu instid0(VALU_DEP_3)
	v_cmp_lt_i64_e32 vcc_lo, 0, v[0:1]
	v_cmp_lt_i64_e64 s4, 16, v[0:1]
	v_add3_u32 v29, v45, v29, v44
	v_dual_mov_b32 v45, 0 :: v_dual_mov_b32 v44, 0
	s_mov_b64 s[22:23], 0
	s_branch .LBB81_7
.LBB81_6:                               ;   in Loop: Header=BB81_7 Depth=2
	s_or_b32 exec_lo, exec_lo, s6
	s_waitcnt lgkmcnt(0)
	s_waitcnt_vscnt null, 0x0
	s_barrier
	buffer_gl0_inv
	ds_load_2addr_b64 v[48:51], v31 offset1:16
	ds_load_b128 v[52:55], v33
	ds_load_b128 v[56:59], v33 offset:4096
	ds_load_b128 v[60:63], v33 offset:16
	;; [unrolled: 1-line block ×4, first 2 shown]
	ds_load_2addr_b64 v[68:71], v31 offset0:32 offset1:48
	ds_load_b128 v[72:75], v33 offset:4112
	s_add_u32 s22, s22, 32
	s_addc_u32 s23, s23, 0
	s_add_u32 s20, s20, 0x100
	s_addc_u32 s21, s21, 0
	s_cmp_ge_i32 s22, s38
	s_waitcnt lgkmcnt(6)
	v_dual_mul_f32 v76, v53, v49 :: v_dual_mul_f32 v79, v52, v51
	v_dual_mul_f32 v77, v52, v49 :: v_dual_mul_f32 v78, v53, v51
	s_waitcnt lgkmcnt(5)
	v_mul_f32_e32 v80, v57, v49
	s_delay_alu instid0(VALU_DEP_3)
	v_fma_f32 v76, v52, v48, -v76
	v_mul_f32_e32 v49, v56, v49
	v_fmac_f32_e32 v77, v53, v48
	v_fma_f32 v52, v52, v50, -v78
	v_mul_f32_e32 v81, v57, v51
	v_mul_f32_e32 v51, v56, v51
	v_fmac_f32_e32 v79, v53, v50
	v_fma_f32 v53, v56, v48, -v80
	v_add_f32_e32 v46, v46, v76
	v_fmac_f32_e32 v49, v57, v48
	v_add_f32_e32 v52, v44, v52
	v_fma_f32 v48, v56, v50, -v81
	s_waitcnt lgkmcnt(1)
	v_dual_mul_f32 v56, v55, v69 :: v_dual_fmac_f32 v51, v57, v50
	v_dual_mul_f32 v50, v54, v69 :: v_dual_mul_f32 v57, v55, v71
	s_delay_alu instid0(VALU_DEP_3) | instskip(NEXT) | instid1(VALU_DEP_3)
	v_dual_add_f32 v47, v47, v77 :: v_dual_add_f32 v48, v41, v48
	v_fma_f32 v56, v54, v68, -v56
	s_delay_alu instid0(VALU_DEP_3)
	v_dual_add_f32 v45, v45, v79 :: v_dual_fmac_f32 v50, v55, v68
	v_add_f32_e32 v53, v43, v53
	v_add_f32_e32 v23, v23, v51
	v_mul_f32_e32 v51, v54, v71
	v_add_f32_e32 v56, v46, v56
	v_fma_f32 v46, v54, v70, -v57
	v_mul_f32_e32 v54, v59, v69
	v_dual_add_f32 v49, v42, v49 :: v_dual_add_f32 v50, v47, v50
	ds_load_2addr_b64 v[41:44], v31 offset0:64 offset1:80
	v_fmac_f32_e32 v51, v55, v70
	v_add_f32_e32 v52, v52, v46
	v_fma_f32 v46, v58, v68, -v54
	v_mul_f32_e32 v54, v59, v71
	v_mul_f32_e32 v55, v58, v71
	v_add_f32_e32 v51, v45, v51
	v_mul_f32_e32 v47, v58, v69
	s_delay_alu instid0(VALU_DEP_4) | instskip(NEXT) | instid1(VALU_DEP_4)
	v_fma_f32 v45, v58, v70, -v54
	v_fmac_f32_e32 v55, v59, v70
	s_delay_alu instid0(VALU_DEP_2) | instskip(SKIP_2) | instid1(VALU_DEP_1)
	v_add_f32_e32 v57, v48, v45
	s_waitcnt lgkmcnt(0)
	v_mul_f32_e32 v54, v60, v42
	v_fmac_f32_e32 v54, v61, v41
	s_delay_alu instid0(VALU_DEP_1) | instskip(SKIP_4) | instid1(VALU_DEP_3)
	v_add_f32_e32 v50, v50, v54
	v_add_f32_e32 v53, v53, v46
	v_dual_mul_f32 v46, v61, v42 :: v_dual_add_f32 v23, v23, v55
	v_mul_f32_e32 v54, v73, v42
	v_mul_f32_e32 v42, v72, v42
	v_fma_f32 v58, v60, v41, -v46
	s_delay_alu instid0(VALU_DEP_3) | instskip(NEXT) | instid1(VALU_DEP_2)
	v_fma_f32 v54, v72, v41, -v54
	v_dual_fmac_f32 v42, v73, v41 :: v_dual_add_f32 v55, v56, v58
	v_mul_f32_e32 v56, v60, v44
	v_fmac_f32_e32 v47, v59, v68
	v_mul_f32_e32 v59, v61, v44
	s_delay_alu instid0(VALU_DEP_3) | instskip(NEXT) | instid1(VALU_DEP_2)
	v_fmac_f32_e32 v56, v61, v43
	v_fma_f32 v58, v60, v43, -v59
	s_delay_alu instid0(VALU_DEP_4)
	v_add_f32_e32 v49, v49, v47
	ds_load_2addr_b64 v[45:48], v31 offset0:96 offset1:112
	v_dual_add_f32 v56, v51, v56 :: v_dual_add_f32 v53, v53, v54
	v_add_f32_e32 v52, v52, v58
	v_mul_f32_e32 v58, v73, v44
	v_dual_mul_f32 v59, v72, v44 :: v_dual_add_f32 v54, v49, v42
	s_delay_alu instid0(VALU_DEP_2) | instskip(SKIP_1) | instid1(VALU_DEP_1)
	v_fma_f32 v41, v72, v43, -v58
	s_waitcnt lgkmcnt(0)
	v_dual_add_f32 v57, v57, v41 :: v_dual_mul_f32 v58, v63, v48
	v_mul_f32_e32 v49, v63, v46
	v_mul_f32_e32 v51, v62, v46
	s_delay_alu instid0(VALU_DEP_3) | instskip(SKIP_4) | instid1(VALU_DEP_1)
	v_fma_f32 v58, v62, v47, -v58
	v_fmac_f32_e32 v59, v73, v43
	ds_load_2addr_b64 v[41:44], v31 offset0:128 offset1:144
	v_dual_add_f32 v58, v52, v58 :: v_dual_add_f32 v23, v23, v59
	v_mul_f32_e32 v59, v62, v48
	v_fmac_f32_e32 v59, v63, v47
	s_delay_alu instid0(VALU_DEP_1)
	v_dual_add_f32 v59, v56, v59 :: v_dual_mul_f32 v56, v74, v48
	v_fma_f32 v49, v62, v45, -v49
	v_mul_f32_e32 v62, v75, v48
	s_waitcnt lgkmcnt(0)
	v_mul_f32_e32 v48, v65, v42
	v_fmac_f32_e32 v56, v75, v47
	v_add_f32_e32 v55, v55, v49
	v_mul_f32_e32 v49, v75, v46
	v_dual_mul_f32 v46, v74, v46 :: v_dual_mul_f32 v69, v64, v44
	s_delay_alu instid0(VALU_DEP_2) | instskip(NEXT) | instid1(VALU_DEP_2)
	v_fma_f32 v61, v74, v45, -v49
	v_fmac_f32_e32 v46, v75, v45
	v_fmac_f32_e32 v51, v63, v45
	v_fma_f32 v45, v74, v47, -v62
	s_delay_alu instid0(VALU_DEP_3) | instskip(NEXT) | instid1(VALU_DEP_3)
	v_dual_add_f32 v61, v53, v61 :: v_dual_add_f32 v62, v54, v46
	v_add_f32_e32 v60, v50, v51
	ds_load_b128 v[49:52], v33 offset:4128
	v_fma_f32 v53, v64, v41, -v48
	v_dual_mul_f32 v54, v65, v44 :: v_dual_mul_f32 v63, v64, v42
	v_add_f32_e32 v23, v23, v56
	s_delay_alu instid0(VALU_DEP_3) | instskip(NEXT) | instid1(VALU_DEP_3)
	v_add_f32_e32 v68, v55, v53
	v_fma_f32 v64, v64, v43, -v54
	ds_load_b128 v[53:56], v33 offset:4144
	v_add_f32_e32 v57, v57, v45
	ds_load_2addr_b64 v[45:48], v31 offset0:160 offset1:176
	v_dual_fmac_f32 v69, v65, v43 :: v_dual_add_f32 v58, v58, v64
	s_waitcnt lgkmcnt(2)
	v_mul_f32_e32 v70, v50, v42
	v_mul_f32_e32 v42, v49, v42
	;; [unrolled: 1-line block ×3, first 2 shown]
	s_delay_alu instid0(VALU_DEP_2) | instskip(SKIP_3) | instid1(VALU_DEP_2)
	v_fmac_f32_e32 v42, v50, v41
	v_fmac_f32_e32 v63, v65, v41
	s_waitcnt lgkmcnt(0)
	v_dual_mul_f32 v65, v49, v44 :: v_dual_mul_f32 v44, v67, v46
	v_add_f32_e32 v60, v60, v63
	s_delay_alu instid0(VALU_DEP_2) | instskip(SKIP_4) | instid1(VALU_DEP_4)
	v_fmac_f32_e32 v65, v50, v43
	v_mul_f32_e32 v50, v66, v46
	v_fma_f32 v63, v49, v41, -v70
	v_fma_f32 v41, v49, v43, -v64
	v_mul_f32_e32 v64, v66, v48
	v_dual_add_f32 v49, v62, v42 :: v_dual_fmac_f32 v50, v67, v45
	s_delay_alu instid0(VALU_DEP_4) | instskip(NEXT) | instid1(VALU_DEP_4)
	v_add_f32_e32 v61, v61, v63
	v_add_f32_e32 v57, v57, v41
	v_fma_f32 v62, v66, v45, -v44
	s_delay_alu instid0(VALU_DEP_4) | instskip(SKIP_2) | instid1(VALU_DEP_4)
	v_dual_add_f32 v59, v59, v69 :: v_dual_add_f32 v50, v60, v50
	v_mul_f32_e32 v60, v52, v46
	v_mul_f32_e32 v46, v51, v46
	v_dual_add_f32 v62, v68, v62 :: v_dual_mul_f32 v63, v67, v48
	ds_load_2addr_b64 v[41:44], v31 offset0:192 offset1:208
	v_fmac_f32_e32 v64, v67, v47
	v_fmac_f32_e32 v46, v52, v45
	v_fma_f32 v60, v51, v45, -v60
	v_fma_f32 v63, v66, v47, -v63
	v_add_f32_e32 v23, v23, v65
	v_add_f32_e32 v59, v59, v64
	v_dual_mul_f32 v64, v51, v48 :: v_dual_add_f32 v49, v49, v46
	s_delay_alu instid0(VALU_DEP_4) | instskip(NEXT) | instid1(VALU_DEP_2)
	v_dual_add_f32 v58, v58, v63 :: v_dual_mul_f32 v63, v52, v48
	v_fmac_f32_e32 v64, v52, v47
	s_delay_alu instid0(VALU_DEP_2) | instskip(SKIP_1) | instid1(VALU_DEP_1)
	v_fma_f32 v45, v51, v47, -v63
	s_waitcnt lgkmcnt(0)
	v_dual_add_f32 v52, v57, v45 :: v_dual_mul_f32 v57, v0, v42
	ds_load_2addr_b64 v[45:48], v31 offset0:224 offset1:240
	v_add_f32_e32 v51, v61, v60
	v_mul_f32_e32 v60, v1, v42
	v_mul_f32_e32 v61, v1, v44
	v_mul_f32_e32 v63, v0, v44
	s_delay_alu instid0(VALU_DEP_3) | instskip(SKIP_1) | instid1(VALU_DEP_4)
	v_fma_f32 v60, v0, v41, -v60
	v_fmac_f32_e32 v57, v1, v41
	v_fma_f32 v0, v0, v43, -v61
	v_mul_f32_e32 v61, v54, v42
	v_fmac_f32_e32 v63, v1, v43
	v_dual_mul_f32 v1, v53, v42 :: v_dual_mul_f32 v42, v54, v44
	s_delay_alu instid0(VALU_DEP_4) | instskip(NEXT) | instid1(VALU_DEP_4)
	v_add_f32_e32 v58, v58, v0
	v_fma_f32 v0, v53, v41, -v61
	v_mul_f32_e32 v61, v53, v44
	s_delay_alu instid0(VALU_DEP_4)
	v_fmac_f32_e32 v1, v54, v41
	v_fma_f32 v41, v53, v43, -v42
	v_add_f32_e32 v60, v62, v60
	s_waitcnt lgkmcnt(0)
	v_mul_f32_e32 v42, v3, v46
	v_add_f32_e32 v62, v51, v0
	v_dual_add_f32 v53, v52, v41 :: v_dual_add_nc_u32 v0, 0x800, v31
	v_fmac_f32_e32 v61, v54, v43
	s_delay_alu instid0(VALU_DEP_4)
	v_fma_f32 v54, v2, v45, -v42
	v_add_f32_e32 v23, v23, v64
	v_dual_add_f32 v57, v50, v57 :: v_dual_mul_f32 v64, v3, v48
	v_add_f32_e32 v1, v49, v1
	ds_load_2addr_b64 v[41:44], v0 offset1:16
	ds_load_b128 v[49:52], v33 offset:64
	v_dual_add_f32 v54, v60, v54 :: v_dual_add_f32 v23, v23, v61
	v_mul_f32_e32 v61, v2, v48
	v_dual_add_f32 v59, v59, v63 :: v_dual_mul_f32 v60, v56, v46
	s_delay_alu instid0(VALU_DEP_2) | instskip(SKIP_2) | instid1(VALU_DEP_3)
	v_fmac_f32_e32 v61, v3, v47
	v_mul_f32_e32 v63, v2, v46
	v_fma_f32 v2, v2, v47, -v64
	v_add_f32_e32 v66, v59, v61
	s_delay_alu instid0(VALU_DEP_3) | instskip(SKIP_1) | instid1(VALU_DEP_4)
	v_fmac_f32_e32 v63, v3, v45
	v_mul_f32_e32 v3, v55, v46
	v_add_f32_e32 v2, v58, v2
	v_fma_f32 v46, v55, v45, -v60
	s_delay_alu instid0(VALU_DEP_4)
	v_add_f32_e32 v65, v57, v63
	v_mul_f32_e32 v63, v56, v48
	v_fmac_f32_e32 v3, v56, v45
	ds_load_b128 v[57:60], v33 offset:4160
	s_waitcnt lgkmcnt(1)
	v_mul_f32_e32 v70, v49, v44
	v_fma_f32 v45, v55, v47, -v63
	s_delay_alu instid0(VALU_DEP_2) | instskip(NEXT) | instid1(VALU_DEP_2)
	v_dual_mul_f32 v55, v55, v48 :: v_dual_fmac_f32 v70, v50, v43
	v_dual_add_f32 v68, v53, v45 :: v_dual_add_f32 v67, v62, v46
	v_mul_f32_e32 v46, v50, v42
	ds_load_b128 v[61:64], v33 offset:80
	v_dual_fmac_f32 v55, v56, v47 :: v_dual_mul_f32 v56, v50, v44
	v_fma_f32 v53, v49, v41, -v46
	ds_load_2addr_b64 v[45:48], v0 offset0:32 offset1:48
	v_add_f32_e32 v1, v1, v3
	v_mul_f32_e32 v3, v49, v42
	v_fma_f32 v49, v49, v43, -v56
	s_delay_alu instid0(VALU_DEP_2) | instskip(NEXT) | instid1(VALU_DEP_2)
	v_fmac_f32_e32 v3, v50, v41
	v_add_f32_e32 v2, v2, v49
	s_waitcnt lgkmcnt(2)
	v_mul_f32_e32 v49, v58, v44
	s_delay_alu instid0(VALU_DEP_3) | instskip(SKIP_2) | instid1(VALU_DEP_2)
	v_add_f32_e32 v3, v65, v3
	v_mul_f32_e32 v65, v58, v42
	v_dual_mul_f32 v42, v57, v42 :: v_dual_add_f32 v23, v23, v55
	v_fma_f32 v50, v57, v41, -v65
	v_dual_add_f32 v65, v66, v70 :: v_dual_mul_f32 v66, v57, v44
	s_delay_alu instid0(VALU_DEP_3) | instskip(SKIP_1) | instid1(VALU_DEP_4)
	v_fmac_f32_e32 v42, v58, v41
	v_fma_f32 v41, v57, v43, -v49
	v_add_f32_e32 v49, v67, v50
	s_waitcnt lgkmcnt(0)
	v_mul_f32_e32 v44, v52, v46
	v_dual_fmac_f32 v66, v58, v43 :: v_dual_mul_f32 v67, v52, v48
	v_dual_mul_f32 v57, v51, v46 :: v_dual_add_f32 v50, v68, v41
	s_delay_alu instid0(VALU_DEP_3) | instskip(NEXT) | instid1(VALU_DEP_3)
	v_fma_f32 v58, v51, v45, -v44
	v_add_f32_e32 v23, v23, v66
	v_mul_f32_e32 v66, v51, v48
	v_fma_f32 v51, v51, v47, -v67
	v_mul_f32_e32 v67, v60, v46
	v_dual_mul_f32 v46, v59, v46 :: v_dual_fmac_f32 v57, v52, v45
	s_delay_alu instid0(VALU_DEP_4) | instskip(NEXT) | instid1(VALU_DEP_4)
	v_fmac_f32_e32 v66, v52, v47
	v_dual_add_f32 v2, v2, v51 :: v_dual_add_f32 v1, v1, v42
	ds_load_2addr_b64 v[41:44], v0 offset0:64 offset1:80
	v_fma_f32 v51, v59, v45, -v67
	v_fmac_f32_e32 v46, v60, v45
	v_mul_f32_e32 v45, v60, v48
	v_add_f32_e32 v69, v54, v53
	ds_load_b128 v[53:56], v33 offset:4176
	v_add_f32_e32 v3, v3, v57
	v_mul_f32_e32 v57, v59, v48
	v_add_f32_e32 v49, v49, v51
	v_fma_f32 v51, v59, v47, -v45
	v_add_f32_e32 v58, v69, v58
	s_delay_alu instid0(VALU_DEP_4) | instskip(NEXT) | instid1(VALU_DEP_1)
	v_dual_add_f32 v52, v65, v66 :: v_dual_fmac_f32 v57, v60, v47
	v_dual_add_f32 v50, v50, v51 :: v_dual_add_f32 v23, v23, v57
	s_waitcnt lgkmcnt(1)
	v_mul_f32_e32 v59, v62, v42
	v_mul_f32_e32 v65, v61, v44
	;; [unrolled: 1-line block ×3, first 2 shown]
	s_delay_alu instid0(VALU_DEP_3) | instskip(SKIP_1) | instid1(VALU_DEP_4)
	v_fma_f32 v51, v61, v41, -v59
	v_mul_f32_e32 v59, v62, v44
	v_fmac_f32_e32 v65, v62, v43
	s_delay_alu instid0(VALU_DEP_4) | instskip(NEXT) | instid1(VALU_DEP_4)
	v_fmac_f32_e32 v60, v62, v41
	v_add_f32_e32 v57, v58, v51
	s_delay_alu instid0(VALU_DEP_4) | instskip(SKIP_3) | instid1(VALU_DEP_3)
	v_fma_f32 v51, v61, v43, -v59
	s_waitcnt lgkmcnt(0)
	v_dual_mul_f32 v58, v54, v42 :: v_dual_add_f32 v59, v52, v65
	v_mul_f32_e32 v42, v53, v42
	v_dual_add_f32 v2, v2, v51 :: v_dual_add_f32 v1, v1, v46
	ds_load_2addr_b64 v[45:48], v0 offset0:96 offset1:112
	v_fma_f32 v52, v53, v41, -v58
	v_mul_f32_e32 v58, v53, v44
	v_mul_f32_e32 v51, v54, v44
	v_fmac_f32_e32 v42, v54, v41
	s_delay_alu instid0(VALU_DEP_3) | instskip(NEXT) | instid1(VALU_DEP_3)
	v_fmac_f32_e32 v58, v54, v43
	v_fma_f32 v41, v53, v43, -v51
	s_delay_alu instid0(VALU_DEP_1)
	v_dual_add_f32 v23, v23, v58 :: v_dual_add_f32 v54, v50, v41
	s_waitcnt lgkmcnt(0)
	v_mul_f32_e32 v44, v64, v46
	v_mul_f32_e32 v62, v64, v48
	;; [unrolled: 1-line block ×4, first 2 shown]
	s_delay_alu instid0(VALU_DEP_3) | instskip(NEXT) | instid1(VALU_DEP_3)
	v_fma_f32 v62, v63, v47, -v62
	v_dual_fmac_f32 v58, v64, v47 :: v_dual_add_f32 v3, v3, v60
	v_fma_f32 v60, v63, v45, -v44
	s_delay_alu instid0(VALU_DEP_3) | instskip(SKIP_1) | instid1(VALU_DEP_3)
	v_add_f32_e32 v2, v2, v62
	v_dual_mul_f32 v62, v56, v48 :: v_dual_add_f32 v1, v1, v42
	v_add_f32_e32 v65, v57, v60
	v_mul_f32_e32 v57, v56, v46
	v_dual_mul_f32 v46, v55, v46 :: v_dual_add_f32 v53, v49, v52
	ds_load_2addr_b64 v[41:44], v0 offset0:128 offset1:144
	ds_load_b128 v[49:52], v33 offset:96
	v_add_f32_e32 v66, v59, v58
	v_fmac_f32_e32 v46, v56, v45
	s_waitcnt lgkmcnt(0)
	v_mul_f32_e32 v70, v49, v44
	s_delay_alu instid0(VALU_DEP_1) | instskip(NEXT) | instid1(VALU_DEP_1)
	v_dual_mul_f32 v69, v49, v42 :: v_dual_fmac_f32 v70, v50, v43
	v_dual_fmac_f32 v61, v64, v45 :: v_dual_add_f32 v66, v66, v70
	s_delay_alu instid0(VALU_DEP_1)
	v_add_f32_e32 v3, v3, v61
	v_fma_f32 v61, v55, v45, -v57
	ds_load_b128 v[57:60], v33 offset:4192
	v_fma_f32 v45, v55, v47, -v62
	v_add_f32_e32 v67, v53, v61
	ds_load_b128 v[61:64], v33 offset:112
	v_dual_mul_f32 v53, v55, v48 :: v_dual_mul_f32 v48, v50, v42
	v_add_f32_e32 v68, v54, v45
	v_mul_f32_e32 v55, v50, v44
	v_fmac_f32_e32 v69, v50, v41
	s_delay_alu instid0(VALU_DEP_4) | instskip(SKIP_1) | instid1(VALU_DEP_4)
	v_fmac_f32_e32 v53, v56, v47
	v_fma_f32 v54, v49, v41, -v48
	v_fma_f32 v49, v49, v43, -v55
	s_delay_alu instid0(VALU_DEP_4) | instskip(NEXT) | instid1(VALU_DEP_2)
	v_add_f32_e32 v3, v3, v69
	v_add_f32_e32 v2, v2, v49
	s_waitcnt lgkmcnt(1)
	v_mul_f32_e32 v71, v58, v42
	v_mul_f32_e32 v42, v57, v42
	;; [unrolled: 1-line block ×4, first 2 shown]
	s_delay_alu instid0(VALU_DEP_4) | instskip(NEXT) | instid1(VALU_DEP_4)
	v_fma_f32 v49, v57, v41, -v71
	v_dual_fmac_f32 v42, v58, v41 :: v_dual_add_f32 v1, v1, v46
	ds_load_2addr_b64 v[45:48], v0 offset0:160 offset1:176
	v_fma_f32 v41, v57, v43, -v50
	v_fmac_f32_e32 v69, v58, v43
	v_add_f32_e32 v1, v1, v42
	s_delay_alu instid0(VALU_DEP_3) | instskip(SKIP_3) | instid1(VALU_DEP_2)
	v_add_f32_e32 v57, v68, v41
	s_waitcnt lgkmcnt(0)
	v_mul_f32_e32 v44, v52, v46
	v_mul_f32_e32 v50, v51, v46
	v_fma_f32 v58, v51, v45, -v44
	ds_load_2addr_b64 v[41:44], v0 offset0:192 offset1:208
	v_fmac_f32_e32 v50, v52, v45
	s_delay_alu instid0(VALU_DEP_1)
	v_add_f32_e32 v3, v3, v50
	v_mul_f32_e32 v50, v60, v46
	v_add_f32_e32 v65, v65, v54
	v_mul_f32_e32 v46, v59, v46
	;; [unrolled: 2-line block ×3, first 2 shown]
	v_fma_f32 v50, v59, v45, -v50
	v_dual_add_f32 v58, v65, v58 :: v_dual_mul_f32 v65, v51, v48
	v_fmac_f32_e32 v46, v60, v45
	s_delay_alu instid0(VALU_DEP_4) | instskip(NEXT) | instid1(VALU_DEP_4)
	v_fma_f32 v51, v51, v47, -v67
	v_add_f32_e32 v49, v49, v50
	s_waitcnt lgkmcnt(0)
	v_dual_fmac_f32 v65, v52, v47 :: v_dual_mul_f32 v50, v62, v42
	s_delay_alu instid0(VALU_DEP_3) | instskip(NEXT) | instid1(VALU_DEP_2)
	v_dual_add_f32 v2, v2, v51 :: v_dual_mul_f32 v51, v60, v48
	v_dual_add_f32 v1, v1, v46 :: v_dual_add_f32 v52, v66, v65
	v_mul_f32_e32 v65, v59, v48
	s_delay_alu instid0(VALU_DEP_3) | instskip(SKIP_1) | instid1(VALU_DEP_3)
	v_fma_f32 v45, v59, v47, -v51
	v_mul_f32_e32 v59, v61, v44
	v_fmac_f32_e32 v65, v60, v47
	s_delay_alu instid0(VALU_DEP_3) | instskip(SKIP_4) | instid1(VALU_DEP_3)
	v_add_f32_e32 v51, v57, v45
	ds_load_2addr_b64 v[45:48], v0 offset0:224 offset1:240
	v_fma_f32 v0, v61, v41, -v50
	v_dual_mul_f32 v50, v62, v44 :: v_dual_mul_f32 v57, v61, v42
	v_fmac_f32_e32 v59, v62, v43
	v_dual_add_f32 v58, v58, v0 :: v_dual_add_f32 v23, v23, v53
	ds_load_b128 v[53:56], v33 offset:4208
	v_fma_f32 v0, v61, v43, -v50
	v_fmac_f32_e32 v57, v62, v41
	s_delay_alu instid0(VALU_DEP_1) | instskip(SKIP_3) | instid1(VALU_DEP_2)
	v_dual_add_f32 v2, v2, v0 :: v_dual_add_f32 v3, v3, v57
	s_waitcnt lgkmcnt(1)
	v_dual_add_f32 v57, v52, v59 :: v_dual_mul_f32 v60, v63, v46
	v_mul_f32_e32 v62, v64, v48
	v_fmac_f32_e32 v60, v64, v45
	s_waitcnt lgkmcnt(0)
	v_mul_f32_e32 v50, v54, v42
	v_mul_f32_e32 v42, v53, v42
	;; [unrolled: 1-line block ×3, first 2 shown]
	v_add_f32_e32 v23, v23, v69
	s_delay_alu instid0(VALU_DEP_4) | instskip(SKIP_3) | instid1(VALU_DEP_4)
	v_fma_f32 v0, v53, v41, -v50
	v_mul_f32_e32 v50, v54, v44
	v_fmac_f32_e32 v42, v54, v41
	v_dual_mul_f32 v44, v64, v46 :: v_dual_fmac_f32 v59, v54, v43
	v_add_f32_e32 v61, v49, v0
	s_delay_alu instid0(VALU_DEP_4) | instskip(NEXT) | instid1(VALU_DEP_4)
	v_fma_f32 v41, v53, v43, -v50
	v_dual_add_f32 v1, v1, v42 :: v_dual_add_nc_u32 v0, 0x1000, v31
	s_delay_alu instid0(VALU_DEP_4) | instskip(NEXT) | instid1(VALU_DEP_3)
	v_fma_f32 v54, v63, v45, -v44
	v_add_f32_e32 v53, v51, v41
	ds_load_2addr_b64 v[41:44], v0 offset1:16
	ds_load_b128 v[49:52], v33 offset:128
	v_add_f32_e32 v54, v58, v54
	v_fma_f32 v58, v63, v47, -v62
	v_mul_f32_e32 v62, v56, v46
	v_mul_f32_e32 v46, v55, v46
	s_delay_alu instid0(VALU_DEP_3) | instskip(NEXT) | instid1(VALU_DEP_3)
	v_add_f32_e32 v2, v2, v58
	v_fma_f32 v62, v55, v45, -v62
	s_delay_alu instid0(VALU_DEP_3) | instskip(NEXT) | instid1(VALU_DEP_2)
	v_fmac_f32_e32 v46, v56, v45
	v_add_f32_e32 v66, v61, v62
	s_delay_alu instid0(VALU_DEP_2) | instskip(SKIP_2) | instid1(VALU_DEP_1)
	v_add_f32_e32 v1, v1, v46
	s_waitcnt lgkmcnt(0)
	v_dual_mul_f32 v70, v49, v44 :: v_dual_add_f32 v23, v23, v65
	v_dual_mul_f32 v67, v49, v42 :: v_dual_fmac_f32 v70, v50, v43
	s_delay_alu instid0(VALU_DEP_2) | instskip(SKIP_2) | instid1(VALU_DEP_1)
	v_add_f32_e32 v23, v23, v59
	v_mul_f32_e32 v59, v63, v48
	v_mul_f32_e32 v63, v56, v48
	v_fma_f32 v45, v55, v47, -v63
	v_dual_mul_f32 v55, v55, v48 :: v_dual_mul_f32 v48, v50, v42
	s_delay_alu instid0(VALU_DEP_1) | instskip(NEXT) | instid1(VALU_DEP_2)
	v_dual_add_f32 v68, v53, v45 :: v_dual_fmac_f32 v55, v56, v47
	v_fma_f32 v53, v49, v41, -v48
	s_delay_alu instid0(VALU_DEP_2) | instskip(NEXT) | instid1(VALU_DEP_2)
	v_dual_mul_f32 v56, v50, v44 :: v_dual_add_f32 v23, v23, v55
	v_add_f32_e32 v69, v54, v53
	s_delay_alu instid0(VALU_DEP_2)
	v_fma_f32 v49, v49, v43, -v56
	ds_load_b128 v[53:56], v33 offset:4240
	v_fmac_f32_e32 v59, v64, v47
	v_add_f32_e32 v3, v3, v60
	ds_load_2addr_b64 v[45:48], v0 offset0:32 offset1:48
	ds_load_b128 v[61:64], v33 offset:144
	v_fmac_f32_e32 v67, v50, v41
	v_add_f32_e32 v65, v57, v59
	ds_load_b128 v[57:60], v33 offset:4224
	v_dual_add_f32 v2, v2, v49 :: v_dual_add_f32 v3, v3, v67
	v_add_f32_e32 v65, v65, v70
	s_waitcnt lgkmcnt(0)
	v_mul_f32_e32 v67, v58, v42
	v_dual_mul_f32 v42, v57, v42 :: v_dual_mul_f32 v49, v58, v44
	s_delay_alu instid0(VALU_DEP_2) | instskip(NEXT) | instid1(VALU_DEP_2)
	v_fma_f32 v50, v57, v41, -v67
	v_dual_fmac_f32 v42, v58, v41 :: v_dual_mul_f32 v67, v57, v44
	s_delay_alu instid0(VALU_DEP_3) | instskip(SKIP_1) | instid1(VALU_DEP_4)
	v_fma_f32 v41, v57, v43, -v49
	v_mul_f32_e32 v44, v52, v46
	v_add_f32_e32 v49, v66, v50
	s_delay_alu instid0(VALU_DEP_4) | instskip(NEXT) | instid1(VALU_DEP_4)
	v_add_f32_e32 v1, v1, v42
	v_dual_fmac_f32 v67, v58, v43 :: v_dual_add_f32 v50, v68, v41
	s_delay_alu instid0(VALU_DEP_4) | instskip(SKIP_4) | instid1(VALU_DEP_3)
	v_fma_f32 v58, v51, v45, -v44
	ds_load_2addr_b64 v[41:44], v0 offset0:64 offset1:80
	v_dual_mul_f32 v57, v51, v46 :: v_dual_mul_f32 v66, v52, v48
	v_add_f32_e32 v23, v23, v67
	v_dual_mul_f32 v67, v51, v48 :: v_dual_add_f32 v58, v69, v58
	v_fmac_f32_e32 v57, v52, v45
	s_delay_alu instid0(VALU_DEP_4) | instskip(SKIP_1) | instid1(VALU_DEP_4)
	v_fma_f32 v51, v51, v47, -v66
	v_mul_f32_e32 v66, v60, v46
	v_dual_mul_f32 v46, v59, v46 :: v_dual_fmac_f32 v67, v52, v47
	s_delay_alu instid0(VALU_DEP_3) | instskip(NEXT) | instid1(VALU_DEP_3)
	v_dual_add_f32 v3, v3, v57 :: v_dual_add_f32 v2, v2, v51
	v_fma_f32 v51, v59, v45, -v66
	s_delay_alu instid0(VALU_DEP_3) | instskip(SKIP_2) | instid1(VALU_DEP_4)
	v_fmac_f32_e32 v46, v60, v45
	v_mul_f32_e32 v45, v60, v48
	v_dual_mul_f32 v57, v59, v48 :: v_dual_add_f32 v52, v65, v67
	v_add_f32_e32 v49, v49, v51
	s_delay_alu instid0(VALU_DEP_4) | instskip(NEXT) | instid1(VALU_DEP_4)
	v_add_f32_e32 v1, v1, v46
	v_fma_f32 v51, v59, v47, -v45
	s_waitcnt lgkmcnt(0)
	v_mul_f32_e32 v59, v62, v42
	v_fmac_f32_e32 v57, v60, v47
	ds_load_2addr_b64 v[45:48], v0 offset0:96 offset1:112
	v_dual_mul_f32 v65, v61, v44 :: v_dual_add_f32 v50, v50, v51
	v_fma_f32 v51, v61, v41, -v59
	v_mul_f32_e32 v59, v62, v44
	v_dual_add_f32 v23, v23, v57 :: v_dual_mul_f32 v60, v61, v42
	s_delay_alu instid0(VALU_DEP_4) | instskip(NEXT) | instid1(VALU_DEP_4)
	v_fmac_f32_e32 v65, v62, v43
	v_add_f32_e32 v57, v58, v51
	s_delay_alu instid0(VALU_DEP_4) | instskip(SKIP_3) | instid1(VALU_DEP_4)
	v_fma_f32 v51, v61, v43, -v59
	v_mul_f32_e32 v58, v54, v42
	v_mul_f32_e32 v42, v53, v42
	v_fmac_f32_e32 v60, v62, v41
	v_dual_add_f32 v59, v52, v65 :: v_dual_add_f32 v2, v2, v51
	v_mul_f32_e32 v51, v54, v44
	v_fma_f32 v52, v53, v41, -v58
	v_fmac_f32_e32 v42, v54, v41
	v_mul_f32_e32 v58, v53, v44
	v_add_f32_e32 v3, v3, v60
	v_fma_f32 v41, v53, v43, -v51
	s_waitcnt lgkmcnt(0)
	v_dual_mul_f32 v44, v64, v46 :: v_dual_add_f32 v53, v49, v52
	v_dual_add_f32 v1, v1, v42 :: v_dual_fmac_f32 v58, v54, v43
	s_delay_alu instid0(VALU_DEP_3) | instskip(NEXT) | instid1(VALU_DEP_3)
	v_add_f32_e32 v54, v50, v41
	v_fma_f32 v60, v63, v45, -v44
	ds_load_2addr_b64 v[41:44], v0 offset0:128 offset1:144
	ds_load_b128 v[49:52], v33 offset:160
	v_dual_mul_f32 v61, v63, v46 :: v_dual_mul_f32 v62, v64, v48
	v_add_f32_e32 v23, v23, v58
	v_mul_f32_e32 v58, v63, v48
	v_add_f32_e32 v65, v57, v60
	s_delay_alu instid0(VALU_DEP_4) | instskip(SKIP_4) | instid1(VALU_DEP_4)
	v_fmac_f32_e32 v61, v64, v45
	v_fma_f32 v62, v63, v47, -v62
	v_mul_f32_e32 v57, v56, v46
	v_fmac_f32_e32 v58, v64, v47
	v_mul_f32_e32 v46, v55, v46
	v_dual_add_f32 v3, v3, v61 :: v_dual_add_f32 v2, v2, v62
	s_delay_alu instid0(VALU_DEP_4)
	v_fma_f32 v61, v55, v45, -v57
	v_mul_f32_e32 v62, v56, v48
	v_add_f32_e32 v66, v59, v58
	ds_load_b128 v[57:60], v33 offset:4256
	v_fmac_f32_e32 v46, v56, v45
	v_add_f32_e32 v67, v53, v61
	v_fma_f32 v45, v55, v47, -v62
	ds_load_b128 v[61:64], v33 offset:176
	s_waitcnt lgkmcnt(2)
	v_dual_mul_f32 v53, v55, v48 :: v_dual_mul_f32 v48, v50, v42
	v_mul_f32_e32 v55, v50, v44
	v_dual_add_f32 v68, v54, v45 :: v_dual_mul_f32 v69, v49, v42
	s_delay_alu instid0(VALU_DEP_3) | instskip(NEXT) | instid1(VALU_DEP_4)
	v_fmac_f32_e32 v53, v56, v47
	v_fma_f32 v54, v49, v41, -v48
	v_mul_f32_e32 v70, v49, v44
	v_fma_f32 v49, v49, v43, -v55
	v_fmac_f32_e32 v69, v50, v41
	v_add_f32_e32 v23, v23, v53
	v_add_f32_e32 v65, v65, v54
	ds_load_b128 v[53:56], v33 offset:4272
	v_add_f32_e32 v1, v1, v46
	ds_load_2addr_b64 v[45:48], v0 offset0:160 offset1:176
	s_waitcnt lgkmcnt(3)
	v_mul_f32_e32 v71, v58, v42
	v_dual_add_f32 v3, v3, v69 :: v_dual_fmac_f32 v70, v50, v43
	v_mul_f32_e32 v42, v57, v42
	v_add_f32_e32 v2, v2, v49
	s_delay_alu instid0(VALU_DEP_4) | instskip(SKIP_1) | instid1(VALU_DEP_4)
	v_fma_f32 v49, v57, v41, -v71
	v_mul_f32_e32 v50, v58, v44
	v_dual_mul_f32 v69, v57, v44 :: v_dual_fmac_f32 v42, v58, v41
	s_delay_alu instid0(VALU_DEP_3) | instskip(NEXT) | instid1(VALU_DEP_3)
	v_dual_add_f32 v66, v66, v70 :: v_dual_add_f32 v49, v67, v49
	v_fma_f32 v41, v57, v43, -v50
	s_delay_alu instid0(VALU_DEP_3) | instskip(NEXT) | instid1(VALU_DEP_4)
	v_fmac_f32_e32 v69, v58, v43
	v_add_f32_e32 v1, v1, v42
	s_delay_alu instid0(VALU_DEP_3) | instskip(SKIP_3) | instid1(VALU_DEP_2)
	v_add_f32_e32 v57, v68, v41
	s_waitcnt lgkmcnt(0)
	v_mul_f32_e32 v44, v52, v46
	v_dual_mul_f32 v50, v51, v46 :: v_dual_mul_f32 v67, v52, v48
	v_fma_f32 v58, v51, v45, -v44
	ds_load_2addr_b64 v[41:44], v0 offset0:192 offset1:208
	v_fmac_f32_e32 v50, v52, v45
	v_dual_add_f32 v58, v65, v58 :: v_dual_mul_f32 v65, v51, v48
	v_fma_f32 v51, v51, v47, -v67
	s_delay_alu instid0(VALU_DEP_3) | instskip(SKIP_1) | instid1(VALU_DEP_4)
	v_add_f32_e32 v3, v3, v50
	v_mul_f32_e32 v50, v60, v46
	v_dual_mul_f32 v46, v59, v46 :: v_dual_fmac_f32 v65, v52, v47
	s_delay_alu instid0(VALU_DEP_4) | instskip(NEXT) | instid1(VALU_DEP_3)
	v_dual_add_f32 v2, v2, v51 :: v_dual_mul_f32 v51, v60, v48
	v_fma_f32 v50, v59, v45, -v50
	s_delay_alu instid0(VALU_DEP_3) | instskip(NEXT) | instid1(VALU_DEP_4)
	v_fmac_f32_e32 v46, v60, v45
	v_dual_add_f32 v52, v66, v65 :: v_dual_mul_f32 v65, v59, v48
	s_delay_alu instid0(VALU_DEP_4) | instskip(NEXT) | instid1(VALU_DEP_4)
	v_fma_f32 v45, v59, v47, -v51
	v_add_f32_e32 v49, v49, v50
	s_delay_alu instid0(VALU_DEP_4)
	v_add_f32_e32 v1, v1, v46
	s_waitcnt lgkmcnt(0)
	v_dual_mul_f32 v50, v62, v42 :: v_dual_fmac_f32 v65, v60, v47
	v_add_f32_e32 v51, v57, v45
	ds_load_2addr_b64 v[45:48], v0 offset0:224 offset1:240
	v_mul_f32_e32 v57, v61, v42
	v_fma_f32 v0, v61, v41, -v50
	v_mul_f32_e32 v50, v62, v44
	v_mul_f32_e32 v59, v61, v44
	s_delay_alu instid0(VALU_DEP_4) | instskip(NEXT) | instid1(VALU_DEP_4)
	v_fmac_f32_e32 v57, v62, v41
	v_add_f32_e32 v58, v58, v0
	s_delay_alu instid0(VALU_DEP_4) | instskip(SKIP_3) | instid1(VALU_DEP_4)
	v_fma_f32 v0, v61, v43, -v50
	v_mul_f32_e32 v50, v54, v42
	v_fmac_f32_e32 v59, v62, v43
	v_dual_add_f32 v3, v3, v57 :: v_dual_mul_f32 v42, v53, v42
	v_add_f32_e32 v2, v2, v0
	s_delay_alu instid0(VALU_DEP_4) | instskip(NEXT) | instid1(VALU_DEP_4)
	v_fma_f32 v0, v53, v41, -v50
	v_dual_mul_f32 v50, v54, v44 :: v_dual_add_f32 v57, v52, v59
	s_delay_alu instid0(VALU_DEP_4) | instskip(SKIP_1) | instid1(VALU_DEP_3)
	v_dual_mul_f32 v59, v53, v44 :: v_dual_fmac_f32 v42, v54, v41
	s_waitcnt lgkmcnt(0)
	v_dual_add_f32 v61, v49, v0 :: v_dual_mul_f32 v44, v64, v46
	s_delay_alu instid0(VALU_DEP_2) | instskip(SKIP_2) | instid1(VALU_DEP_4)
	v_dual_mul_f32 v62, v64, v48 :: v_dual_fmac_f32 v59, v54, v43
	v_fma_f32 v41, v53, v43, -v50
	v_add_nc_u32_e32 v0, 0x1800, v31
	v_fma_f32 v54, v63, v45, -v44
	v_add_f32_e32 v1, v1, v42
	v_mul_f32_e32 v60, v63, v46
	v_add_f32_e32 v53, v51, v41
	ds_load_2addr_b64 v[41:44], v0 offset1:16
	ds_load_b128 v[49:52], v33 offset:192
	v_add_f32_e32 v54, v58, v54
	v_fma_f32 v58, v63, v47, -v62
	v_fmac_f32_e32 v60, v64, v45
	v_mul_f32_e32 v62, v56, v46
	v_mul_f32_e32 v46, v55, v46
	s_delay_alu instid0(VALU_DEP_4) | instskip(NEXT) | instid1(VALU_DEP_4)
	v_dual_add_f32 v2, v2, v58 :: v_dual_add_f32 v23, v23, v69
	v_add_f32_e32 v3, v3, v60
	s_delay_alu instid0(VALU_DEP_4) | instskip(NEXT) | instid1(VALU_DEP_4)
	v_fma_f32 v62, v55, v45, -v62
	v_fmac_f32_e32 v46, v56, v45
	s_delay_alu instid0(VALU_DEP_2) | instskip(NEXT) | instid1(VALU_DEP_2)
	v_dual_add_f32 v23, v23, v65 :: v_dual_add_f32 v66, v61, v62
	v_add_f32_e32 v1, v1, v46
	s_delay_alu instid0(VALU_DEP_2) | instskip(SKIP_4) | instid1(VALU_DEP_3)
	v_add_f32_e32 v23, v23, v59
	v_mul_f32_e32 v59, v63, v48
	v_mul_f32_e32 v63, v56, v48
	s_waitcnt lgkmcnt(0)
	v_mul_f32_e32 v67, v49, v42
	v_dual_mul_f32 v70, v49, v44 :: v_dual_fmac_f32 v59, v64, v47
	s_delay_alu instid0(VALU_DEP_3) | instskip(SKIP_1) | instid1(VALU_DEP_4)
	v_fma_f32 v45, v55, v47, -v63
	v_dual_mul_f32 v55, v55, v48 :: v_dual_mul_f32 v48, v50, v42
	v_fmac_f32_e32 v67, v50, v41
	s_delay_alu instid0(VALU_DEP_4)
	v_add_f32_e32 v65, v57, v59
	ds_load_b128 v[57:60], v33 offset:4288
	ds_load_b128 v[61:64], v33 offset:208
	v_dual_fmac_f32 v55, v56, v47 :: v_dual_add_f32 v68, v53, v45
	v_fma_f32 v53, v49, v41, -v48
	ds_load_2addr_b64 v[45:48], v0 offset0:32 offset1:48
	v_dual_mul_f32 v56, v50, v44 :: v_dual_add_f32 v3, v3, v67
	v_fmac_f32_e32 v70, v50, v43
	v_add_f32_e32 v23, v23, v55
	v_add_f32_e32 v69, v54, v53
	s_delay_alu instid0(VALU_DEP_4)
	v_fma_f32 v49, v49, v43, -v56
	ds_load_b128 v[53:56], v33 offset:4304
	v_dual_add_f32 v65, v65, v70 :: v_dual_add_f32 v2, v2, v49
	s_waitcnt lgkmcnt(3)
	v_mul_f32_e32 v67, v58, v42
	v_dual_mul_f32 v42, v57, v42 :: v_dual_mul_f32 v49, v58, v44
	s_delay_alu instid0(VALU_DEP_2) | instskip(NEXT) | instid1(VALU_DEP_2)
	v_fma_f32 v50, v57, v41, -v67
	v_dual_fmac_f32 v42, v58, v41 :: v_dual_mul_f32 v67, v57, v44
	s_delay_alu instid0(VALU_DEP_3)
	v_fma_f32 v41, v57, v43, -v49
	s_waitcnt lgkmcnt(1)
	v_mul_f32_e32 v44, v52, v46
	v_add_f32_e32 v49, v66, v50
	v_add_f32_e32 v1, v1, v42
	v_dual_fmac_f32 v67, v58, v43 :: v_dual_add_f32 v50, v68, v41
	s_delay_alu instid0(VALU_DEP_4) | instskip(SKIP_4) | instid1(VALU_DEP_3)
	v_fma_f32 v58, v51, v45, -v44
	ds_load_2addr_b64 v[41:44], v0 offset0:64 offset1:80
	v_dual_mul_f32 v57, v51, v46 :: v_dual_mul_f32 v66, v52, v48
	v_add_f32_e32 v23, v23, v67
	v_dual_mul_f32 v67, v51, v48 :: v_dual_add_f32 v58, v69, v58
	v_fmac_f32_e32 v57, v52, v45
	s_delay_alu instid0(VALU_DEP_4) | instskip(SKIP_1) | instid1(VALU_DEP_4)
	v_fma_f32 v51, v51, v47, -v66
	v_mul_f32_e32 v66, v60, v46
	v_dual_mul_f32 v46, v59, v46 :: v_dual_fmac_f32 v67, v52, v47
	s_delay_alu instid0(VALU_DEP_3) | instskip(NEXT) | instid1(VALU_DEP_3)
	v_dual_add_f32 v3, v3, v57 :: v_dual_add_f32 v2, v2, v51
	v_fma_f32 v51, v59, v45, -v66
	s_delay_alu instid0(VALU_DEP_3) | instskip(SKIP_2) | instid1(VALU_DEP_4)
	v_fmac_f32_e32 v46, v60, v45
	v_mul_f32_e32 v45, v60, v48
	v_dual_mul_f32 v57, v59, v48 :: v_dual_add_f32 v52, v65, v67
	v_add_f32_e32 v49, v49, v51
	s_delay_alu instid0(VALU_DEP_4) | instskip(NEXT) | instid1(VALU_DEP_4)
	v_add_f32_e32 v1, v1, v46
	v_fma_f32 v51, v59, v47, -v45
	s_waitcnt lgkmcnt(0)
	v_mul_f32_e32 v59, v62, v42
	v_fmac_f32_e32 v57, v60, v47
	ds_load_2addr_b64 v[45:48], v0 offset0:96 offset1:112
	v_dual_mul_f32 v65, v61, v44 :: v_dual_add_f32 v50, v50, v51
	v_fma_f32 v51, v61, v41, -v59
	v_mul_f32_e32 v59, v62, v44
	v_dual_add_f32 v23, v23, v57 :: v_dual_mul_f32 v60, v61, v42
	s_delay_alu instid0(VALU_DEP_4) | instskip(NEXT) | instid1(VALU_DEP_4)
	v_fmac_f32_e32 v65, v62, v43
	v_add_f32_e32 v57, v58, v51
	s_delay_alu instid0(VALU_DEP_4) | instskip(SKIP_3) | instid1(VALU_DEP_4)
	v_fma_f32 v51, v61, v43, -v59
	v_mul_f32_e32 v58, v54, v42
	v_mul_f32_e32 v42, v53, v42
	v_fmac_f32_e32 v60, v62, v41
	v_dual_add_f32 v59, v52, v65 :: v_dual_add_f32 v2, v2, v51
	v_mul_f32_e32 v51, v54, v44
	v_fma_f32 v52, v53, v41, -v58
	v_fmac_f32_e32 v42, v54, v41
	v_mul_f32_e32 v58, v53, v44
	v_add_f32_e32 v3, v3, v60
	v_fma_f32 v41, v53, v43, -v51
	s_waitcnt lgkmcnt(0)
	v_dual_mul_f32 v44, v64, v46 :: v_dual_add_f32 v53, v49, v52
	v_dual_add_f32 v1, v1, v42 :: v_dual_fmac_f32 v58, v54, v43
	s_delay_alu instid0(VALU_DEP_3) | instskip(NEXT) | instid1(VALU_DEP_3)
	v_add_f32_e32 v54, v50, v41
	v_fma_f32 v60, v63, v45, -v44
	ds_load_2addr_b64 v[41:44], v0 offset0:128 offset1:144
	ds_load_b128 v[49:52], v33 offset:224
	v_dual_mul_f32 v61, v63, v46 :: v_dual_mul_f32 v62, v64, v48
	v_add_f32_e32 v23, v23, v58
	v_mul_f32_e32 v58, v63, v48
	v_add_f32_e32 v65, v57, v60
	s_delay_alu instid0(VALU_DEP_4) | instskip(SKIP_4) | instid1(VALU_DEP_4)
	v_fmac_f32_e32 v61, v64, v45
	v_fma_f32 v62, v63, v47, -v62
	v_mul_f32_e32 v57, v56, v46
	v_fmac_f32_e32 v58, v64, v47
	v_mul_f32_e32 v46, v55, v46
	v_dual_add_f32 v3, v3, v61 :: v_dual_add_f32 v2, v2, v62
	s_delay_alu instid0(VALU_DEP_4)
	v_fma_f32 v61, v55, v45, -v57
	v_mul_f32_e32 v62, v56, v48
	v_add_f32_e32 v66, v59, v58
	ds_load_b128 v[57:60], v33 offset:4320
	v_fmac_f32_e32 v46, v56, v45
	v_add_f32_e32 v67, v53, v61
	v_mul_f32_e32 v53, v55, v48
	v_fma_f32 v45, v55, v47, -v62
	ds_load_b128 v[61:64], v33 offset:240
	s_waitcnt lgkmcnt(2)
	v_mul_f32_e32 v48, v50, v42
	v_add_f32_e32 v1, v1, v46
	v_dual_fmac_f32 v53, v56, v47 :: v_dual_add_f32 v68, v54, v45
	v_mul_f32_e32 v69, v49, v42
	s_delay_alu instid0(VALU_DEP_4)
	v_fma_f32 v54, v49, v41, -v48
	ds_load_2addr_b64 v[45:48], v0 offset0:160 offset1:176
	v_mul_f32_e32 v55, v50, v44
	v_dual_mul_f32 v70, v49, v44 :: v_dual_fmac_f32 v69, v50, v41
	v_add_f32_e32 v65, v65, v54
	v_add_f32_e32 v23, v23, v53
	s_delay_alu instid0(VALU_DEP_4) | instskip(NEXT) | instid1(VALU_DEP_4)
	v_fma_f32 v49, v49, v43, -v55
	v_fmac_f32_e32 v70, v50, v43
	s_waitcnt lgkmcnt(2)
	v_mul_f32_e32 v71, v58, v42
	v_mul_f32_e32 v42, v57, v42
	v_dual_mul_f32 v50, v58, v44 :: v_dual_add_f32 v3, v3, v69
	v_add_f32_e32 v2, v2, v49
	s_delay_alu instid0(VALU_DEP_4) | instskip(NEXT) | instid1(VALU_DEP_4)
	v_fma_f32 v49, v57, v41, -v71
	v_dual_fmac_f32 v42, v58, v41 :: v_dual_mul_f32 v69, v57, v44
	s_delay_alu instid0(VALU_DEP_4)
	v_fma_f32 v41, v57, v43, -v50
	ds_load_b128 v[53:56], v33 offset:4336
	v_add_f32_e32 v49, v67, v49
	v_add_f32_e32 v1, v1, v42
	s_waitcnt lgkmcnt(1)
	v_dual_mul_f32 v44, v52, v46 :: v_dual_fmac_f32 v69, v58, v43
	v_dual_mul_f32 v50, v51, v46 :: v_dual_add_f32 v57, v68, v41
	v_mul_f32_e32 v67, v52, v48
	s_delay_alu instid0(VALU_DEP_3)
	v_fma_f32 v58, v51, v45, -v44
	ds_load_2addr_b64 v[41:44], v0 offset0:192 offset1:208
	v_fmac_f32_e32 v50, v52, v45
	v_dual_add_f32 v23, v23, v69 :: v_dual_add_f32 v66, v66, v70
	v_dual_add_f32 v58, v65, v58 :: v_dual_mul_f32 v65, v51, v48
	v_fma_f32 v51, v51, v47, -v67
	s_delay_alu instid0(VALU_DEP_4) | instskip(SKIP_1) | instid1(VALU_DEP_4)
	v_add_f32_e32 v50, v3, v50
	v_mul_f32_e32 v3, v60, v46
	v_dual_mul_f32 v46, v59, v46 :: v_dual_fmac_f32 v65, v52, v47
	s_delay_alu instid0(VALU_DEP_4) | instskip(NEXT) | instid1(VALU_DEP_3)
	v_dual_add_f32 v51, v2, v51 :: v_dual_mul_f32 v2, v60, v48
	v_fma_f32 v3, v59, v45, -v3
	s_delay_alu instid0(VALU_DEP_3) | instskip(NEXT) | instid1(VALU_DEP_4)
	v_fmac_f32_e32 v46, v60, v45
	v_dual_mul_f32 v48, v59, v48 :: v_dual_add_f32 v45, v66, v65
	s_delay_alu instid0(VALU_DEP_4) | instskip(NEXT) | instid1(VALU_DEP_4)
	v_fma_f32 v2, v59, v47, -v2
	v_add_f32_e32 v49, v49, v3
	s_delay_alu instid0(VALU_DEP_4)
	v_add_f32_e32 v46, v1, v46
	s_waitcnt lgkmcnt(0)
	v_mul_f32_e32 v52, v62, v42
	v_dual_fmac_f32 v48, v60, v47 :: v_dual_add_f32 v47, v57, v2
	ds_load_2addr_b64 v[0:3], v0 offset0:224 offset1:240
	v_mul_f32_e32 v57, v61, v42
	v_fma_f32 v52, v61, v41, -v52
	v_add_f32_e32 v23, v23, v48
	v_mul_f32_e32 v48, v62, v44
	v_mul_f32_e32 v59, v61, v44
	v_fmac_f32_e32 v57, v62, v41
	v_add_f32_e32 v52, v58, v52
	v_mul_f32_e32 v58, v54, v42
	v_fma_f32 v48, v61, v43, -v48
	v_mul_f32_e32 v42, v53, v42
	v_add_f32_e32 v50, v50, v57
	v_fmac_f32_e32 v59, v62, v43
	v_fma_f32 v57, v53, v41, -v58
	v_add_f32_e32 v48, v51, v48
	v_mul_f32_e32 v51, v54, v44
	v_fmac_f32_e32 v42, v54, v41
	v_mul_f32_e32 v44, v53, v44
	v_add_f32_e32 v41, v49, v57
	v_add_f32_e32 v45, v45, v59
	v_fma_f32 v49, v53, v43, -v51
	s_waitcnt lgkmcnt(0)
	v_mul_f32_e32 v51, v64, v1
	v_dual_mul_f32 v53, v63, v1 :: v_dual_fmac_f32 v44, v54, v43
	s_delay_alu instid0(VALU_DEP_3) | instskip(NEXT) | instid1(VALU_DEP_3)
	v_dual_add_f32 v42, v46, v42 :: v_dual_add_f32 v49, v47, v49
	v_fma_f32 v43, v63, v0, -v51
	s_delay_alu instid0(VALU_DEP_3) | instskip(SKIP_2) | instid1(VALU_DEP_4)
	v_fmac_f32_e32 v53, v64, v0
	v_mul_f32_e32 v51, v64, v3
	v_mul_f32_e32 v54, v63, v3
	v_dual_add_f32 v23, v23, v44 :: v_dual_add_f32 v46, v52, v43
	s_delay_alu instid0(VALU_DEP_4) | instskip(NEXT) | instid1(VALU_DEP_4)
	v_add_f32_e32 v47, v50, v53
	v_fma_f32 v43, v63, v2, -v51
	v_mul_f32_e32 v50, v56, v1
	v_mul_f32_e32 v1, v55, v1
	;; [unrolled: 1-line block ×3, first 2 shown]
	v_dual_mul_f32 v3, v55, v3 :: v_dual_fmac_f32 v54, v64, v2
	v_add_f32_e32 v44, v48, v43
	v_fma_f32 v43, v55, v0, -v50
	v_fmac_f32_e32 v1, v56, v0
	v_fma_f32 v0, v55, v2, -v51
	v_fmac_f32_e32 v3, v56, v2
	v_add_f32_e32 v45, v45, v54
	s_delay_alu instid0(VALU_DEP_4) | instskip(NEXT) | instid1(VALU_DEP_4)
	v_dual_add_f32 v43, v41, v43 :: v_dual_add_f32 v42, v42, v1
	v_add_f32_e32 v41, v49, v0
	s_delay_alu instid0(VALU_DEP_4)
	v_add_f32_e32 v23, v23, v3
	s_barrier
	buffer_gl0_inv
	s_cbranch_scc1 .LBB81_55
.LBB81_7:                               ;   Parent Loop BB81_4 Depth=1
                                        ; =>  This Inner Loop Header: Depth=2
	v_add_co_u32 v2, s5, v4, s22
	s_delay_alu instid0(VALU_DEP_1) | instskip(SKIP_1) | instid1(VALU_DEP_2)
	v_add_co_ci_u32_e64 v3, s5, s23, v5, s5
	v_cmp_eq_u64_e64 s7, s[22:23], v[14:15]
	v_cmp_le_i64_e64 s6, s[12:13], v[2:3]
	v_cmp_lt_i64_e64 s5, v[2:3], v[6:7]
	s_delay_alu instid0(VALU_DEP_3) | instskip(NEXT) | instid1(VALU_DEP_1)
	s_and_b32 s25, s42, s7
	s_or_b32 s7, s6, s5
	s_delay_alu instid0(SALU_CYCLE_1) | instskip(SKIP_1) | instid1(VALU_DEP_1)
	s_or_b32 s8, s7, s25
	v_add_co_u32 v0, s7, v35, s20
	v_add_co_ci_u32_e64 v1, s7, s21, v36, s7
	s_or_b32 s7, s0, s8
	s_delay_alu instid0(SALU_CYCLE_1) | instskip(NEXT) | instid1(SALU_CYCLE_1)
	s_xor_b32 s7, s7, -1
	s_and_saveexec_b32 s8, s7
	s_delay_alu instid0(SALU_CYCLE_1)
	s_xor_b32 s7, exec_lo, s8
	s_cbranch_execz .LBB81_9
; %bb.8:                                ;   in Loop: Header=BB81_7 Depth=2
	global_load_b64 v[48:49], v[0:1], off
	s_waitcnt vmcnt(0)
	v_xor_b32_e32 v49, 0x80000000, v49
	ds_store_b64 v32, v[48:49]
.LBB81_9:                               ;   in Loop: Header=BB81_7 Depth=2
	s_or_saveexec_b32 s7, s7
	s_xor_b32 s24, s25, -1
	s_xor_b32 exec_lo, exec_lo, s7
	s_cbranch_execz .LBB81_15
; %bb.10:                               ;   in Loop: Header=BB81_7 Depth=2
	s_and_saveexec_b32 s8, s24
	s_delay_alu instid0(SALU_CYCLE_1)
	s_xor_b32 s8, exec_lo, s8
	s_cbranch_execz .LBB81_12
; %bb.11:                               ;   in Loop: Header=BB81_7 Depth=2
	v_mov_b32_e32 v48, v25
	v_mov_b32_e32 v49, v25
	ds_store_b64 v32, v[48:49]
.LBB81_12:                              ;   in Loop: Header=BB81_7 Depth=2
	s_and_not1_saveexec_b32 s8, s8
	s_cbranch_execz .LBB81_14
; %bb.13:                               ;   in Loop: Header=BB81_7 Depth=2
	ds_store_b64 v32, v[24:25]
.LBB81_14:                              ;   in Loop: Header=BB81_7 Depth=2
	s_or_b32 exec_lo, exec_lo, s8
.LBB81_15:                              ;   in Loop: Header=BB81_7 Depth=2
	s_delay_alu instid0(SALU_CYCLE_1) | instskip(SKIP_2) | instid1(VALU_DEP_2)
	s_or_b32 exec_lo, exec_lo, s7
	v_cmp_eq_u64_e64 s7, s[22:23], v[16:17]
	v_cmp_gt_i64_e64 s8, v[10:11], v[2:3]
	s_and_b32 s7, s42, s7
	s_delay_alu instid0(VALU_DEP_1) | instskip(NEXT) | instid1(SALU_CYCLE_1)
	s_or_b32 s6, s6, s8
	s_or_b32 s6, s6, s7
	s_delay_alu instid0(SALU_CYCLE_1) | instskip(NEXT) | instid1(SALU_CYCLE_1)
	s_or_b32 s6, s3, s6
	s_xor_b32 s6, s6, -1
	s_delay_alu instid0(SALU_CYCLE_1) | instskip(NEXT) | instid1(SALU_CYCLE_1)
	s_and_saveexec_b32 s8, s6
	s_xor_b32 s8, exec_lo, s8
	s_cbranch_execz .LBB81_17
; %bb.16:                               ;   in Loop: Header=BB81_7 Depth=2
	v_add_co_u32 v48, s6, v37, s20
	s_delay_alu instid0(VALU_DEP_1)
	v_add_co_ci_u32_e64 v49, s6, s21, v38, s6
	global_load_b64 v[48:49], v[48:49], off
	s_waitcnt vmcnt(0)
	v_xor_b32_e32 v49, 0x80000000, v49
	ds_store_b64 v32, v[48:49] offset:128
.LBB81_17:                              ;   in Loop: Header=BB81_7 Depth=2
	s_and_not1_saveexec_b32 s6, s8
	s_cbranch_execz .LBB81_23
; %bb.18:                               ;   in Loop: Header=BB81_7 Depth=2
	s_xor_b32 s7, s7, -1
	s_delay_alu instid0(SALU_CYCLE_1) | instskip(NEXT) | instid1(SALU_CYCLE_1)
	s_and_saveexec_b32 s8, s7
	s_xor_b32 s7, exec_lo, s8
	s_cbranch_execz .LBB81_20
; %bb.19:                               ;   in Loop: Header=BB81_7 Depth=2
	v_mov_b32_e32 v48, v25
	v_mov_b32_e32 v49, v25
	ds_store_b64 v32, v[48:49] offset:128
.LBB81_20:                              ;   in Loop: Header=BB81_7 Depth=2
	s_and_not1_saveexec_b32 s7, s7
	s_cbranch_execz .LBB81_22
; %bb.21:                               ;   in Loop: Header=BB81_7 Depth=2
	ds_store_b64 v32, v[24:25] offset:128
.LBB81_22:                              ;   in Loop: Header=BB81_7 Depth=2
	s_or_b32 exec_lo, exec_lo, s7
.LBB81_23:                              ;   in Loop: Header=BB81_7 Depth=2
	s_delay_alu instid0(SALU_CYCLE_1) | instskip(SKIP_1) | instid1(VALU_DEP_1)
	s_or_b32 exec_lo, exec_lo, s6
	v_add_co_u32 v2, s6, v2, 16
	v_add_co_ci_u32_e64 v3, s6, 0, v3, s6
	v_cmp_eq_u64_e64 s7, s[22:23], v[18:19]
	s_delay_alu instid0(VALU_DEP_2) | instskip(SKIP_1) | instid1(VALU_DEP_3)
	v_cmp_le_i64_e64 s6, s[12:13], v[2:3]
	v_cmp_lt_i64_e64 s8, v[2:3], v[6:7]
	s_and_b32 s26, s42, s7
	s_delay_alu instid0(VALU_DEP_1) | instskip(NEXT) | instid1(SALU_CYCLE_1)
	s_or_b32 s7, s6, s8
	s_or_b32 s7, s7, s26
	s_delay_alu instid0(SALU_CYCLE_1) | instskip(NEXT) | instid1(SALU_CYCLE_1)
	s_or_b32 s7, s0, s7
	s_xor_b32 s7, s7, -1
	s_delay_alu instid0(SALU_CYCLE_1) | instskip(NEXT) | instid1(SALU_CYCLE_1)
	s_and_saveexec_b32 s8, s7
	s_xor_b32 s7, exec_lo, s8
	s_cbranch_execz .LBB81_25
; %bb.24:                               ;   in Loop: Header=BB81_7 Depth=2
	global_load_b64 v[0:1], v[0:1], off offset:128
	s_waitcnt vmcnt(0)
	v_xor_b32_e32 v1, 0x80000000, v1
	ds_store_b64 v32, v[0:1] offset:4096
.LBB81_25:                              ;   in Loop: Header=BB81_7 Depth=2
	s_and_not1_saveexec_b32 s7, s7
	s_cbranch_execz .LBB81_31
; %bb.26:                               ;   in Loop: Header=BB81_7 Depth=2
	s_xor_b32 s8, s26, -1
	s_delay_alu instid0(SALU_CYCLE_1) | instskip(NEXT) | instid1(SALU_CYCLE_1)
	s_and_saveexec_b32 s26, s8
	s_xor_b32 s8, exec_lo, s26
	s_cbranch_execz .LBB81_28
; %bb.27:                               ;   in Loop: Header=BB81_7 Depth=2
	v_mov_b32_e32 v0, v25
	v_mov_b32_e32 v1, v25
	ds_store_b64 v32, v[0:1] offset:4096
.LBB81_28:                              ;   in Loop: Header=BB81_7 Depth=2
	s_and_not1_saveexec_b32 s8, s8
	s_cbranch_execz .LBB81_30
; %bb.29:                               ;   in Loop: Header=BB81_7 Depth=2
	ds_store_b64 v32, v[24:25] offset:4096
.LBB81_30:                              ;   in Loop: Header=BB81_7 Depth=2
	s_or_b32 exec_lo, exec_lo, s8
.LBB81_31:                              ;   in Loop: Header=BB81_7 Depth=2
	s_delay_alu instid0(SALU_CYCLE_1) | instskip(SKIP_1) | instid1(SALU_CYCLE_1)
	s_or_b32 exec_lo, exec_lo, s7
	s_or_b32 s5, s6, s5
	s_or_b32 s5, s5, s25
	s_delay_alu instid0(SALU_CYCLE_1) | instskip(NEXT) | instid1(SALU_CYCLE_1)
	s_or_b32 s5, s3, s5
	s_xor_b32 s5, s5, -1
	s_delay_alu instid0(SALU_CYCLE_1) | instskip(NEXT) | instid1(SALU_CYCLE_1)
	s_and_saveexec_b32 s6, s5
	s_xor_b32 s6, exec_lo, s6
	s_cbranch_execz .LBB81_33
; %bb.32:                               ;   in Loop: Header=BB81_7 Depth=2
	v_add_co_u32 v0, s5, v37, s20
	s_delay_alu instid0(VALU_DEP_1)
	v_add_co_ci_u32_e64 v1, s5, s21, v38, s5
	global_load_b64 v[0:1], v[0:1], off offset:128
	s_waitcnt vmcnt(0)
	v_xor_b32_e32 v1, 0x80000000, v1
	ds_store_b64 v32, v[0:1] offset:4224
.LBB81_33:                              ;   in Loop: Header=BB81_7 Depth=2
	s_and_not1_saveexec_b32 s5, s6
	s_cbranch_execz .LBB81_39
; %bb.34:                               ;   in Loop: Header=BB81_7 Depth=2
	s_and_saveexec_b32 s6, s24
	s_delay_alu instid0(SALU_CYCLE_1)
	s_xor_b32 s6, exec_lo, s6
	s_cbranch_execz .LBB81_36
; %bb.35:                               ;   in Loop: Header=BB81_7 Depth=2
	v_mov_b32_e32 v0, v25
	v_mov_b32_e32 v1, v25
	ds_store_b64 v32, v[0:1] offset:4224
.LBB81_36:                              ;   in Loop: Header=BB81_7 Depth=2
	s_and_not1_saveexec_b32 s6, s6
	s_cbranch_execz .LBB81_38
; %bb.37:                               ;   in Loop: Header=BB81_7 Depth=2
	ds_store_b64 v32, v[24:25] offset:4224
.LBB81_38:                              ;   in Loop: Header=BB81_7 Depth=2
	s_or_b32 exec_lo, exec_lo, s6
.LBB81_39:                              ;   in Loop: Header=BB81_7 Depth=2
	s_delay_alu instid0(SALU_CYCLE_1) | instskip(SKIP_1) | instid1(VALU_DEP_1)
	s_or_b32 exec_lo, exec_lo, s5
	v_add_co_u32 v0, s5, v6, s22
	v_add_co_ci_u32_e64 v1, s5, s23, v7, s5
	s_delay_alu instid0(VALU_DEP_1) | instskip(NEXT) | instid1(VALU_DEP_1)
	v_cmp_gt_i64_e64 s5, s[12:13], v[0:1]
	s_and_b32 s6, vcc_lo, s5
	s_delay_alu instid0(SALU_CYCLE_1) | instskip(NEXT) | instid1(SALU_CYCLE_1)
	s_xor_b32 s6, s6, -1
	s_and_saveexec_b32 s7, s6
	s_delay_alu instid0(SALU_CYCLE_1)
	s_xor_b32 s6, exec_lo, s7
	s_cbranch_execz .LBB81_41
; %bb.40:                               ;   in Loop: Header=BB81_7 Depth=2
	v_mov_b32_e32 v2, v25
	v_mov_b32_e32 v3, v25
	ds_store_b64 v34, v[2:3]
.LBB81_41:                              ;   in Loop: Header=BB81_7 Depth=2
	s_or_saveexec_b32 s7, s6
	v_add_co_u32 v2, s6, v26, s20
	s_delay_alu instid0(VALU_DEP_1)
	v_add_co_ci_u32_e64 v3, s6, s21, v27, s6
	s_xor_b32 exec_lo, exec_lo, s7
	s_cbranch_execz .LBB81_43
; %bb.42:                               ;   in Loop: Header=BB81_7 Depth=2
	global_load_b64 v[48:49], v[2:3], off offset:-128
	s_waitcnt vmcnt(0)
	ds_store_b64 v34, v[48:49]
.LBB81_43:                              ;   in Loop: Header=BB81_7 Depth=2
	s_or_b32 exec_lo, exec_lo, s7
	v_cmp_gt_i64_e64 s6, s[18:19], v[0:1]
	s_delay_alu instid0(VALU_DEP_1) | instskip(NEXT) | instid1(SALU_CYCLE_1)
	s_and_b32 s7, vcc_lo, s6
	s_xor_b32 s7, s7, -1
	s_delay_alu instid0(SALU_CYCLE_1) | instskip(NEXT) | instid1(SALU_CYCLE_1)
	s_and_saveexec_b32 s8, s7
	s_xor_b32 s7, exec_lo, s8
	s_cbranch_execz .LBB81_45
; %bb.44:                               ;   in Loop: Header=BB81_7 Depth=2
	v_mov_b32_e32 v0, v25
	v_mov_b32_e32 v1, v25
                                        ; implicit-def: $vgpr2_vgpr3
	ds_store_b64 v34, v[0:1] offset:128
.LBB81_45:                              ;   in Loop: Header=BB81_7 Depth=2
	s_and_not1_saveexec_b32 s7, s7
	s_cbranch_execz .LBB81_47
; %bb.46:                               ;   in Loop: Header=BB81_7 Depth=2
	global_load_b64 v[0:1], v[2:3], off
	s_waitcnt vmcnt(0)
	ds_store_b64 v34, v[0:1] offset:128
.LBB81_47:                              ;   in Loop: Header=BB81_7 Depth=2
	s_or_b32 exec_lo, exec_lo, s7
	s_and_b32 s5, s4, s5
	s_delay_alu instid0(SALU_CYCLE_1) | instskip(NEXT) | instid1(SALU_CYCLE_1)
	s_xor_b32 s5, s5, -1
	s_and_saveexec_b32 s7, s5
	s_delay_alu instid0(SALU_CYCLE_1)
	s_xor_b32 s5, exec_lo, s7
	s_cbranch_execz .LBB81_49
; %bb.48:                               ;   in Loop: Header=BB81_7 Depth=2
	v_mov_b32_e32 v0, v25
	v_mov_b32_e32 v1, v25
	ds_store_b64 v34, v[0:1] offset:4096
.LBB81_49:                              ;   in Loop: Header=BB81_7 Depth=2
	s_and_not1_saveexec_b32 s7, s5
	s_cbranch_execz .LBB81_51
; %bb.50:                               ;   in Loop: Header=BB81_7 Depth=2
	v_add_co_u32 v0, s5, v28, s20
	s_delay_alu instid0(VALU_DEP_1)
	v_add_co_ci_u32_e64 v1, s5, s21, v29, s5
	global_load_b64 v[0:1], v[0:1], off offset:-128
	s_waitcnt vmcnt(0)
	ds_store_b64 v34, v[0:1] offset:4096
.LBB81_51:                              ;   in Loop: Header=BB81_7 Depth=2
	s_or_b32 exec_lo, exec_lo, s7
	s_and_b32 s5, s4, s6
	s_delay_alu instid0(SALU_CYCLE_1) | instskip(NEXT) | instid1(SALU_CYCLE_1)
	s_xor_b32 s5, s5, -1
	s_and_saveexec_b32 s6, s5
	s_delay_alu instid0(SALU_CYCLE_1)
	s_xor_b32 s5, exec_lo, s6
	s_cbranch_execz .LBB81_53
; %bb.52:                               ;   in Loop: Header=BB81_7 Depth=2
	v_mov_b32_e32 v0, v25
	v_mov_b32_e32 v1, v25
	ds_store_b64 v34, v[0:1] offset:4224
.LBB81_53:                              ;   in Loop: Header=BB81_7 Depth=2
	s_and_not1_saveexec_b32 s6, s5
	s_cbranch_execz .LBB81_6
; %bb.54:                               ;   in Loop: Header=BB81_7 Depth=2
	v_add_co_u32 v0, s5, v28, s20
	s_delay_alu instid0(VALU_DEP_1)
	v_add_co_ci_u32_e64 v1, s5, s21, v29, s5
	global_load_b64 v[0:1], v[0:1], off
	s_waitcnt vmcnt(0)
	ds_store_b64 v34, v[0:1] offset:4224
	s_branch .LBB81_6
.LBB81_55:                              ;   in Loop: Header=BB81_4 Depth=1
	v_mul_lo_u32 v2, v40, s40
	v_mul_lo_u32 v3, v39, s41
	v_mad_u64_u32 v[0:1], null, v39, s40, 0
	v_cmp_gt_i32_e32 vcc_lo, s10, v39
	s_delay_alu instid0(VALU_DEP_2) | instskip(NEXT) | instid1(VALU_DEP_1)
	v_add3_u32 v1, v1, v3, v2
	v_lshlrev_b64 v[0:1], 3, v[0:1]
	s_delay_alu instid0(VALU_DEP_1) | instskip(NEXT) | instid1(VALU_DEP_1)
	v_add_co_u32 v0, s4, s36, v0
	v_add_co_ci_u32_e64 v1, s4, s37, v1, s4
	s_and_b32 s4, s1, vcc_lo
	s_delay_alu instid0(SALU_CYCLE_1)
	s_and_saveexec_b32 s5, s4
	s_cbranch_execz .LBB81_57
; %bb.56:                               ;   in Loop: Header=BB81_4 Depth=1
	v_add_co_u32 v2, s4, v0, v12
	s_delay_alu instid0(VALU_DEP_1) | instskip(SKIP_2) | instid1(VALU_DEP_1)
	v_add_co_ci_u32_e64 v3, s4, v1, v13, s4
	global_load_b64 v[26:27], v[2:3], off
	v_mul_f32_e32 v29, s11, v47
	v_dual_mul_f32 v28, s33, v47 :: v_dual_fmac_f32 v29, s33, v46
	s_delay_alu instid0(VALU_DEP_1) | instskip(SKIP_1) | instid1(VALU_DEP_1)
	v_fma_f32 v28, v46, s11, -v28
	s_waitcnt vmcnt(0)
	v_dual_add_f32 v26, v26, v28 :: v_dual_add_f32 v27, v27, v29
	global_store_b64 v[2:3], v[26:27], off
.LBB81_57:                              ;   in Loop: Header=BB81_4 Depth=1
	s_or_b32 exec_lo, exec_lo, s5
	s_and_b32 s5, s2, vcc_lo
	s_delay_alu instid0(SALU_CYCLE_1)
	s_and_saveexec_b32 s4, s5
	s_cbranch_execz .LBB81_59
; %bb.58:                               ;   in Loop: Header=BB81_4 Depth=1
	v_lshlrev_b64 v[2:3], 3, v[8:9]
	s_delay_alu instid0(VALU_DEP_1) | instskip(NEXT) | instid1(VALU_DEP_2)
	v_add_co_u32 v0, vcc_lo, v0, v2
	v_add_co_ci_u32_e32 v1, vcc_lo, v1, v3, vcc_lo
	global_load_b64 v[2:3], v[0:1], off
	v_mul_f32_e32 v27, s11, v45
	s_delay_alu instid0(VALU_DEP_1) | instskip(NEXT) | instid1(VALU_DEP_1)
	v_dual_mul_f32 v26, s33, v45 :: v_dual_fmac_f32 v27, s33, v44
	v_fma_f32 v26, v44, s11, -v26
	s_waitcnt vmcnt(0)
	s_delay_alu instid0(VALU_DEP_1)
	v_dual_add_f32 v2, v2, v26 :: v_dual_add_f32 v3, v3, v27
	global_store_b64 v[0:1], v[2:3], off
.LBB81_59:                              ;   in Loop: Header=BB81_4 Depth=1
	s_or_b32 exec_lo, exec_lo, s4
	v_add_nc_u32_e32 v2, 16, v39
	s_delay_alu instid0(VALU_DEP_1) | instskip(SKIP_3) | instid1(VALU_DEP_4)
	v_ashrrev_i32_e32 v3, 31, v2
	v_mul_lo_u32 v26, v2, s41
	v_mad_u64_u32 v[0:1], null, v2, s40, 0
	v_cmp_gt_i32_e32 vcc_lo, s10, v2
	v_mul_lo_u32 v3, v3, s40
	s_delay_alu instid0(VALU_DEP_1) | instskip(NEXT) | instid1(VALU_DEP_1)
	v_add3_u32 v1, v1, v26, v3
	v_lshlrev_b64 v[0:1], 3, v[0:1]
	s_delay_alu instid0(VALU_DEP_1) | instskip(NEXT) | instid1(VALU_DEP_1)
	v_add_co_u32 v0, s4, s36, v0
	v_add_co_ci_u32_e64 v1, s4, s37, v1, s4
	s_and_b32 s4, s1, vcc_lo
	s_delay_alu instid0(SALU_CYCLE_1)
	s_and_saveexec_b32 s5, s4
	s_cbranch_execz .LBB81_61
; %bb.60:                               ;   in Loop: Header=BB81_4 Depth=1
	v_add_co_u32 v2, s4, v0, v12
	s_delay_alu instid0(VALU_DEP_1) | instskip(SKIP_2) | instid1(VALU_DEP_1)
	v_add_co_ci_u32_e64 v3, s4, v1, v13, s4
	global_load_b64 v[26:27], v[2:3], off
	v_mul_f32_e32 v29, s11, v42
	v_dual_mul_f32 v28, s33, v42 :: v_dual_fmac_f32 v29, s33, v43
	s_delay_alu instid0(VALU_DEP_1) | instskip(SKIP_1) | instid1(VALU_DEP_1)
	v_fma_f32 v28, v43, s11, -v28
	s_waitcnt vmcnt(0)
	v_dual_add_f32 v26, v26, v28 :: v_dual_add_f32 v27, v27, v29
	global_store_b64 v[2:3], v[26:27], off
.LBB81_61:                              ;   in Loop: Header=BB81_4 Depth=1
	s_or_b32 exec_lo, exec_lo, s5
	s_and_b32 s5, s2, vcc_lo
	s_delay_alu instid0(SALU_CYCLE_1)
	s_and_saveexec_b32 s4, s5
	s_cbranch_execz .LBB81_3
; %bb.62:                               ;   in Loop: Header=BB81_4 Depth=1
	v_lshlrev_b64 v[2:3], 3, v[8:9]
	v_mul_f32_e32 v26, s33, v23
	s_delay_alu instid0(VALU_DEP_2) | instskip(NEXT) | instid1(VALU_DEP_3)
	v_add_co_u32 v0, vcc_lo, v0, v2
	v_add_co_ci_u32_e32 v1, vcc_lo, v1, v3, vcc_lo
	global_load_b64 v[2:3], v[0:1], off
	v_mul_f32_e32 v23, s11, v23
	s_delay_alu instid0(VALU_DEP_1) | instskip(SKIP_2) | instid1(VALU_DEP_1)
	v_fmac_f32_e32 v23, s33, v41
	v_fma_f32 v26, v41, s11, -v26
	s_waitcnt vmcnt(0)
	v_dual_add_f32 v2, v2, v26 :: v_dual_add_f32 v3, v3, v23
	global_store_b64 v[0:1], v[2:3], off
	s_branch .LBB81_3
.LBB81_63:
	s_nop 0
	s_sendmsg sendmsg(MSG_DEALLOC_VGPRS)
	s_endpgm
	.section	.rodata,"a",@progbits
	.p2align	6, 0x0
	.amdhsa_kernel _ZL30rocblas_trmm_outofplace_kernelI19rocblas_complex_numIfELi32ELi2ELb1ELb0ELb1ELb1ES1_KS1_S1_Ev17rocblas_diagonal_iiT6_lPT7_lllS6_lllPT8_llli
		.amdhsa_group_segment_fixed_size 16384
		.amdhsa_private_segment_fixed_size 0
		.amdhsa_kernarg_size 392
		.amdhsa_user_sgpr_count 13
		.amdhsa_user_sgpr_dispatch_ptr 0
		.amdhsa_user_sgpr_queue_ptr 0
		.amdhsa_user_sgpr_kernarg_segment_ptr 1
		.amdhsa_user_sgpr_dispatch_id 0
		.amdhsa_user_sgpr_private_segment_size 0
		.amdhsa_wavefront_size32 1
		.amdhsa_uses_dynamic_stack 0
		.amdhsa_enable_private_segment 0
		.amdhsa_system_sgpr_workgroup_id_x 1
		.amdhsa_system_sgpr_workgroup_id_y 1
		.amdhsa_system_sgpr_workgroup_id_z 1
		.amdhsa_system_sgpr_workgroup_info 0
		.amdhsa_system_vgpr_workitem_id 1
		.amdhsa_next_free_vgpr 82
		.amdhsa_next_free_sgpr 45
		.amdhsa_reserve_vcc 1
		.amdhsa_float_round_mode_32 0
		.amdhsa_float_round_mode_16_64 0
		.amdhsa_float_denorm_mode_32 3
		.amdhsa_float_denorm_mode_16_64 3
		.amdhsa_dx10_clamp 1
		.amdhsa_ieee_mode 1
		.amdhsa_fp16_overflow 0
		.amdhsa_workgroup_processor_mode 1
		.amdhsa_memory_ordered 1
		.amdhsa_forward_progress 0
		.amdhsa_shared_vgpr_count 0
		.amdhsa_exception_fp_ieee_invalid_op 0
		.amdhsa_exception_fp_denorm_src 0
		.amdhsa_exception_fp_ieee_div_zero 0
		.amdhsa_exception_fp_ieee_overflow 0
		.amdhsa_exception_fp_ieee_underflow 0
		.amdhsa_exception_fp_ieee_inexact 0
		.amdhsa_exception_int_div_zero 0
	.end_amdhsa_kernel
	.section	.text._ZL30rocblas_trmm_outofplace_kernelI19rocblas_complex_numIfELi32ELi2ELb1ELb0ELb1ELb1ES1_KS1_S1_Ev17rocblas_diagonal_iiT6_lPT7_lllS6_lllPT8_llli,"axG",@progbits,_ZL30rocblas_trmm_outofplace_kernelI19rocblas_complex_numIfELi32ELi2ELb1ELb0ELb1ELb1ES1_KS1_S1_Ev17rocblas_diagonal_iiT6_lPT7_lllS6_lllPT8_llli,comdat
.Lfunc_end81:
	.size	_ZL30rocblas_trmm_outofplace_kernelI19rocblas_complex_numIfELi32ELi2ELb1ELb0ELb1ELb1ES1_KS1_S1_Ev17rocblas_diagonal_iiT6_lPT7_lllS6_lllPT8_llli, .Lfunc_end81-_ZL30rocblas_trmm_outofplace_kernelI19rocblas_complex_numIfELi32ELi2ELb1ELb0ELb1ELb1ES1_KS1_S1_Ev17rocblas_diagonal_iiT6_lPT7_lllS6_lllPT8_llli
                                        ; -- End function
	.section	.AMDGPU.csdata,"",@progbits
; Kernel info:
; codeLenInByte = 7448
; NumSgprs: 47
; NumVgprs: 82
; ScratchSize: 0
; MemoryBound: 0
; FloatMode: 240
; IeeeMode: 1
; LDSByteSize: 16384 bytes/workgroup (compile time only)
; SGPRBlocks: 5
; VGPRBlocks: 10
; NumSGPRsForWavesPerEU: 47
; NumVGPRsForWavesPerEU: 82
; Occupancy: 16
; WaveLimiterHint : 0
; COMPUTE_PGM_RSRC2:SCRATCH_EN: 0
; COMPUTE_PGM_RSRC2:USER_SGPR: 13
; COMPUTE_PGM_RSRC2:TRAP_HANDLER: 0
; COMPUTE_PGM_RSRC2:TGID_X_EN: 1
; COMPUTE_PGM_RSRC2:TGID_Y_EN: 1
; COMPUTE_PGM_RSRC2:TGID_Z_EN: 1
; COMPUTE_PGM_RSRC2:TIDIG_COMP_CNT: 1
	.section	.text._ZL30rocblas_trmm_outofplace_kernelI19rocblas_complex_numIfELi32ELi2ELb1ELb1ELb1ELb1EPKS1_S2_S1_Ev17rocblas_diagonal_iiT6_lPT7_lllS7_lllPT8_llli,"axG",@progbits,_ZL30rocblas_trmm_outofplace_kernelI19rocblas_complex_numIfELi32ELi2ELb1ELb1ELb1ELb1EPKS1_S2_S1_Ev17rocblas_diagonal_iiT6_lPT7_lllS7_lllPT8_llli,comdat
	.globl	_ZL30rocblas_trmm_outofplace_kernelI19rocblas_complex_numIfELi32ELi2ELb1ELb1ELb1ELb1EPKS1_S2_S1_Ev17rocblas_diagonal_iiT6_lPT7_lllS7_lllPT8_llli ; -- Begin function _ZL30rocblas_trmm_outofplace_kernelI19rocblas_complex_numIfELi32ELi2ELb1ELb1ELb1ELb1EPKS1_S2_S1_Ev17rocblas_diagonal_iiT6_lPT7_lllS7_lllPT8_llli
	.p2align	8
	.type	_ZL30rocblas_trmm_outofplace_kernelI19rocblas_complex_numIfELi32ELi2ELb1ELb1ELb1ELb1EPKS1_S2_S1_Ev17rocblas_diagonal_iiT6_lPT7_lllS7_lllPT8_llli,@function
_ZL30rocblas_trmm_outofplace_kernelI19rocblas_complex_numIfELi32ELi2ELb1ELb1ELb1ELb1EPKS1_S2_S1_Ev17rocblas_diagonal_iiT6_lPT7_lllS7_lllPT8_llli: ; @_ZL30rocblas_trmm_outofplace_kernelI19rocblas_complex_numIfELi32ELi2ELb1ELb1ELb1ELb1EPKS1_S2_S1_Ev17rocblas_diagonal_iiT6_lPT7_lllS7_lllPT8_llli
; %bb.0:
	s_load_b512 s[16:31], s[0:1], 0x10
	s_waitcnt lgkmcnt(0)
	s_mul_i32 s2, s15, s19
	s_mul_hi_u32 s3, s15, s18
	s_delay_alu instid0(SALU_CYCLE_1) | instskip(SKIP_1) | instid1(SALU_CYCLE_1)
	s_add_i32 s3, s3, s2
	s_mul_i32 s2, s15, s18
	s_lshl_b64 s[2:3], s[2:3], 3
	s_delay_alu instid0(SALU_CYCLE_1) | instskip(SKIP_4) | instid1(SALU_CYCLE_1)
	s_add_u32 s2, s16, s2
	s_addc_u32 s3, s17, s3
	s_load_b64 s[34:35], s[2:3], 0x0
	s_waitcnt lgkmcnt(0)
	s_or_b32 s2, s34, s35
	s_bitset0_b32 s2, 31
	s_delay_alu instid0(SALU_CYCLE_1)
	s_cmp_eq_u32 s2, 0
	s_cbranch_scc1 .LBB82_63
; %bb.1:
	s_load_b128 s[8:11], s[0:1], 0x0
	s_waitcnt lgkmcnt(0)
	s_add_i32 s2, s10, -1
	s_delay_alu instid0(SALU_CYCLE_1) | instskip(NEXT) | instid1(SALU_CYCLE_1)
	s_ashr_i32 s3, s2, 31
	s_lshr_b32 s3, s3, 27
	s_delay_alu instid0(SALU_CYCLE_1) | instskip(NEXT) | instid1(SALU_CYCLE_1)
	s_add_i32 s2, s2, s3
	s_ashr_i32 s11, s2, 5
	s_delay_alu instid0(SALU_CYCLE_1)
	s_cmp_gt_i32 s14, s11
	s_cbranch_scc1 .LBB82_63
; %bb.2:
	s_clause 0x1
	s_load_b128 s[16:19], s[0:1], 0x70
	s_load_b256 s[36:43], s[0:1], 0x50
	s_mul_i32 s3, s15, s27
	s_mul_hi_u32 s4, s15, s26
	s_mul_i32 s2, s15, s26
	s_add_i32 s3, s4, s3
	s_load_b32 s26, s[0:1], 0x8c
	s_lshl_b64 s[4:5], s[2:3], 3
	v_and_b32_e32 v29, 0x3ff, v0
	s_add_u32 s2, s20, s4
	s_addc_u32 s3, s21, s5
	s_lshl_b64 s[6:7], s[22:23], 3
	v_bfe_u32 v28, v0, 10, 10
	s_add_u32 s22, s2, s6
	s_addc_u32 s3, s3, s7
	v_dual_mov_b32 v5, 0 :: v_dual_lshlrev_b32 v30, 3, v29
	s_delay_alu instid0(VALU_DEP_2)
	v_lshlrev_b32_e32 v0, 8, v28
	v_lshlrev_b32_e32 v2, 3, v28
	v_lshl_add_u32 v22, s14, 5, v28
	s_waitcnt lgkmcnt(0)
	s_mul_i32 s1, s15, s19
	s_mul_hi_u32 s2, s15, s18
	s_mul_i32 s0, s15, s18
	s_add_i32 s1, s2, s1
	v_add_nc_u32_e32 v31, v30, v0
	s_lshl_b64 s[0:1], s[0:1], 3
	v_add_nc_u32_e32 v32, 0x2000, v0
	s_add_u32 s2, s40, s0
	s_addc_u32 s12, s41, s1
	s_lshl_b64 s[0:1], s[42:43], 3
	s_delay_alu instid0(SALU_CYCLE_1)
	s_add_u32 s27, s2, s0
	s_addc_u32 s33, s12, s1
	s_lshl_b32 s40, s13, 5
	s_cmp_gt_i32 s13, -1
	v_add_nc_u32_e32 v6, s40, v29
	s_cselect_b32 s41, -1, 0
	s_cmpk_eq_i32 s8, 0x84
	s_mov_b32 s12, s9
	s_cselect_b32 s42, -1, 0
	v_ashrrev_i32_e32 v7, 31, v6
	v_mul_lo_u32 v3, v6, s25
	v_mad_u64_u32 v[0:1], null, v6, s24, 0
	v_add_co_u32 v10, vcc_lo, v6, 16
	s_delay_alu instid0(VALU_DEP_4)
	v_mul_lo_u32 v4, v7, s24
	v_add_co_ci_u32_e32 v11, vcc_lo, 0, v7, vcc_lo
	v_lshlrev_b64 v[12:13], 3, v[6:7]
	s_ashr_i32 s13, s9, 31
	s_ashr_i32 s43, s10, 31
	s_add_u32 s18, s9, -16
	s_addc_u32 s19, s13, -1
	s_delay_alu instid0(VALU_DEP_3)
	v_add3_u32 v1, v1, v3, v4
	s_add_u32 s4, s6, s4
	s_addc_u32 s5, s7, s5
	s_lshl_b64 s[6:7], s[30:31], 3
	v_add_nc_u32_e32 v8, 16, v6
	v_lshlrev_b64 v[0:1], 3, v[0:1]
	v_add_nc_u32_e32 v33, v32, v30
	v_cmp_le_i32_e64 s0, s9, v6
	v_cmp_gt_i32_e64 s1, s9, v6
	v_cmp_gt_i32_e64 s2, s9, v8
	v_ashrrev_i32_e32 v9, 31, v8
	v_add_co_u32 v0, vcc_lo, s22, v0
	v_add_co_ci_u32_e32 v1, vcc_lo, s3, v1, vcc_lo
	v_cmp_le_i64_e64 s3, s[12:13], v[10:11]
	s_delay_alu instid0(VALU_DEP_3) | instskip(NEXT) | instid1(VALU_DEP_3)
	v_add_co_u32 v34, vcc_lo, v0, v2
	v_add_co_ci_u32_e32 v35, vcc_lo, 0, v1, vcc_lo
	v_sub_co_u32 v14, vcc_lo, v6, v28
	v_subrev_co_ci_u32_e32 v15, vcc_lo, 0, v7, vcc_lo
	v_add_co_u32 v3, vcc_lo, 0x80, v12
	v_add_co_ci_u32_e32 v0, vcc_lo, 0, v13, vcc_lo
	s_delay_alu instid0(VALU_DEP_4) | instskip(NEXT) | instid1(VALU_DEP_3)
	v_add_co_u32 v16, vcc_lo, v14, 16
	v_mul_lo_u32 v20, s25, v3
	s_delay_alu instid0(VALU_DEP_3)
	v_mul_lo_u32 v4, s24, v0
	v_mad_u64_u32 v[0:1], null, s24, v3, s[4:5]
	s_mul_i32 s4, s39, s15
	s_mul_hi_u32 s5, s38, s15
	v_add_co_ci_u32_e32 v17, vcc_lo, 0, v15, vcc_lo
	s_add_i32 s5, s5, s4
	s_mul_i32 s4, s38, s15
	v_add_co_u32 v18, vcc_lo, v14, -16
	s_delay_alu instid0(VALU_DEP_3)
	v_add3_u32 v1, v20, v1, v4
	s_lshl_b64 s[4:5], s[4:5], 3
	v_add_co_ci_u32_e32 v19, vcc_lo, -1, v15, vcc_lo
	s_add_u32 s4, s4, s6
	v_add_co_u32 v0, vcc_lo, v0, v2
	s_addc_u32 s5, s5, s7
	s_add_u32 s4, s28, s4
	v_add_co_ci_u32_e32 v1, vcc_lo, 0, v1, vcc_lo
	s_addc_u32 s5, s29, s5
	v_add_co_u32 v2, s4, s4, v30
	s_delay_alu instid0(VALU_DEP_1) | instskip(SKIP_2) | instid1(VALU_DEP_4)
	v_add_co_ci_u32_e64 v3, null, s5, 0, s4
	v_add_co_u32 v36, vcc_lo, s20, v0
	v_add_co_ci_u32_e32 v37, vcc_lo, s21, v1, vcc_lo
	v_add_co_u32 v20, vcc_lo, 0x80, v2
	s_delay_alu instid0(VALU_DEP_4)
	v_add_co_ci_u32_e32 v21, vcc_lo, 0, v3, vcc_lo
	v_mov_b32_e32 v4, 1.0
	s_lshl_b64 s[20:21], s[36:37], 3
	s_lshl_b32 s9, s26, 5
	s_branch .LBB82_4
.LBB82_3:                               ;   in Loop: Header=BB82_4 Depth=1
	s_or_b32 exec_lo, exec_lo, s4
	v_add_nc_u32_e32 v22, s9, v22
	s_add_i32 s14, s26, s14
	s_delay_alu instid0(SALU_CYCLE_1)
	s_cmp_le_i32 s14, s11
	s_cbranch_scc0 .LBB82_63
.LBB82_4:                               ; =>This Loop Header: Depth=1
                                        ;     Child Loop BB82_7 Depth 2
	v_lshl_add_u32 v38, s14, 5, v28
	v_mov_b32_e32 v45, v5
	v_mov_b32_e32 v46, v5
	;; [unrolled: 1-line block ×4, first 2 shown]
	v_ashrrev_i32_e32 v39, 31, v38
	v_mov_b32_e32 v42, v5
	v_mov_b32_e32 v41, v5
	v_mov_b32_e32 v40, v5
	v_mov_b32_e32 v23, v5
	s_and_not1_b32 vcc_lo, exec_lo, s41
	s_cbranch_vccnz .LBB82_55
; %bb.5:                                ;   in Loop: Header=BB82_4 Depth=1
	v_ashrrev_i32_e32 v23, 31, v22
	v_mad_u64_u32 v[24:25], null, s20, v22, v[20:21]
	v_mul_lo_u32 v2, s21, v22
	v_mov_b32_e32 v41, 0
	s_delay_alu instid0(VALU_DEP_4) | instskip(SKIP_3) | instid1(VALU_DEP_4)
	v_lshlrev_b64 v[0:1], 3, v[22:23]
	v_mul_lo_u32 v42, s20, v23
	v_dual_mov_b32 v23, 0 :: v_dual_mov_b32 v40, 0
	v_dual_mov_b32 v46, 0 :: v_dual_mov_b32 v45, 0
	v_add_co_u32 v3, vcc_lo, 0x80, v0
	v_add_co_ci_u32_e32 v26, vcc_lo, 0, v1, vcc_lo
	v_sub_co_u32 v0, vcc_lo, s10, v38
	s_delay_alu instid0(VALU_DEP_3) | instskip(NEXT) | instid1(VALU_DEP_3)
	v_mul_lo_u32 v44, s37, v3
	v_mul_lo_u32 v43, s36, v26
	v_mad_u64_u32 v[26:27], null, s36, v3, v[20:21]
	v_sub_co_ci_u32_e32 v1, vcc_lo, s43, v39, vcc_lo
	v_add3_u32 v25, v2, v25, v42
	v_mov_b32_e32 v42, 0
	s_mov_b64 s[22:23], 0
	s_delay_alu instid0(VALU_DEP_3)
	v_cmp_lt_i64_e32 vcc_lo, 0, v[0:1]
	v_cmp_lt_i64_e64 s4, 16, v[0:1]
	v_add3_u32 v27, v44, v27, v43
	v_dual_mov_b32 v44, 0 :: v_dual_mov_b32 v43, 0
	s_mov_b64 s[24:25], 0
	s_branch .LBB82_7
.LBB82_6:                               ;   in Loop: Header=BB82_7 Depth=2
	s_or_b32 exec_lo, exec_lo, s6
	s_waitcnt lgkmcnt(0)
	s_waitcnt_vscnt null, 0x0
	s_barrier
	buffer_gl0_inv
	ds_load_2addr_b64 v[47:50], v30 offset1:16
	ds_load_b128 v[51:54], v32
	ds_load_b128 v[55:58], v32 offset:4096
	ds_load_b128 v[59:62], v32 offset:16
	;; [unrolled: 1-line block ×4, first 2 shown]
	ds_load_2addr_b64 v[67:70], v30 offset0:32 offset1:48
	ds_load_b128 v[71:74], v32 offset:4112
	s_add_u32 s24, s24, 32
	s_addc_u32 s25, s25, 0
	s_sub_i32 s5, s24, 32
	s_add_u32 s22, s22, 0x100
	s_addc_u32 s23, s23, 0
	s_cmp_ge_i32 s5, s40
	s_waitcnt lgkmcnt(6)
	v_dual_mul_f32 v75, v52, v48 :: v_dual_mul_f32 v78, v51, v50
	v_dual_mul_f32 v76, v51, v48 :: v_dual_mul_f32 v77, v52, v50
	s_waitcnt lgkmcnt(5)
	v_mul_f32_e32 v79, v56, v48
	s_delay_alu instid0(VALU_DEP_3)
	v_fma_f32 v75, v51, v47, -v75
	v_mul_f32_e32 v48, v55, v48
	v_fmac_f32_e32 v76, v52, v47
	v_fma_f32 v51, v51, v49, -v77
	v_mul_f32_e32 v80, v56, v50
	v_mul_f32_e32 v50, v55, v50
	v_fmac_f32_e32 v78, v52, v49
	v_fma_f32 v52, v55, v47, -v79
	v_add_f32_e32 v45, v45, v75
	s_delay_alu instid0(VALU_DEP_4)
	v_dual_add_f32 v51, v43, v51 :: v_dual_fmac_f32 v50, v56, v49
	v_fmac_f32_e32 v48, v56, v47
	v_fma_f32 v47, v55, v49, -v80
	s_waitcnt lgkmcnt(1)
	v_mul_f32_e32 v55, v54, v68
	v_mul_f32_e32 v49, v53, v68
	v_dual_add_f32 v23, v23, v50 :: v_dual_add_f32 v46, v46, v76
	v_add_f32_e32 v47, v40, v47
	s_delay_alu instid0(VALU_DEP_3)
	v_dual_add_f32 v44, v44, v78 :: v_dual_fmac_f32 v49, v54, v67
	v_add_f32_e32 v48, v41, v48
	v_fma_f32 v55, v53, v67, -v55
	v_add_f32_e32 v52, v42, v52
	ds_load_2addr_b64 v[40:43], v30 offset0:64 offset1:80
	v_mul_f32_e32 v56, v54, v70
	v_mul_f32_e32 v50, v53, v70
	v_add_f32_e32 v55, v45, v55
	v_dual_add_f32 v49, v46, v49 :: v_dual_mul_f32 v46, v57, v68
	s_delay_alu instid0(VALU_DEP_4) | instskip(SKIP_1) | instid1(VALU_DEP_2)
	v_fma_f32 v45, v53, v69, -v56
	v_mul_f32_e32 v53, v58, v68
	v_add_f32_e32 v51, v51, v45
	s_delay_alu instid0(VALU_DEP_2) | instskip(NEXT) | instid1(VALU_DEP_1)
	v_fma_f32 v45, v57, v67, -v53
	v_dual_mul_f32 v53, v58, v70 :: v_dual_add_f32 v52, v52, v45
	s_waitcnt lgkmcnt(0)
	v_mul_f32_e32 v45, v60, v41
	v_fmac_f32_e32 v50, v54, v69
	v_mul_f32_e32 v54, v57, v70
	s_delay_alu instid0(VALU_DEP_2) | instskip(SKIP_2) | instid1(VALU_DEP_4)
	v_add_f32_e32 v50, v44, v50
	v_fma_f32 v44, v57, v69, -v53
	v_mul_f32_e32 v53, v59, v41
	v_fmac_f32_e32 v54, v58, v69
	v_fmac_f32_e32 v46, v58, v67
	v_fma_f32 v57, v59, v40, -v45
	v_add_f32_e32 v56, v47, v44
	v_fmac_f32_e32 v53, v60, v40
	v_add_f32_e32 v23, v23, v54
	v_add_f32_e32 v48, v48, v46
	ds_load_2addr_b64 v[44:47], v30 offset0:96 offset1:112
	v_mul_f32_e32 v58, v60, v43
	v_add_f32_e32 v54, v55, v57
	v_mul_f32_e32 v55, v59, v43
	v_add_f32_e32 v49, v49, v53
	v_mul_f32_e32 v53, v72, v41
	v_mul_f32_e32 v41, v71, v41
	v_fma_f32 v57, v59, v42, -v58
	v_dual_fmac_f32 v55, v60, v42 :: v_dual_mul_f32 v58, v71, v43
	s_delay_alu instid0(VALU_DEP_4) | instskip(NEXT) | instid1(VALU_DEP_4)
	v_fma_f32 v53, v71, v40, -v53
	v_fmac_f32_e32 v41, v72, v40
	s_delay_alu instid0(VALU_DEP_4) | instskip(SKIP_3) | instid1(VALU_DEP_3)
	v_add_f32_e32 v51, v51, v57
	v_mul_f32_e32 v57, v72, v43
	v_dual_fmac_f32 v58, v72, v42 :: v_dual_add_f32 v55, v50, v55
	v_add_f32_e32 v52, v52, v53
	v_fma_f32 v40, v71, v42, -v57
	s_delay_alu instid0(VALU_DEP_3) | instskip(SKIP_4) | instid1(VALU_DEP_3)
	v_add_f32_e32 v23, v23, v58
	s_waitcnt lgkmcnt(0)
	v_dual_mul_f32 v57, v62, v47 :: v_dual_mul_f32 v50, v61, v45
	v_add_f32_e32 v53, v48, v41
	v_mul_f32_e32 v48, v62, v45
	v_fma_f32 v57, v61, v46, -v57
	v_mul_f32_e32 v58, v61, v47
	s_delay_alu instid0(VALU_DEP_3) | instskip(SKIP_1) | instid1(VALU_DEP_4)
	v_fma_f32 v48, v61, v44, -v48
	v_mul_f32_e32 v61, v74, v47
	v_dual_add_f32 v57, v51, v57 :: v_dual_fmac_f32 v50, v62, v44
	v_add_f32_e32 v56, v56, v40
	ds_load_2addr_b64 v[40:43], v30 offset0:128 offset1:144
	v_add_f32_e32 v54, v54, v48
	v_mul_f32_e32 v48, v74, v45
	v_dual_fmac_f32 v58, v62, v46 :: v_dual_mul_f32 v45, v73, v45
	v_add_f32_e32 v59, v49, v50
	s_delay_alu instid0(VALU_DEP_2)
	v_dual_add_f32 v58, v55, v58 :: v_dual_fmac_f32 v45, v74, v44
	v_mul_f32_e32 v55, v73, v47
	v_fma_f32 v60, v73, v44, -v48
	ds_load_b128 v[48:51], v32 offset:4128
	v_fma_f32 v44, v73, v46, -v61
	v_add_f32_e32 v61, v53, v45
	v_dual_fmac_f32 v55, v74, v46 :: v_dual_add_f32 v60, v52, v60
	s_delay_alu instid0(VALU_DEP_3)
	v_add_f32_e32 v56, v56, v44
	s_waitcnt lgkmcnt(1)
	v_mul_f32_e32 v47, v64, v41
	v_dual_mul_f32 v62, v63, v41 :: v_dual_mul_f32 v53, v64, v43
	v_add_f32_e32 v23, v23, v55
	v_mul_f32_e32 v68, v63, v43
	s_delay_alu instid0(VALU_DEP_4) | instskip(NEXT) | instid1(VALU_DEP_4)
	v_fma_f32 v52, v63, v40, -v47
	v_fmac_f32_e32 v62, v64, v40
	ds_load_2addr_b64 v[44:47], v30 offset0:160 offset1:176
	v_fma_f32 v63, v63, v42, -v53
	v_dual_fmac_f32 v68, v64, v42 :: v_dual_add_f32 v67, v54, v52
	ds_load_b128 v[52:55], v32 offset:4144
	s_waitcnt lgkmcnt(2)
	v_mul_f32_e32 v69, v49, v41
	v_dual_add_f32 v59, v59, v62 :: v_dual_add_f32 v58, v58, v68
	v_mul_f32_e32 v64, v48, v43
	s_delay_alu instid0(VALU_DEP_3) | instskip(SKIP_1) | instid1(VALU_DEP_2)
	v_fma_f32 v62, v48, v40, -v69
	v_add_f32_e32 v57, v57, v63
	v_dual_mul_f32 v63, v49, v43 :: v_dual_add_f32 v60, v60, v62
	s_waitcnt lgkmcnt(1)
	v_mul_f32_e32 v43, v66, v45
	v_dual_mul_f32 v41, v48, v41 :: v_dual_fmac_f32 v64, v49, v42
	s_delay_alu instid0(VALU_DEP_1) | instskip(SKIP_1) | instid1(VALU_DEP_2)
	v_dual_mul_f32 v62, v66, v47 :: v_dual_fmac_f32 v41, v49, v40
	v_mul_f32_e32 v49, v65, v45
	v_fma_f32 v62, v65, v46, -v62
	v_fma_f32 v40, v48, v42, -v63
	s_delay_alu instid0(VALU_DEP_2) | instskip(NEXT) | instid1(VALU_DEP_4)
	v_dual_add_f32 v57, v57, v62 :: v_dual_mul_f32 v62, v51, v47
	v_dual_add_f32 v48, v61, v41 :: v_dual_fmac_f32 v49, v66, v44
	s_delay_alu instid0(VALU_DEP_3)
	v_add_f32_e32 v56, v56, v40
	v_fma_f32 v61, v65, v44, -v43
	ds_load_2addr_b64 v[40:43], v30 offset0:192 offset1:208
	v_add_f32_e32 v49, v59, v49
	v_mul_f32_e32 v59, v51, v45
	v_mul_f32_e32 v45, v50, v45
	s_delay_alu instid0(VALU_DEP_2) | instskip(NEXT) | instid1(VALU_DEP_2)
	v_fma_f32 v59, v50, v44, -v59
	v_fmac_f32_e32 v45, v51, v44
	v_mul_f32_e32 v63, v65, v47
	v_fma_f32 v44, v50, v46, -v62
	v_add_f32_e32 v61, v67, v61
	s_delay_alu instid0(VALU_DEP_3) | instskip(NEXT) | instid1(VALU_DEP_1)
	v_dual_add_f32 v48, v48, v45 :: v_dual_fmac_f32 v63, v66, v46
	v_dual_add_f32 v23, v23, v64 :: v_dual_add_f32 v58, v58, v63
	v_mul_f32_e32 v63, v50, v47
	s_waitcnt lgkmcnt(0)
	v_mul_f32_e32 v62, v0, v43
	v_add_f32_e32 v50, v60, v59
	s_delay_alu instid0(VALU_DEP_3) | instskip(NEXT) | instid1(VALU_DEP_3)
	v_dual_mul_f32 v60, v1, v43 :: v_dual_fmac_f32 v63, v51, v46
	v_dual_add_f32 v51, v56, v44 :: v_dual_fmac_f32 v62, v1, v42
	ds_load_2addr_b64 v[44:47], v30 offset0:224 offset1:240
	v_mul_f32_e32 v59, v1, v41
	v_mul_f32_e32 v56, v0, v41
	v_add_f32_e32 v58, v58, v62
	s_delay_alu instid0(VALU_DEP_3) | instskip(SKIP_3) | instid1(VALU_DEP_4)
	v_fma_f32 v59, v0, v40, -v59
	v_fma_f32 v0, v0, v42, -v60
	v_mul_f32_e32 v60, v53, v41
	v_dual_fmac_f32 v56, v1, v40 :: v_dual_mul_f32 v1, v52, v41
	v_add_f32_e32 v59, v61, v59
	s_delay_alu instid0(VALU_DEP_4) | instskip(NEXT) | instid1(VALU_DEP_4)
	v_add_f32_e32 v57, v57, v0
	v_fma_f32 v0, v52, v40, -v60
	v_mul_f32_e32 v60, v52, v43
	v_add_f32_e32 v56, v49, v56
	s_delay_alu instid0(VALU_DEP_2) | instskip(SKIP_2) | instid1(VALU_DEP_1)
	v_fmac_f32_e32 v60, v53, v42
	s_waitcnt lgkmcnt(0)
	v_dual_mul_f32 v62, v2, v45 :: v_dual_add_f32 v23, v23, v63
	v_dual_mul_f32 v41, v53, v43 :: v_dual_fmac_f32 v62, v3, v44
	v_fmac_f32_e32 v1, v53, v40
	s_delay_alu instid0(VALU_DEP_2) | instskip(NEXT) | instid1(VALU_DEP_4)
	v_fma_f32 v40, v52, v42, -v41
	v_dual_add_f32 v23, v23, v60 :: v_dual_mul_f32 v60, v2, v47
	v_add_f32_e32 v61, v50, v0
	v_dual_mul_f32 v41, v3, v45 :: v_dual_add_nc_u32 v0, 0x800, v30
	s_delay_alu instid0(VALU_DEP_4) | instskip(SKIP_2) | instid1(VALU_DEP_4)
	v_add_f32_e32 v52, v51, v40
	v_add_f32_e32 v64, v56, v62
	v_dual_add_f32 v1, v48, v1 :: v_dual_mul_f32 v62, v55, v47
	v_fma_f32 v53, v2, v44, -v41
	ds_load_2addr_b64 v[40:43], v0 offset1:16
	ds_load_b128 v[48:51], v32 offset:64
	v_fmac_f32_e32 v60, v3, v46
	v_mul_f32_e32 v63, v3, v47
	v_mul_f32_e32 v3, v54, v45
	v_add_f32_e32 v53, v59, v53
	v_mul_f32_e32 v59, v55, v45
	v_add_f32_e32 v65, v58, v60
	s_delay_alu instid0(VALU_DEP_2) | instskip(NEXT) | instid1(VALU_DEP_1)
	v_fma_f32 v45, v54, v44, -v59
	v_add_f32_e32 v66, v61, v45
	v_fma_f32 v2, v2, v46, -v63
	s_waitcnt lgkmcnt(0)
	v_mul_f32_e32 v45, v49, v41
	s_delay_alu instid0(VALU_DEP_2)
	v_add_f32_e32 v2, v57, v2
	ds_load_b128 v[56:59], v32 offset:4160
	v_fmac_f32_e32 v3, v55, v44
	v_fma_f32 v44, v54, v46, -v62
	v_mul_f32_e32 v54, v54, v47
	v_mul_f32_e32 v69, v48, v43
	ds_load_b128 v[60:63], v32 offset:80
	v_dual_add_f32 v1, v1, v3 :: v_dual_fmac_f32 v54, v55, v46
	v_fmac_f32_e32 v69, v49, v42
	v_add_f32_e32 v67, v52, v44
	v_fma_f32 v52, v48, v40, -v45
	ds_load_2addr_b64 v[44:47], v0 offset0:32 offset1:48
	v_mul_f32_e32 v3, v48, v41
	v_mul_f32_e32 v55, v49, v43
	v_add_f32_e32 v23, v23, v54
	s_delay_alu instid0(VALU_DEP_3) | instskip(NEXT) | instid1(VALU_DEP_3)
	v_fmac_f32_e32 v3, v49, v40
	v_fma_f32 v48, v48, v42, -v55
	s_waitcnt lgkmcnt(2)
	s_delay_alu instid0(VALU_DEP_2) | instskip(NEXT) | instid1(VALU_DEP_2)
	v_dual_add_f32 v3, v64, v3 :: v_dual_mul_f32 v64, v57, v41
	v_dual_mul_f32 v41, v56, v41 :: v_dual_add_f32 v2, v2, v48
	v_mul_f32_e32 v48, v57, v43
	v_add_f32_e32 v68, v53, v52
	s_delay_alu instid0(VALU_DEP_4)
	v_fma_f32 v49, v56, v40, -v64
	v_add_f32_e32 v64, v65, v69
	v_fmac_f32_e32 v41, v57, v40
	v_mul_f32_e32 v65, v56, v43
	v_fma_f32 v40, v56, v42, -v48
	s_waitcnt lgkmcnt(0)
	v_mul_f32_e32 v56, v50, v45
	v_add_f32_e32 v48, v66, v49
	v_mul_f32_e32 v43, v51, v45
	v_dual_fmac_f32 v65, v57, v42 :: v_dual_mul_f32 v66, v51, v47
	s_delay_alu instid0(VALU_DEP_4) | instskip(SKIP_1) | instid1(VALU_DEP_4)
	v_fmac_f32_e32 v56, v51, v44
	v_add_f32_e32 v49, v67, v40
	v_fma_f32 v57, v50, v44, -v43
	ds_load_b128 v[52:55], v32 offset:4176
	v_dual_add_f32 v3, v3, v56 :: v_dual_mul_f32 v56, v58, v47
	v_add_f32_e32 v23, v23, v65
	v_mul_f32_e32 v65, v50, v47
	v_fma_f32 v50, v50, v46, -v66
	v_mul_f32_e32 v66, v59, v45
	v_fmac_f32_e32 v56, v59, v46
	s_delay_alu instid0(VALU_DEP_3) | instskip(NEXT) | instid1(VALU_DEP_3)
	v_add_f32_e32 v2, v2, v50
	v_fma_f32 v50, v58, v44, -v66
	s_delay_alu instid0(VALU_DEP_1) | instskip(SKIP_4) | instid1(VALU_DEP_2)
	v_dual_add_f32 v23, v23, v56 :: v_dual_add_f32 v48, v48, v50
	v_add_f32_e32 v1, v1, v41
	ds_load_2addr_b64 v[40:43], v0 offset0:64 offset1:80
	v_mul_f32_e32 v45, v58, v45
	v_add_f32_e32 v57, v68, v57
	v_fmac_f32_e32 v45, v59, v44
	v_mul_f32_e32 v44, v59, v47
	s_delay_alu instid0(VALU_DEP_1) | instskip(NEXT) | instid1(VALU_DEP_1)
	v_fma_f32 v50, v58, v46, -v44
	v_add_f32_e32 v49, v49, v50
	s_waitcnt lgkmcnt(0)
	v_mul_f32_e32 v58, v61, v41
	v_mul_f32_e32 v59, v60, v41
	s_delay_alu instid0(VALU_DEP_2) | instskip(SKIP_1) | instid1(VALU_DEP_3)
	v_fma_f32 v50, v60, v40, -v58
	v_mul_f32_e32 v58, v61, v43
	v_fmac_f32_e32 v59, v61, v40
	s_delay_alu instid0(VALU_DEP_3) | instskip(SKIP_1) | instid1(VALU_DEP_4)
	v_add_f32_e32 v56, v57, v50
	v_fmac_f32_e32 v65, v51, v46
	v_fma_f32 v50, v60, v42, -v58
	v_mul_f32_e32 v57, v53, v41
	v_mul_f32_e32 v41, v52, v41
	s_delay_alu instid0(VALU_DEP_4) | instskip(SKIP_4) | instid1(VALU_DEP_4)
	v_add_f32_e32 v51, v64, v65
	v_mul_f32_e32 v64, v60, v43
	v_add_f32_e32 v2, v2, v50
	v_mul_f32_e32 v50, v53, v43
	v_fmac_f32_e32 v41, v53, v40
	v_fmac_f32_e32 v64, v61, v42
	s_delay_alu instid0(VALU_DEP_1) | instskip(SKIP_3) | instid1(VALU_DEP_3)
	v_add_f32_e32 v58, v51, v64
	v_fma_f32 v51, v52, v40, -v57
	v_mul_f32_e32 v57, v52, v43
	v_fma_f32 v40, v52, v42, -v50
	v_dual_add_f32 v52, v48, v51 :: v_dual_add_f32 v1, v1, v45
	ds_load_2addr_b64 v[44:47], v0 offset0:96 offset1:112
	v_fmac_f32_e32 v57, v53, v42
	s_waitcnt lgkmcnt(0)
	v_mul_f32_e32 v43, v63, v45
	v_dual_mul_f32 v60, v62, v45 :: v_dual_add_f32 v3, v3, v59
	s_delay_alu instid0(VALU_DEP_2) | instskip(NEXT) | instid1(VALU_DEP_2)
	v_fma_f32 v59, v62, v44, -v43
	v_fmac_f32_e32 v60, v63, v44
	s_delay_alu instid0(VALU_DEP_2) | instskip(SKIP_1) | instid1(VALU_DEP_3)
	v_add_f32_e32 v64, v56, v59
	v_mul_f32_e32 v56, v55, v45
	v_add_f32_e32 v3, v3, v60
	v_add_f32_e32 v53, v49, v40
	v_mul_f32_e32 v45, v54, v45
	s_delay_alu instid0(VALU_DEP_4) | instskip(NEXT) | instid1(VALU_DEP_2)
	v_fma_f32 v60, v54, v44, -v56
	v_fmac_f32_e32 v45, v55, v44
	s_delay_alu instid0(VALU_DEP_2) | instskip(SKIP_4) | instid1(VALU_DEP_2)
	v_dual_add_f32 v66, v52, v60 :: v_dual_add_f32 v1, v1, v41
	ds_load_2addr_b64 v[40:43], v0 offset0:128 offset1:144
	ds_load_b128 v[48:51], v32 offset:96
	v_mul_f32_e32 v61, v63, v47
	v_mul_f32_e32 v52, v54, v47
	v_fma_f32 v61, v62, v46, -v61
	s_delay_alu instid0(VALU_DEP_2) | instskip(NEXT) | instid1(VALU_DEP_2)
	v_fmac_f32_e32 v52, v55, v46
	v_dual_add_f32 v2, v2, v61 :: v_dual_mul_f32 v61, v55, v47
	s_delay_alu instid0(VALU_DEP_1) | instskip(SKIP_3) | instid1(VALU_DEP_3)
	v_fma_f32 v44, v54, v46, -v61
	s_waitcnt lgkmcnt(0)
	v_dual_mul_f32 v54, v49, v43 :: v_dual_add_f32 v23, v23, v57
	v_dual_mul_f32 v57, v62, v47 :: v_dual_mul_f32 v68, v48, v41
	v_add_f32_e32 v67, v53, v44
	s_delay_alu instid0(VALU_DEP_2)
	v_fmac_f32_e32 v57, v63, v46
	ds_load_b128 v[60:63], v32 offset:112
	v_mul_f32_e32 v47, v49, v41
	v_dual_fmac_f32 v68, v49, v40 :: v_dual_mul_f32 v69, v48, v43
	v_add_f32_e32 v65, v58, v57
	ds_load_b128 v[56:59], v32 offset:4192
	v_fma_f32 v53, v48, v40, -v47
	v_add_f32_e32 v3, v3, v68
	v_fma_f32 v48, v48, v42, -v54
	s_delay_alu instid0(VALU_DEP_3) | instskip(NEXT) | instid1(VALU_DEP_2)
	v_dual_fmac_f32 v69, v49, v42 :: v_dual_add_f32 v64, v64, v53
	v_add_f32_e32 v2, v2, v48
	s_waitcnt lgkmcnt(0)
	v_dual_mul_f32 v68, v56, v43 :: v_dual_add_f32 v1, v1, v45
	ds_load_2addr_b64 v[44:47], v0 offset0:160 offset1:176
	v_mul_f32_e32 v70, v57, v41
	v_mul_f32_e32 v41, v56, v41
	;; [unrolled: 1-line block ×3, first 2 shown]
	v_fmac_f32_e32 v68, v57, v42
	s_delay_alu instid0(VALU_DEP_4) | instskip(NEXT) | instid1(VALU_DEP_4)
	v_fma_f32 v48, v56, v40, -v70
	v_fmac_f32_e32 v41, v57, v40
	s_delay_alu instid0(VALU_DEP_4) | instskip(NEXT) | instid1(VALU_DEP_2)
	v_fma_f32 v40, v56, v42, -v49
	v_dual_add_f32 v48, v66, v48 :: v_dual_add_f32 v1, v1, v41
	s_delay_alu instid0(VALU_DEP_2) | instskip(SKIP_3) | instid1(VALU_DEP_2)
	v_add_f32_e32 v56, v67, v40
	s_waitcnt lgkmcnt(0)
	v_mul_f32_e32 v43, v51, v45
	v_dual_mul_f32 v49, v50, v45 :: v_dual_mul_f32 v66, v51, v47
	v_fma_f32 v57, v50, v44, -v43
	ds_load_2addr_b64 v[40:43], v0 offset0:192 offset1:208
	v_fmac_f32_e32 v49, v51, v44
	v_dual_add_f32 v57, v64, v57 :: v_dual_mul_f32 v64, v50, v47
	v_fma_f32 v50, v50, v46, -v66
	s_delay_alu instid0(VALU_DEP_3) | instskip(SKIP_1) | instid1(VALU_DEP_4)
	v_add_f32_e32 v3, v3, v49
	v_mul_f32_e32 v49, v59, v45
	v_dual_mul_f32 v45, v58, v45 :: v_dual_fmac_f32 v64, v51, v46
	s_delay_alu instid0(VALU_DEP_4) | instskip(SKIP_1) | instid1(VALU_DEP_4)
	v_add_f32_e32 v2, v2, v50
	v_mul_f32_e32 v50, v59, v47
	v_fma_f32 v49, v58, v44, -v49
	s_delay_alu instid0(VALU_DEP_4) | instskip(NEXT) | instid1(VALU_DEP_3)
	v_fmac_f32_e32 v45, v59, v44
	v_fma_f32 v44, v58, v46, -v50
	s_delay_alu instid0(VALU_DEP_3) | instskip(NEXT) | instid1(VALU_DEP_3)
	v_add_f32_e32 v48, v48, v49
	v_add_f32_e32 v1, v1, v45
	s_waitcnt lgkmcnt(0)
	s_delay_alu instid0(VALU_DEP_3) | instskip(SKIP_1) | instid1(VALU_DEP_1)
	v_dual_mul_f32 v49, v61, v41 :: v_dual_add_f32 v50, v56, v44
	v_add_f32_e32 v65, v65, v69
	v_dual_mul_f32 v56, v60, v41 :: v_dual_add_f32 v51, v65, v64
	v_mul_f32_e32 v64, v58, v47
	v_dual_mul_f32 v58, v60, v43 :: v_dual_add_f32 v23, v23, v52
	ds_load_b128 v[52:55], v32 offset:4208
	v_fmac_f32_e32 v56, v61, v40
	v_fmac_f32_e32 v64, v59, v46
	;; [unrolled: 1-line block ×3, first 2 shown]
	ds_load_2addr_b64 v[44:47], v0 offset0:224 offset1:240
	v_fma_f32 v0, v60, v40, -v49
	v_mul_f32_e32 v49, v61, v43
	v_add_f32_e32 v3, v3, v56
	v_add_f32_e32 v56, v51, v58
	;; [unrolled: 1-line block ×4, first 2 shown]
	v_fma_f32 v0, v60, v42, -v49
	s_waitcnt lgkmcnt(1)
	s_delay_alu instid0(VALU_DEP_1) | instskip(SKIP_3) | instid1(VALU_DEP_3)
	v_dual_add_f32 v2, v2, v0 :: v_dual_mul_f32 v49, v53, v41
	v_mul_f32_e32 v41, v52, v41
	s_waitcnt lgkmcnt(0)
	v_dual_mul_f32 v58, v52, v43 :: v_dual_mul_f32 v59, v62, v45
	v_fma_f32 v0, v52, v40, -v49
	v_mul_f32_e32 v49, v53, v43
	v_fmac_f32_e32 v41, v53, v40
	s_delay_alu instid0(VALU_DEP_4) | instskip(NEXT) | instid1(VALU_DEP_4)
	v_dual_mul_f32 v43, v63, v45 :: v_dual_fmac_f32 v58, v53, v42
	v_add_f32_e32 v60, v48, v0
	s_delay_alu instid0(VALU_DEP_4) | instskip(NEXT) | instid1(VALU_DEP_4)
	v_fma_f32 v40, v52, v42, -v49
	v_dual_add_f32 v1, v1, v41 :: v_dual_add_nc_u32 v0, 0x1000, v30
	s_delay_alu instid0(VALU_DEP_4) | instskip(NEXT) | instid1(VALU_DEP_3)
	v_fma_f32 v53, v62, v44, -v43
	v_dual_mul_f32 v61, v63, v47 :: v_dual_add_f32 v52, v50, v40
	ds_load_2addr_b64 v[40:43], v0 offset1:16
	ds_load_b128 v[48:51], v32 offset:128
	v_add_f32_e32 v23, v23, v64
	v_fmac_f32_e32 v59, v63, v44
	v_add_f32_e32 v53, v57, v53
	v_fma_f32 v57, v62, v46, -v61
	v_mul_f32_e32 v61, v55, v45
	v_dual_add_f32 v23, v23, v58 :: v_dual_mul_f32 v58, v62, v47
	v_dual_mul_f32 v45, v54, v45 :: v_dual_mul_f32 v62, v55, v47
	s_delay_alu instid0(VALU_DEP_4) | instskip(NEXT) | instid1(VALU_DEP_3)
	v_dual_add_f32 v3, v3, v59 :: v_dual_add_f32 v2, v2, v57
	v_fmac_f32_e32 v58, v63, v46
	v_fma_f32 v61, v54, v44, -v61
	s_delay_alu instid0(VALU_DEP_4)
	v_fmac_f32_e32 v45, v55, v44
	v_fma_f32 v44, v54, v46, -v62
	v_mul_f32_e32 v54, v54, v47
	v_add_f32_e32 v64, v56, v58
	ds_load_b128 v[56:59], v32 offset:4224
	v_add_f32_e32 v65, v60, v61
	s_waitcnt lgkmcnt(1)
	v_mul_f32_e32 v47, v49, v41
	ds_load_b128 v[60:63], v32 offset:144
	v_dual_add_f32 v1, v1, v45 :: v_dual_fmac_f32 v54, v55, v46
	v_add_f32_e32 v67, v52, v44
	v_fma_f32 v52, v48, v40, -v47
	ds_load_2addr_b64 v[44:47], v0 offset0:32 offset1:48
	v_dual_mul_f32 v66, v48, v41 :: v_dual_mul_f32 v55, v49, v43
	v_mul_f32_e32 v69, v48, v43
	s_delay_alu instid0(VALU_DEP_2) | instskip(NEXT) | instid1(VALU_DEP_3)
	v_dual_add_f32 v23, v23, v54 :: v_dual_fmac_f32 v66, v49, v40
	v_fma_f32 v48, v48, v42, -v55
	s_delay_alu instid0(VALU_DEP_3) | instskip(SKIP_1) | instid1(VALU_DEP_3)
	v_fmac_f32_e32 v69, v49, v42
	s_waitcnt lgkmcnt(2)
	v_dual_add_f32 v3, v3, v66 :: v_dual_mul_f32 v66, v57, v41
	s_delay_alu instid0(VALU_DEP_3) | instskip(SKIP_2) | instid1(VALU_DEP_4)
	v_dual_mul_f32 v41, v56, v41 :: v_dual_add_f32 v2, v2, v48
	v_mul_f32_e32 v48, v57, v43
	v_add_f32_e32 v64, v64, v69
	v_fma_f32 v49, v56, v40, -v66
	s_delay_alu instid0(VALU_DEP_4) | instskip(NEXT) | instid1(VALU_DEP_4)
	v_dual_fmac_f32 v41, v57, v40 :: v_dual_mul_f32 v66, v56, v43
	v_fma_f32 v40, v56, v42, -v48
	s_waitcnt lgkmcnt(0)
	v_mul_f32_e32 v43, v51, v45
	v_add_f32_e32 v48, v65, v49
	v_add_f32_e32 v1, v1, v41
	v_dual_fmac_f32 v66, v57, v42 :: v_dual_add_f32 v49, v67, v40
	v_mul_f32_e32 v56, v50, v45
	v_fma_f32 v57, v50, v44, -v43
	ds_load_2addr_b64 v[40:43], v0 offset0:64 offset1:80
	v_mul_f32_e32 v65, v51, v47
	v_add_f32_e32 v23, v23, v66
	v_fmac_f32_e32 v56, v51, v44
	v_mul_f32_e32 v66, v50, v47
	s_delay_alu instid0(VALU_DEP_4) | instskip(SKIP_3) | instid1(VALU_DEP_4)
	v_fma_f32 v50, v50, v46, -v65
	v_mul_f32_e32 v65, v59, v45
	v_mul_f32_e32 v45, v58, v45
	v_dual_add_f32 v3, v3, v56 :: v_dual_mul_f32 v56, v58, v47
	v_add_f32_e32 v2, v2, v50
	s_delay_alu instid0(VALU_DEP_4) | instskip(NEXT) | instid1(VALU_DEP_4)
	v_fma_f32 v50, v58, v44, -v65
	v_fmac_f32_e32 v45, v59, v44
	v_mul_f32_e32 v44, v59, v47
	v_fmac_f32_e32 v56, v59, v46
	v_add_f32_e32 v68, v53, v52
	ds_load_b128 v[52:55], v32 offset:4240
	v_fmac_f32_e32 v66, v51, v46
	v_dual_add_f32 v48, v48, v50 :: v_dual_add_f32 v1, v1, v45
	v_fma_f32 v50, v58, v46, -v44
	s_waitcnt lgkmcnt(1)
	v_mul_f32_e32 v58, v61, v41
	ds_load_2addr_b64 v[44:47], v0 offset0:96 offset1:112
	v_add_f32_e32 v57, v68, v57
	v_add_f32_e32 v51, v64, v66
	;; [unrolled: 1-line block ×3, first 2 shown]
	v_fma_f32 v50, v60, v40, -v58
	v_mul_f32_e32 v58, v61, v43
	v_dual_mul_f32 v64, v60, v43 :: v_dual_add_f32 v23, v23, v56
	s_delay_alu instid0(VALU_DEP_3) | instskip(NEXT) | instid1(VALU_DEP_3)
	v_dual_mul_f32 v59, v60, v41 :: v_dual_add_f32 v56, v57, v50
	v_fma_f32 v50, v60, v42, -v58
	s_delay_alu instid0(VALU_DEP_3) | instskip(NEXT) | instid1(VALU_DEP_3)
	v_fmac_f32_e32 v64, v61, v42
	v_fmac_f32_e32 v59, v61, v40
	s_waitcnt lgkmcnt(1)
	v_mul_f32_e32 v57, v53, v41
	v_dual_mul_f32 v41, v52, v41 :: v_dual_add_f32 v2, v2, v50
	v_mul_f32_e32 v50, v53, v43
	v_add_f32_e32 v58, v51, v64
	s_delay_alu instid0(VALU_DEP_4) | instskip(NEXT) | instid1(VALU_DEP_4)
	v_fma_f32 v51, v52, v40, -v57
	v_fmac_f32_e32 v41, v53, v40
	v_mul_f32_e32 v57, v52, v43
	v_fma_f32 v40, v52, v42, -v50
	s_waitcnt lgkmcnt(0)
	v_mul_f32_e32 v43, v63, v45
	v_add_f32_e32 v3, v3, v59
	v_dual_add_f32 v52, v48, v51 :: v_dual_add_f32 v1, v1, v41
	v_fmac_f32_e32 v57, v53, v42
	v_add_f32_e32 v53, v49, v40
	v_fma_f32 v59, v62, v44, -v43
	ds_load_2addr_b64 v[40:43], v0 offset0:128 offset1:144
	ds_load_b128 v[48:51], v32 offset:160
	v_dual_mul_f32 v60, v62, v45 :: v_dual_mul_f32 v61, v63, v47
	v_dual_add_f32 v23, v23, v57 :: v_dual_add_f32 v64, v56, v59
	v_mul_f32_e32 v56, v55, v45
	s_delay_alu instid0(VALU_DEP_3) | instskip(NEXT) | instid1(VALU_DEP_4)
	v_fmac_f32_e32 v60, v63, v44
	v_fma_f32 v61, v62, v46, -v61
	v_mul_f32_e32 v45, v54, v45
	v_mul_f32_e32 v57, v62, v47
	s_delay_alu instid0(VALU_DEP_3) | instskip(SKIP_3) | instid1(VALU_DEP_3)
	v_dual_add_f32 v3, v3, v60 :: v_dual_add_f32 v2, v2, v61
	v_fma_f32 v60, v54, v44, -v56
	v_mul_f32_e32 v61, v55, v47
	v_fmac_f32_e32 v45, v55, v44
	v_dual_fmac_f32 v57, v63, v46 :: v_dual_add_f32 v66, v52, v60
	v_mul_f32_e32 v52, v54, v47
	s_delay_alu instid0(VALU_DEP_4)
	v_fma_f32 v44, v54, v46, -v61
	s_waitcnt lgkmcnt(0)
	v_mul_f32_e32 v47, v49, v41
	v_mul_f32_e32 v54, v49, v43
	;; [unrolled: 1-line block ×3, first 2 shown]
	v_dual_fmac_f32 v52, v55, v46 :: v_dual_add_f32 v67, v53, v44
	s_delay_alu instid0(VALU_DEP_4) | instskip(SKIP_2) | instid1(VALU_DEP_4)
	v_fma_f32 v53, v48, v40, -v47
	v_mul_f32_e32 v69, v48, v43
	v_fma_f32 v48, v48, v42, -v54
	v_add_f32_e32 v23, v23, v52
	ds_load_b128 v[60:63], v32 offset:176
	v_add_f32_e32 v64, v64, v53
	ds_load_b128 v[52:55], v32 offset:4272
	;; [unrolled: 2-line block ×3, first 2 shown]
	v_add_f32_e32 v1, v1, v45
	ds_load_2addr_b64 v[44:47], v0 offset0:160 offset1:176
	v_fmac_f32_e32 v68, v49, v40
	v_dual_fmac_f32 v69, v49, v42 :: v_dual_add_f32 v2, v2, v48
	s_delay_alu instid0(VALU_DEP_2) | instskip(NEXT) | instid1(VALU_DEP_2)
	v_add_f32_e32 v3, v3, v68
	v_add_f32_e32 v65, v65, v69
	s_waitcnt lgkmcnt(1)
	v_mul_f32_e32 v70, v57, v41
	v_mul_f32_e32 v41, v56, v41
	;; [unrolled: 1-line block ×3, first 2 shown]
	s_waitcnt lgkmcnt(0)
	v_dual_mul_f32 v68, v56, v43 :: v_dual_mul_f32 v43, v51, v45
	v_fma_f32 v48, v56, v40, -v70
	v_fmac_f32_e32 v41, v57, v40
	v_fma_f32 v40, v56, v42, -v49
	s_delay_alu instid0(VALU_DEP_4) | instskip(NEXT) | instid1(VALU_DEP_4)
	v_dual_fmac_f32 v68, v57, v42 :: v_dual_mul_f32 v49, v50, v45
	v_add_f32_e32 v48, v66, v48
	v_fma_f32 v57, v50, v44, -v43
	v_dual_mul_f32 v66, v51, v47 :: v_dual_add_f32 v1, v1, v41
	v_add_f32_e32 v56, v67, v40
	ds_load_2addr_b64 v[40:43], v0 offset0:192 offset1:208
	v_fmac_f32_e32 v49, v51, v44
	v_dual_add_f32 v57, v64, v57 :: v_dual_mul_f32 v64, v50, v47
	v_fma_f32 v50, v50, v46, -v66
	s_delay_alu instid0(VALU_DEP_3) | instskip(SKIP_1) | instid1(VALU_DEP_4)
	v_add_f32_e32 v3, v3, v49
	v_mul_f32_e32 v49, v59, v45
	v_dual_mul_f32 v45, v58, v45 :: v_dual_fmac_f32 v64, v51, v46
	s_delay_alu instid0(VALU_DEP_4) | instskip(SKIP_1) | instid1(VALU_DEP_4)
	v_add_f32_e32 v2, v2, v50
	v_mul_f32_e32 v50, v59, v47
	v_fma_f32 v49, v58, v44, -v49
	s_delay_alu instid0(VALU_DEP_4) | instskip(SKIP_1) | instid1(VALU_DEP_4)
	v_fmac_f32_e32 v45, v59, v44
	v_dual_add_f32 v51, v65, v64 :: v_dual_mul_f32 v64, v58, v47
	v_fma_f32 v44, v58, v46, -v50
	s_delay_alu instid0(VALU_DEP_4) | instskip(NEXT) | instid1(VALU_DEP_3)
	v_add_f32_e32 v48, v48, v49
	v_dual_add_f32 v1, v1, v45 :: v_dual_fmac_f32 v64, v59, v46
	s_delay_alu instid0(VALU_DEP_3)
	v_add_f32_e32 v50, v56, v44
	ds_load_2addr_b64 v[44:47], v0 offset0:224 offset1:240
	s_waitcnt lgkmcnt(1)
	v_mul_f32_e32 v49, v61, v41
	v_mul_f32_e32 v56, v60, v41
	;; [unrolled: 1-line block ×3, first 2 shown]
	s_delay_alu instid0(VALU_DEP_3) | instskip(SKIP_1) | instid1(VALU_DEP_4)
	v_fma_f32 v0, v60, v40, -v49
	v_mul_f32_e32 v49, v61, v43
	v_fmac_f32_e32 v56, v61, v40
	s_delay_alu instid0(VALU_DEP_4) | instskip(NEXT) | instid1(VALU_DEP_4)
	v_fmac_f32_e32 v58, v61, v42
	v_add_f32_e32 v57, v57, v0
	s_delay_alu instid0(VALU_DEP_4) | instskip(SKIP_3) | instid1(VALU_DEP_4)
	v_fma_f32 v0, v60, v42, -v49
	v_mul_f32_e32 v49, v53, v41
	v_add_f32_e32 v3, v3, v56
	v_dual_mul_f32 v41, v52, v41 :: v_dual_add_f32 v56, v51, v58
	v_add_f32_e32 v2, v2, v0
	s_delay_alu instid0(VALU_DEP_4)
	v_fma_f32 v0, v52, v40, -v49
	v_mul_f32_e32 v49, v53, v43
	s_waitcnt lgkmcnt(0)
	v_dual_mul_f32 v58, v52, v43 :: v_dual_mul_f32 v43, v63, v45
	v_fmac_f32_e32 v41, v53, v40
	v_dual_mul_f32 v61, v63, v47 :: v_dual_add_f32 v60, v48, v0
	s_delay_alu instid0(VALU_DEP_3) | instskip(NEXT) | instid1(VALU_DEP_4)
	v_fmac_f32_e32 v58, v53, v42
	v_fma_f32 v53, v62, v44, -v43
	v_fma_f32 v40, v52, v42, -v49
	v_dual_add_f32 v1, v1, v41 :: v_dual_add_nc_u32 v0, 0x1800, v30
	v_mul_f32_e32 v59, v62, v45
	s_delay_alu instid0(VALU_DEP_4)
	v_add_f32_e32 v53, v57, v53
	v_fma_f32 v57, v62, v46, -v61
	v_dual_mul_f32 v61, v55, v45 :: v_dual_add_f32 v52, v50, v40
	ds_load_2addr_b64 v[40:43], v0 offset1:16
	ds_load_b128 v[48:51], v32 offset:192
	v_fmac_f32_e32 v59, v63, v44
	v_mul_f32_e32 v45, v54, v45
	v_fma_f32 v61, v54, v44, -v61
	s_delay_alu instid0(VALU_DEP_3) | instskip(NEXT) | instid1(VALU_DEP_3)
	v_dual_add_f32 v2, v2, v57 :: v_dual_add_f32 v3, v3, v59
	v_fmac_f32_e32 v45, v55, v44
	s_delay_alu instid0(VALU_DEP_3) | instskip(SKIP_1) | instid1(VALU_DEP_3)
	v_add_f32_e32 v65, v60, v61
	v_add_f32_e32 v23, v23, v68
	;; [unrolled: 1-line block ×3, first 2 shown]
	s_delay_alu instid0(VALU_DEP_2) | instskip(NEXT) | instid1(VALU_DEP_1)
	v_add_f32_e32 v23, v23, v64
	v_dual_add_f32 v23, v23, v58 :: v_dual_mul_f32 v58, v62, v47
	v_mul_f32_e32 v62, v55, v47
	s_waitcnt lgkmcnt(0)
	v_mul_f32_e32 v66, v48, v41
	s_delay_alu instid0(VALU_DEP_3) | instskip(NEXT) | instid1(VALU_DEP_3)
	v_dual_mul_f32 v69, v48, v43 :: v_dual_fmac_f32 v58, v63, v46
	v_fma_f32 v44, v54, v46, -v62
	v_dual_mul_f32 v54, v54, v47 :: v_dual_mul_f32 v47, v49, v41
	s_delay_alu instid0(VALU_DEP_4) | instskip(NEXT) | instid1(VALU_DEP_4)
	v_fmac_f32_e32 v66, v49, v40
	v_add_f32_e32 v64, v56, v58
	ds_load_b128 v[56:59], v32 offset:4288
	ds_load_b128 v[60:63], v32 offset:208
	v_dual_fmac_f32 v54, v55, v46 :: v_dual_add_f32 v67, v52, v44
	v_fma_f32 v52, v48, v40, -v47
	ds_load_2addr_b64 v[44:47], v0 offset0:32 offset1:48
	v_mul_f32_e32 v55, v49, v43
	v_add_f32_e32 v3, v3, v66
	v_fmac_f32_e32 v69, v49, v42
	v_dual_add_f32 v23, v23, v54 :: v_dual_add_f32 v68, v53, v52
	s_delay_alu instid0(VALU_DEP_4)
	v_fma_f32 v48, v48, v42, -v55
	ds_load_b128 v[52:55], v32 offset:4304
	v_add_f32_e32 v64, v64, v69
	v_add_f32_e32 v2, v2, v48
	s_waitcnt lgkmcnt(3)
	v_mul_f32_e32 v66, v57, v41
	v_dual_mul_f32 v41, v56, v41 :: v_dual_mul_f32 v48, v57, v43
	s_delay_alu instid0(VALU_DEP_2) | instskip(NEXT) | instid1(VALU_DEP_2)
	v_fma_f32 v49, v56, v40, -v66
	v_dual_fmac_f32 v41, v57, v40 :: v_dual_mul_f32 v66, v56, v43
	s_delay_alu instid0(VALU_DEP_3)
	v_fma_f32 v40, v56, v42, -v48
	s_waitcnt lgkmcnt(1)
	v_mul_f32_e32 v43, v51, v45
	v_add_f32_e32 v48, v65, v49
	v_add_f32_e32 v1, v1, v41
	v_dual_fmac_f32 v66, v57, v42 :: v_dual_add_f32 v49, v67, v40
	s_delay_alu instid0(VALU_DEP_4) | instskip(SKIP_3) | instid1(VALU_DEP_2)
	v_fma_f32 v57, v50, v44, -v43
	ds_load_2addr_b64 v[40:43], v0 offset0:64 offset1:80
	v_dual_mul_f32 v56, v50, v45 :: v_dual_mul_f32 v65, v51, v47
	v_dual_add_f32 v23, v23, v66 :: v_dual_mul_f32 v66, v50, v47
	v_dual_add_f32 v57, v68, v57 :: v_dual_fmac_f32 v56, v51, v44
	s_delay_alu instid0(VALU_DEP_3) | instskip(SKIP_1) | instid1(VALU_DEP_4)
	v_fma_f32 v50, v50, v46, -v65
	v_mul_f32_e32 v65, v59, v45
	v_dual_mul_f32 v45, v58, v45 :: v_dual_fmac_f32 v66, v51, v46
	s_delay_alu instid0(VALU_DEP_3) | instskip(NEXT) | instid1(VALU_DEP_3)
	v_dual_add_f32 v3, v3, v56 :: v_dual_add_f32 v2, v2, v50
	v_fma_f32 v50, v58, v44, -v65
	s_delay_alu instid0(VALU_DEP_3) | instskip(SKIP_2) | instid1(VALU_DEP_3)
	v_fmac_f32_e32 v45, v59, v44
	v_mul_f32_e32 v44, v59, v47
	v_dual_mul_f32 v56, v58, v47 :: v_dual_add_f32 v51, v64, v66
	v_dual_add_f32 v48, v48, v50 :: v_dual_add_f32 v1, v1, v45
	s_delay_alu instid0(VALU_DEP_3)
	v_fma_f32 v50, v58, v46, -v44
	s_waitcnt lgkmcnt(0)
	v_mul_f32_e32 v58, v61, v41
	v_fmac_f32_e32 v56, v59, v46
	ds_load_2addr_b64 v[44:47], v0 offset0:96 offset1:112
	v_dual_mul_f32 v64, v60, v43 :: v_dual_add_f32 v49, v49, v50
	v_fma_f32 v50, v60, v40, -v58
	v_dual_mul_f32 v58, v61, v43 :: v_dual_add_f32 v23, v23, v56
	s_delay_alu instid0(VALU_DEP_3) | instskip(NEXT) | instid1(VALU_DEP_3)
	v_dual_mul_f32 v59, v60, v41 :: v_dual_fmac_f32 v64, v61, v42
	v_add_f32_e32 v56, v57, v50
	s_delay_alu instid0(VALU_DEP_3)
	v_fma_f32 v50, v60, v42, -v58
	v_mul_f32_e32 v57, v53, v41
	v_mul_f32_e32 v41, v52, v41
	v_fmac_f32_e32 v59, v61, v40
	v_add_f32_e32 v58, v51, v64
	v_add_f32_e32 v2, v2, v50
	v_mul_f32_e32 v50, v53, v43
	v_fma_f32 v51, v52, v40, -v57
	v_fmac_f32_e32 v41, v53, v40
	v_mul_f32_e32 v57, v52, v43
	v_add_f32_e32 v3, v3, v59
	v_fma_f32 v40, v52, v42, -v50
	s_waitcnt lgkmcnt(0)
	v_dual_mul_f32 v43, v63, v45 :: v_dual_add_f32 v52, v48, v51
	v_add_f32_e32 v1, v1, v41
	v_fmac_f32_e32 v57, v53, v42
	v_add_f32_e32 v53, v49, v40
	s_delay_alu instid0(VALU_DEP_4)
	v_fma_f32 v59, v62, v44, -v43
	ds_load_2addr_b64 v[40:43], v0 offset0:128 offset1:144
	ds_load_b128 v[48:51], v32 offset:224
	v_dual_mul_f32 v60, v62, v45 :: v_dual_mul_f32 v61, v63, v47
	v_add_f32_e32 v23, v23, v57
	v_mul_f32_e32 v57, v62, v47
	v_add_f32_e32 v64, v56, v59
	s_delay_alu instid0(VALU_DEP_4) | instskip(SKIP_4) | instid1(VALU_DEP_4)
	v_fmac_f32_e32 v60, v63, v44
	v_fma_f32 v61, v62, v46, -v61
	v_mul_f32_e32 v56, v55, v45
	v_fmac_f32_e32 v57, v63, v46
	v_mul_f32_e32 v45, v54, v45
	v_dual_add_f32 v3, v3, v60 :: v_dual_add_f32 v2, v2, v61
	s_delay_alu instid0(VALU_DEP_4)
	v_fma_f32 v60, v54, v44, -v56
	v_mul_f32_e32 v61, v55, v47
	v_add_f32_e32 v65, v58, v57
	ds_load_b128 v[56:59], v32 offset:4320
	v_fmac_f32_e32 v45, v55, v44
	v_add_f32_e32 v66, v52, v60
	v_mul_f32_e32 v52, v54, v47
	v_fma_f32 v44, v54, v46, -v61
	ds_load_b128 v[60:63], v32 offset:240
	s_waitcnt lgkmcnt(2)
	v_mul_f32_e32 v47, v49, v41
	v_dual_add_f32 v1, v1, v45 :: v_dual_fmac_f32 v52, v55, v46
	v_dual_add_f32 v67, v53, v44 :: v_dual_mul_f32 v68, v48, v41
	s_delay_alu instid0(VALU_DEP_3) | instskip(SKIP_4) | instid1(VALU_DEP_3)
	v_fma_f32 v53, v48, v40, -v47
	ds_load_2addr_b64 v[44:47], v0 offset0:160 offset1:176
	v_mul_f32_e32 v54, v49, v43
	v_dual_mul_f32 v69, v48, v43 :: v_dual_fmac_f32 v68, v49, v40
	v_dual_add_f32 v64, v64, v53 :: v_dual_add_f32 v23, v23, v52
	v_fma_f32 v48, v48, v42, -v54
	s_delay_alu instid0(VALU_DEP_3)
	v_fmac_f32_e32 v69, v49, v42
	s_waitcnt lgkmcnt(2)
	v_mul_f32_e32 v70, v57, v41
	v_mul_f32_e32 v41, v56, v41
	;; [unrolled: 1-line block ×3, first 2 shown]
	v_add_f32_e32 v3, v3, v68
	v_add_f32_e32 v2, v2, v48
	v_fma_f32 v48, v56, v40, -v70
	v_dual_fmac_f32 v41, v57, v40 :: v_dual_mul_f32 v68, v56, v43
	v_fma_f32 v40, v56, v42, -v49
	ds_load_b128 v[52:55], v32 offset:4336
	v_dual_add_f32 v48, v66, v48 :: v_dual_add_f32 v1, v1, v41
	s_waitcnt lgkmcnt(1)
	v_dual_mul_f32 v43, v51, v45 :: v_dual_fmac_f32 v68, v57, v42
	v_dual_mul_f32 v49, v50, v45 :: v_dual_add_f32 v56, v67, v40
	v_mul_f32_e32 v66, v51, v47
	s_delay_alu instid0(VALU_DEP_3)
	v_fma_f32 v57, v50, v44, -v43
	ds_load_2addr_b64 v[40:43], v0 offset0:192 offset1:208
	v_fmac_f32_e32 v49, v51, v44
	v_add_f32_e32 v23, v23, v68
	v_add_f32_e32 v65, v65, v69
	v_dual_add_f32 v57, v64, v57 :: v_dual_mul_f32 v64, v50, v47
	v_fma_f32 v50, v50, v46, -v66
	v_add_f32_e32 v49, v3, v49
	v_mul_f32_e32 v3, v59, v45
	s_delay_alu instid0(VALU_DEP_4) | instskip(NEXT) | instid1(VALU_DEP_4)
	v_dual_mul_f32 v45, v58, v45 :: v_dual_fmac_f32 v64, v51, v46
	v_add_f32_e32 v50, v2, v50
	v_mul_f32_e32 v2, v59, v47
	s_delay_alu instid0(VALU_DEP_4) | instskip(NEXT) | instid1(VALU_DEP_4)
	v_fma_f32 v3, v58, v44, -v3
	v_fmac_f32_e32 v45, v59, v44
	v_dual_mul_f32 v47, v58, v47 :: v_dual_add_f32 v44, v65, v64
	s_delay_alu instid0(VALU_DEP_4) | instskip(NEXT) | instid1(VALU_DEP_3)
	v_fma_f32 v2, v58, v46, -v2
	v_dual_add_f32 v48, v48, v3 :: v_dual_add_f32 v45, v1, v45
	s_waitcnt lgkmcnt(0)
	v_mul_f32_e32 v51, v61, v41
	v_fmac_f32_e32 v47, v59, v46
	v_add_f32_e32 v46, v56, v2
	ds_load_2addr_b64 v[0:3], v0 offset0:224 offset1:240
	v_mul_f32_e32 v56, v60, v41
	v_fma_f32 v51, v60, v40, -v51
	v_add_f32_e32 v23, v23, v47
	v_mul_f32_e32 v47, v61, v43
	v_mul_f32_e32 v58, v60, v43
	v_fmac_f32_e32 v56, v61, v40
	v_add_f32_e32 v51, v57, v51
	v_mul_f32_e32 v57, v53, v41
	v_fma_f32 v47, v60, v42, -v47
	v_mul_f32_e32 v41, v52, v41
	v_add_f32_e32 v49, v49, v56
	v_fmac_f32_e32 v58, v61, v42
	v_fma_f32 v56, v52, v40, -v57
	v_add_f32_e32 v47, v50, v47
	v_mul_f32_e32 v50, v53, v43
	v_fmac_f32_e32 v41, v53, v40
	v_mul_f32_e32 v43, v52, v43
	v_add_f32_e32 v40, v48, v56
	v_add_f32_e32 v44, v44, v58
	v_fma_f32 v48, v52, v42, -v50
	s_waitcnt lgkmcnt(0)
	v_mul_f32_e32 v50, v63, v1
	v_dual_mul_f32 v52, v62, v1 :: v_dual_fmac_f32 v43, v53, v42
	s_delay_alu instid0(VALU_DEP_3) | instskip(NEXT) | instid1(VALU_DEP_3)
	v_dual_add_f32 v41, v45, v41 :: v_dual_add_f32 v48, v46, v48
	v_fma_f32 v42, v62, v0, -v50
	s_delay_alu instid0(VALU_DEP_3) | instskip(SKIP_3) | instid1(VALU_DEP_4)
	v_fmac_f32_e32 v52, v63, v0
	v_mul_f32_e32 v50, v63, v3
	v_mul_f32_e32 v53, v62, v3
	v_add_f32_e32 v23, v23, v43
	v_dual_add_f32 v45, v51, v42 :: v_dual_add_f32 v46, v49, v52
	s_delay_alu instid0(VALU_DEP_4)
	v_fma_f32 v42, v62, v2, -v50
	v_mul_f32_e32 v49, v55, v1
	v_dual_mul_f32 v1, v54, v1 :: v_dual_mul_f32 v50, v55, v3
	v_mul_f32_e32 v3, v54, v3
	v_fmac_f32_e32 v53, v63, v2
	v_add_f32_e32 v43, v47, v42
	v_fma_f32 v42, v54, v0, -v49
	v_fmac_f32_e32 v1, v55, v0
	v_fma_f32 v0, v54, v2, -v50
	v_dual_fmac_f32 v3, v55, v2 :: v_dual_add_f32 v44, v44, v53
	s_delay_alu instid0(VALU_DEP_3) | instskip(NEXT) | instid1(VALU_DEP_2)
	v_dual_add_f32 v42, v40, v42 :: v_dual_add_f32 v41, v41, v1
	v_dual_add_f32 v40, v48, v0 :: v_dual_add_f32 v23, v23, v3
	s_barrier
	buffer_gl0_inv
	s_cbranch_scc1 .LBB82_55
.LBB82_7:                               ;   Parent Loop BB82_4 Depth=1
                                        ; =>  This Inner Loop Header: Depth=2
	v_add_co_u32 v2, s5, v28, s24
	s_delay_alu instid0(VALU_DEP_1) | instskip(SKIP_1) | instid1(VALU_DEP_2)
	v_add_co_ci_u32_e64 v3, null, 0, s25, s5
	v_cmp_eq_u64_e64 s7, s[24:25], v[14:15]
	v_cmp_le_i64_e64 s6, s[12:13], v[2:3]
	v_cmp_gt_i64_e64 s5, v[2:3], v[6:7]
	s_delay_alu instid0(VALU_DEP_3) | instskip(NEXT) | instid1(VALU_DEP_1)
	s_and_b32 s28, s42, s7
	s_or_b32 s7, s6, s5
	s_delay_alu instid0(SALU_CYCLE_1) | instskip(SKIP_1) | instid1(VALU_DEP_1)
	s_or_b32 s8, s7, s28
	v_add_co_u32 v0, s7, v34, s22
	v_add_co_ci_u32_e64 v1, s7, s23, v35, s7
	s_or_b32 s7, s0, s8
	s_delay_alu instid0(SALU_CYCLE_1) | instskip(NEXT) | instid1(SALU_CYCLE_1)
	s_xor_b32 s7, s7, -1
	s_and_saveexec_b32 s8, s7
	s_delay_alu instid0(SALU_CYCLE_1)
	s_xor_b32 s7, exec_lo, s8
	s_cbranch_execz .LBB82_9
; %bb.8:                                ;   in Loop: Header=BB82_7 Depth=2
	global_load_b64 v[47:48], v[0:1], off
	s_waitcnt vmcnt(0)
	v_xor_b32_e32 v48, 0x80000000, v48
	ds_store_b64 v31, v[47:48]
.LBB82_9:                               ;   in Loop: Header=BB82_7 Depth=2
	s_or_saveexec_b32 s7, s7
	s_xor_b32 s15, s28, -1
	s_xor_b32 exec_lo, exec_lo, s7
	s_cbranch_execz .LBB82_15
; %bb.10:                               ;   in Loop: Header=BB82_7 Depth=2
	s_and_saveexec_b32 s8, s15
	s_delay_alu instid0(SALU_CYCLE_1)
	s_xor_b32 s8, exec_lo, s8
	s_cbranch_execz .LBB82_12
; %bb.11:                               ;   in Loop: Header=BB82_7 Depth=2
	v_mov_b32_e32 v47, v5
	v_mov_b32_e32 v48, v5
	ds_store_b64 v31, v[47:48]
.LBB82_12:                              ;   in Loop: Header=BB82_7 Depth=2
	s_and_not1_saveexec_b32 s8, s8
	s_cbranch_execz .LBB82_14
; %bb.13:                               ;   in Loop: Header=BB82_7 Depth=2
	ds_store_b64 v31, v[4:5]
.LBB82_14:                              ;   in Loop: Header=BB82_7 Depth=2
	s_or_b32 exec_lo, exec_lo, s8
.LBB82_15:                              ;   in Loop: Header=BB82_7 Depth=2
	s_delay_alu instid0(SALU_CYCLE_1) | instskip(SKIP_2) | instid1(VALU_DEP_2)
	s_or_b32 exec_lo, exec_lo, s7
	v_cmp_eq_u64_e64 s7, s[24:25], v[16:17]
	v_cmp_lt_i64_e64 s8, v[10:11], v[2:3]
	s_and_b32 s7, s42, s7
	s_delay_alu instid0(VALU_DEP_1) | instskip(NEXT) | instid1(SALU_CYCLE_1)
	s_or_b32 s6, s6, s8
	s_or_b32 s6, s6, s7
	s_delay_alu instid0(SALU_CYCLE_1) | instskip(NEXT) | instid1(SALU_CYCLE_1)
	s_or_b32 s6, s3, s6
	s_xor_b32 s6, s6, -1
	s_delay_alu instid0(SALU_CYCLE_1) | instskip(NEXT) | instid1(SALU_CYCLE_1)
	s_and_saveexec_b32 s8, s6
	s_xor_b32 s8, exec_lo, s8
	s_cbranch_execz .LBB82_17
; %bb.16:                               ;   in Loop: Header=BB82_7 Depth=2
	v_add_co_u32 v47, s6, v36, s22
	s_delay_alu instid0(VALU_DEP_1)
	v_add_co_ci_u32_e64 v48, s6, s23, v37, s6
	global_load_b64 v[47:48], v[47:48], off
	s_waitcnt vmcnt(0)
	v_xor_b32_e32 v48, 0x80000000, v48
	ds_store_b64 v31, v[47:48] offset:128
.LBB82_17:                              ;   in Loop: Header=BB82_7 Depth=2
	s_and_not1_saveexec_b32 s6, s8
	s_cbranch_execz .LBB82_23
; %bb.18:                               ;   in Loop: Header=BB82_7 Depth=2
	s_xor_b32 s7, s7, -1
	s_delay_alu instid0(SALU_CYCLE_1) | instskip(NEXT) | instid1(SALU_CYCLE_1)
	s_and_saveexec_b32 s8, s7
	s_xor_b32 s7, exec_lo, s8
	s_cbranch_execz .LBB82_20
; %bb.19:                               ;   in Loop: Header=BB82_7 Depth=2
	v_mov_b32_e32 v47, v5
	v_mov_b32_e32 v48, v5
	ds_store_b64 v31, v[47:48] offset:128
.LBB82_20:                              ;   in Loop: Header=BB82_7 Depth=2
	s_and_not1_saveexec_b32 s7, s7
	s_cbranch_execz .LBB82_22
; %bb.21:                               ;   in Loop: Header=BB82_7 Depth=2
	ds_store_b64 v31, v[4:5] offset:128
.LBB82_22:                              ;   in Loop: Header=BB82_7 Depth=2
	s_or_b32 exec_lo, exec_lo, s7
.LBB82_23:                              ;   in Loop: Header=BB82_7 Depth=2
	s_delay_alu instid0(SALU_CYCLE_1) | instskip(SKIP_1) | instid1(VALU_DEP_1)
	s_or_b32 exec_lo, exec_lo, s6
	v_add_co_u32 v2, s6, v2, 16
	v_add_co_ci_u32_e64 v3, s6, 0, v3, s6
	v_cmp_eq_u64_e64 s7, s[24:25], v[18:19]
	s_delay_alu instid0(VALU_DEP_2) | instskip(SKIP_1) | instid1(VALU_DEP_3)
	v_cmp_le_i64_e64 s6, s[12:13], v[2:3]
	v_cmp_gt_i64_e64 s8, v[2:3], v[6:7]
	s_and_b32 s29, s42, s7
	s_delay_alu instid0(VALU_DEP_1) | instskip(NEXT) | instid1(SALU_CYCLE_1)
	s_or_b32 s7, s6, s8
	s_or_b32 s7, s7, s29
	s_delay_alu instid0(SALU_CYCLE_1) | instskip(NEXT) | instid1(SALU_CYCLE_1)
	s_or_b32 s7, s0, s7
	s_xor_b32 s7, s7, -1
	s_delay_alu instid0(SALU_CYCLE_1) | instskip(NEXT) | instid1(SALU_CYCLE_1)
	s_and_saveexec_b32 s8, s7
	s_xor_b32 s7, exec_lo, s8
	s_cbranch_execz .LBB82_25
; %bb.24:                               ;   in Loop: Header=BB82_7 Depth=2
	global_load_b64 v[0:1], v[0:1], off offset:128
	s_waitcnt vmcnt(0)
	v_xor_b32_e32 v1, 0x80000000, v1
	ds_store_b64 v31, v[0:1] offset:4096
.LBB82_25:                              ;   in Loop: Header=BB82_7 Depth=2
	s_and_not1_saveexec_b32 s7, s7
	s_cbranch_execz .LBB82_31
; %bb.26:                               ;   in Loop: Header=BB82_7 Depth=2
	s_xor_b32 s8, s29, -1
	s_delay_alu instid0(SALU_CYCLE_1) | instskip(NEXT) | instid1(SALU_CYCLE_1)
	s_and_saveexec_b32 s29, s8
	s_xor_b32 s8, exec_lo, s29
	s_cbranch_execz .LBB82_28
; %bb.27:                               ;   in Loop: Header=BB82_7 Depth=2
	v_mov_b32_e32 v0, v5
	v_mov_b32_e32 v1, v5
	ds_store_b64 v31, v[0:1] offset:4096
.LBB82_28:                              ;   in Loop: Header=BB82_7 Depth=2
	s_and_not1_saveexec_b32 s8, s8
	s_cbranch_execz .LBB82_30
; %bb.29:                               ;   in Loop: Header=BB82_7 Depth=2
	ds_store_b64 v31, v[4:5] offset:4096
.LBB82_30:                              ;   in Loop: Header=BB82_7 Depth=2
	s_or_b32 exec_lo, exec_lo, s8
.LBB82_31:                              ;   in Loop: Header=BB82_7 Depth=2
	s_delay_alu instid0(SALU_CYCLE_1) | instskip(SKIP_1) | instid1(SALU_CYCLE_1)
	s_or_b32 exec_lo, exec_lo, s7
	s_or_b32 s5, s6, s5
	s_or_b32 s5, s5, s28
	s_delay_alu instid0(SALU_CYCLE_1) | instskip(NEXT) | instid1(SALU_CYCLE_1)
	s_or_b32 s5, s3, s5
	s_xor_b32 s5, s5, -1
	s_delay_alu instid0(SALU_CYCLE_1) | instskip(NEXT) | instid1(SALU_CYCLE_1)
	s_and_saveexec_b32 s6, s5
	s_xor_b32 s6, exec_lo, s6
	s_cbranch_execz .LBB82_33
; %bb.32:                               ;   in Loop: Header=BB82_7 Depth=2
	v_add_co_u32 v0, s5, v36, s22
	s_delay_alu instid0(VALU_DEP_1)
	v_add_co_ci_u32_e64 v1, s5, s23, v37, s5
	global_load_b64 v[0:1], v[0:1], off offset:128
	s_waitcnt vmcnt(0)
	v_xor_b32_e32 v1, 0x80000000, v1
	ds_store_b64 v31, v[0:1] offset:4224
.LBB82_33:                              ;   in Loop: Header=BB82_7 Depth=2
	s_and_not1_saveexec_b32 s5, s6
	s_cbranch_execz .LBB82_39
; %bb.34:                               ;   in Loop: Header=BB82_7 Depth=2
	s_and_saveexec_b32 s6, s15
	s_delay_alu instid0(SALU_CYCLE_1)
	s_xor_b32 s6, exec_lo, s6
	s_cbranch_execz .LBB82_36
; %bb.35:                               ;   in Loop: Header=BB82_7 Depth=2
	v_mov_b32_e32 v0, v5
	v_mov_b32_e32 v1, v5
	ds_store_b64 v31, v[0:1] offset:4224
.LBB82_36:                              ;   in Loop: Header=BB82_7 Depth=2
	s_and_not1_saveexec_b32 s6, s6
	s_cbranch_execz .LBB82_38
; %bb.37:                               ;   in Loop: Header=BB82_7 Depth=2
	ds_store_b64 v31, v[4:5] offset:4224
.LBB82_38:                              ;   in Loop: Header=BB82_7 Depth=2
	s_or_b32 exec_lo, exec_lo, s6
.LBB82_39:                              ;   in Loop: Header=BB82_7 Depth=2
	s_delay_alu instid0(SALU_CYCLE_1) | instskip(SKIP_1) | instid1(VALU_DEP_1)
	s_or_b32 exec_lo, exec_lo, s5
	v_add_co_u32 v0, s5, v29, s24
	v_add_co_ci_u32_e64 v1, null, 0, s25, s5
	s_delay_alu instid0(VALU_DEP_1) | instskip(NEXT) | instid1(VALU_DEP_1)
	v_cmp_gt_i64_e64 s5, s[12:13], v[0:1]
	s_and_b32 s6, vcc_lo, s5
	s_delay_alu instid0(SALU_CYCLE_1) | instskip(NEXT) | instid1(SALU_CYCLE_1)
	s_xor_b32 s6, s6, -1
	s_and_saveexec_b32 s7, s6
	s_delay_alu instid0(SALU_CYCLE_1)
	s_xor_b32 s6, exec_lo, s7
	s_cbranch_execz .LBB82_41
; %bb.40:                               ;   in Loop: Header=BB82_7 Depth=2
	v_mov_b32_e32 v2, v5
	v_mov_b32_e32 v3, v5
	ds_store_b64 v33, v[2:3]
.LBB82_41:                              ;   in Loop: Header=BB82_7 Depth=2
	s_or_saveexec_b32 s7, s6
	v_add_co_u32 v2, s6, v24, s22
	s_delay_alu instid0(VALU_DEP_1)
	v_add_co_ci_u32_e64 v3, s6, s23, v25, s6
	s_xor_b32 exec_lo, exec_lo, s7
	s_cbranch_execz .LBB82_43
; %bb.42:                               ;   in Loop: Header=BB82_7 Depth=2
	global_load_b64 v[47:48], v[2:3], off offset:-128
	s_waitcnt vmcnt(0)
	ds_store_b64 v33, v[47:48]
.LBB82_43:                              ;   in Loop: Header=BB82_7 Depth=2
	s_or_b32 exec_lo, exec_lo, s7
	v_cmp_gt_i64_e64 s6, s[18:19], v[0:1]
	s_delay_alu instid0(VALU_DEP_1) | instskip(NEXT) | instid1(SALU_CYCLE_1)
	s_and_b32 s7, vcc_lo, s6
	s_xor_b32 s7, s7, -1
	s_delay_alu instid0(SALU_CYCLE_1) | instskip(NEXT) | instid1(SALU_CYCLE_1)
	s_and_saveexec_b32 s8, s7
	s_xor_b32 s7, exec_lo, s8
	s_cbranch_execz .LBB82_45
; %bb.44:                               ;   in Loop: Header=BB82_7 Depth=2
	v_mov_b32_e32 v0, v5
	v_mov_b32_e32 v1, v5
                                        ; implicit-def: $vgpr2_vgpr3
	ds_store_b64 v33, v[0:1] offset:128
.LBB82_45:                              ;   in Loop: Header=BB82_7 Depth=2
	s_and_not1_saveexec_b32 s7, s7
	s_cbranch_execz .LBB82_47
; %bb.46:                               ;   in Loop: Header=BB82_7 Depth=2
	global_load_b64 v[0:1], v[2:3], off
	s_waitcnt vmcnt(0)
	ds_store_b64 v33, v[0:1] offset:128
.LBB82_47:                              ;   in Loop: Header=BB82_7 Depth=2
	s_or_b32 exec_lo, exec_lo, s7
	s_and_b32 s5, s4, s5
	s_delay_alu instid0(SALU_CYCLE_1) | instskip(NEXT) | instid1(SALU_CYCLE_1)
	s_xor_b32 s5, s5, -1
	s_and_saveexec_b32 s7, s5
	s_delay_alu instid0(SALU_CYCLE_1)
	s_xor_b32 s5, exec_lo, s7
	s_cbranch_execz .LBB82_49
; %bb.48:                               ;   in Loop: Header=BB82_7 Depth=2
	v_mov_b32_e32 v0, v5
	v_mov_b32_e32 v1, v5
	ds_store_b64 v33, v[0:1] offset:4096
.LBB82_49:                              ;   in Loop: Header=BB82_7 Depth=2
	s_and_not1_saveexec_b32 s7, s5
	s_cbranch_execz .LBB82_51
; %bb.50:                               ;   in Loop: Header=BB82_7 Depth=2
	v_add_co_u32 v0, s5, v26, s22
	s_delay_alu instid0(VALU_DEP_1)
	v_add_co_ci_u32_e64 v1, s5, s23, v27, s5
	global_load_b64 v[0:1], v[0:1], off offset:-128
	s_waitcnt vmcnt(0)
	ds_store_b64 v33, v[0:1] offset:4096
.LBB82_51:                              ;   in Loop: Header=BB82_7 Depth=2
	s_or_b32 exec_lo, exec_lo, s7
	s_and_b32 s5, s4, s6
	s_delay_alu instid0(SALU_CYCLE_1) | instskip(NEXT) | instid1(SALU_CYCLE_1)
	s_xor_b32 s5, s5, -1
	s_and_saveexec_b32 s6, s5
	s_delay_alu instid0(SALU_CYCLE_1)
	s_xor_b32 s5, exec_lo, s6
	s_cbranch_execz .LBB82_53
; %bb.52:                               ;   in Loop: Header=BB82_7 Depth=2
	v_mov_b32_e32 v0, v5
	v_mov_b32_e32 v1, v5
	ds_store_b64 v33, v[0:1] offset:4224
.LBB82_53:                              ;   in Loop: Header=BB82_7 Depth=2
	s_and_not1_saveexec_b32 s6, s5
	s_cbranch_execz .LBB82_6
; %bb.54:                               ;   in Loop: Header=BB82_7 Depth=2
	v_add_co_u32 v0, s5, v26, s22
	s_delay_alu instid0(VALU_DEP_1)
	v_add_co_ci_u32_e64 v1, s5, s23, v27, s5
	global_load_b64 v[0:1], v[0:1], off
	s_waitcnt vmcnt(0)
	ds_store_b64 v33, v[0:1] offset:4224
	s_branch .LBB82_6
.LBB82_55:                              ;   in Loop: Header=BB82_4 Depth=1
	v_mul_lo_u32 v2, v39, s16
	v_mul_lo_u32 v3, v38, s17
	v_mad_u64_u32 v[0:1], null, v38, s16, 0
	v_cmp_gt_i32_e32 vcc_lo, s10, v38
	s_delay_alu instid0(VALU_DEP_2) | instskip(NEXT) | instid1(VALU_DEP_1)
	v_add3_u32 v1, v1, v3, v2
	v_lshlrev_b64 v[0:1], 3, v[0:1]
	s_delay_alu instid0(VALU_DEP_1) | instskip(NEXT) | instid1(VALU_DEP_1)
	v_add_co_u32 v0, s4, s27, v0
	v_add_co_ci_u32_e64 v1, s4, s33, v1, s4
	s_and_b32 s4, s1, vcc_lo
	s_delay_alu instid0(SALU_CYCLE_1)
	s_and_saveexec_b32 s5, s4
	s_cbranch_execz .LBB82_57
; %bb.56:                               ;   in Loop: Header=BB82_4 Depth=1
	v_add_co_u32 v2, s4, v0, v12
	s_delay_alu instid0(VALU_DEP_1)
	v_add_co_ci_u32_e64 v3, s4, v1, v13, s4
	v_mul_f32_e32 v27, s34, v46
	v_mul_f32_e32 v26, s35, v46
	global_load_b64 v[24:25], v[2:3], off
	v_fmac_f32_e32 v27, s35, v45
	v_fma_f32 v26, v45, s34, -v26
	s_waitcnt vmcnt(0)
	s_delay_alu instid0(VALU_DEP_1)
	v_dual_add_f32 v24, v24, v26 :: v_dual_add_f32 v25, v25, v27
	global_store_b64 v[2:3], v[24:25], off
.LBB82_57:                              ;   in Loop: Header=BB82_4 Depth=1
	s_or_b32 exec_lo, exec_lo, s5
	s_and_b32 s5, s2, vcc_lo
	s_delay_alu instid0(SALU_CYCLE_1)
	s_and_saveexec_b32 s4, s5
	s_cbranch_execz .LBB82_59
; %bb.58:                               ;   in Loop: Header=BB82_4 Depth=1
	v_lshlrev_b64 v[2:3], 3, v[8:9]
	v_mul_f32_e32 v25, s34, v44
	s_delay_alu instid0(VALU_DEP_1) | instskip(NEXT) | instid1(VALU_DEP_3)
	v_dual_mul_f32 v24, s35, v44 :: v_dual_fmac_f32 v25, s35, v43
	v_add_co_u32 v0, vcc_lo, v0, v2
	s_delay_alu instid0(VALU_DEP_4) | instskip(NEXT) | instid1(VALU_DEP_3)
	v_add_co_ci_u32_e32 v1, vcc_lo, v1, v3, vcc_lo
	v_fma_f32 v24, v43, s34, -v24
	global_load_b64 v[2:3], v[0:1], off
	s_waitcnt vmcnt(0)
	v_dual_add_f32 v2, v2, v24 :: v_dual_add_f32 v3, v3, v25
	global_store_b64 v[0:1], v[2:3], off
.LBB82_59:                              ;   in Loop: Header=BB82_4 Depth=1
	s_or_b32 exec_lo, exec_lo, s4
	v_add_nc_u32_e32 v2, 16, v38
	s_delay_alu instid0(VALU_DEP_1) | instskip(SKIP_3) | instid1(VALU_DEP_4)
	v_ashrrev_i32_e32 v3, 31, v2
	v_mul_lo_u32 v24, v2, s17
	v_mad_u64_u32 v[0:1], null, v2, s16, 0
	v_cmp_gt_i32_e32 vcc_lo, s10, v2
	v_mul_lo_u32 v3, v3, s16
	s_delay_alu instid0(VALU_DEP_1) | instskip(NEXT) | instid1(VALU_DEP_1)
	v_add3_u32 v1, v1, v24, v3
	v_lshlrev_b64 v[0:1], 3, v[0:1]
	s_delay_alu instid0(VALU_DEP_1) | instskip(NEXT) | instid1(VALU_DEP_1)
	v_add_co_u32 v0, s4, s27, v0
	v_add_co_ci_u32_e64 v1, s4, s33, v1, s4
	s_and_b32 s4, s1, vcc_lo
	s_delay_alu instid0(SALU_CYCLE_1)
	s_and_saveexec_b32 s5, s4
	s_cbranch_execz .LBB82_61
; %bb.60:                               ;   in Loop: Header=BB82_4 Depth=1
	v_add_co_u32 v2, s4, v0, v12
	s_delay_alu instid0(VALU_DEP_1) | instskip(SKIP_2) | instid1(VALU_DEP_1)
	v_add_co_ci_u32_e64 v3, s4, v1, v13, s4
	global_load_b64 v[24:25], v[2:3], off
	v_mul_f32_e32 v27, s34, v41
	v_dual_mul_f32 v26, s35, v41 :: v_dual_fmac_f32 v27, s35, v42
	s_delay_alu instid0(VALU_DEP_1) | instskip(SKIP_1) | instid1(VALU_DEP_1)
	v_fma_f32 v26, v42, s34, -v26
	s_waitcnt vmcnt(0)
	v_dual_add_f32 v24, v24, v26 :: v_dual_add_f32 v25, v25, v27
	global_store_b64 v[2:3], v[24:25], off
.LBB82_61:                              ;   in Loop: Header=BB82_4 Depth=1
	s_or_b32 exec_lo, exec_lo, s5
	s_and_b32 s5, s2, vcc_lo
	s_delay_alu instid0(SALU_CYCLE_1)
	s_and_saveexec_b32 s4, s5
	s_cbranch_execz .LBB82_3
; %bb.62:                               ;   in Loop: Header=BB82_4 Depth=1
	v_lshlrev_b64 v[2:3], 3, v[8:9]
	v_mul_f32_e32 v24, s35, v23
	s_delay_alu instid0(VALU_DEP_2) | instskip(NEXT) | instid1(VALU_DEP_3)
	v_add_co_u32 v0, vcc_lo, v0, v2
	v_add_co_ci_u32_e32 v1, vcc_lo, v1, v3, vcc_lo
	global_load_b64 v[2:3], v[0:1], off
	v_mul_f32_e32 v23, s34, v23
	s_delay_alu instid0(VALU_DEP_1) | instskip(SKIP_2) | instid1(VALU_DEP_1)
	v_fmac_f32_e32 v23, s35, v40
	v_fma_f32 v24, v40, s34, -v24
	s_waitcnt vmcnt(0)
	v_dual_add_f32 v2, v2, v24 :: v_dual_add_f32 v3, v3, v23
	global_store_b64 v[0:1], v[2:3], off
	s_branch .LBB82_3
.LBB82_63:
	s_nop 0
	s_sendmsg sendmsg(MSG_DEALLOC_VGPRS)
	s_endpgm
	.section	.rodata,"a",@progbits
	.p2align	6, 0x0
	.amdhsa_kernel _ZL30rocblas_trmm_outofplace_kernelI19rocblas_complex_numIfELi32ELi2ELb1ELb1ELb1ELb1EPKS1_S2_S1_Ev17rocblas_diagonal_iiT6_lPT7_lllS7_lllPT8_llli
		.amdhsa_group_segment_fixed_size 16384
		.amdhsa_private_segment_fixed_size 0
		.amdhsa_kernarg_size 392
		.amdhsa_user_sgpr_count 13
		.amdhsa_user_sgpr_dispatch_ptr 0
		.amdhsa_user_sgpr_queue_ptr 0
		.amdhsa_user_sgpr_kernarg_segment_ptr 1
		.amdhsa_user_sgpr_dispatch_id 0
		.amdhsa_user_sgpr_private_segment_size 0
		.amdhsa_wavefront_size32 1
		.amdhsa_uses_dynamic_stack 0
		.amdhsa_enable_private_segment 0
		.amdhsa_system_sgpr_workgroup_id_x 1
		.amdhsa_system_sgpr_workgroup_id_y 1
		.amdhsa_system_sgpr_workgroup_id_z 1
		.amdhsa_system_sgpr_workgroup_info 0
		.amdhsa_system_vgpr_workitem_id 1
		.amdhsa_next_free_vgpr 81
		.amdhsa_next_free_sgpr 44
		.amdhsa_reserve_vcc 1
		.amdhsa_float_round_mode_32 0
		.amdhsa_float_round_mode_16_64 0
		.amdhsa_float_denorm_mode_32 3
		.amdhsa_float_denorm_mode_16_64 3
		.amdhsa_dx10_clamp 1
		.amdhsa_ieee_mode 1
		.amdhsa_fp16_overflow 0
		.amdhsa_workgroup_processor_mode 1
		.amdhsa_memory_ordered 1
		.amdhsa_forward_progress 0
		.amdhsa_shared_vgpr_count 0
		.amdhsa_exception_fp_ieee_invalid_op 0
		.amdhsa_exception_fp_denorm_src 0
		.amdhsa_exception_fp_ieee_div_zero 0
		.amdhsa_exception_fp_ieee_overflow 0
		.amdhsa_exception_fp_ieee_underflow 0
		.amdhsa_exception_fp_ieee_inexact 0
		.amdhsa_exception_int_div_zero 0
	.end_amdhsa_kernel
	.section	.text._ZL30rocblas_trmm_outofplace_kernelI19rocblas_complex_numIfELi32ELi2ELb1ELb1ELb1ELb1EPKS1_S2_S1_Ev17rocblas_diagonal_iiT6_lPT7_lllS7_lllPT8_llli,"axG",@progbits,_ZL30rocblas_trmm_outofplace_kernelI19rocblas_complex_numIfELi32ELi2ELb1ELb1ELb1ELb1EPKS1_S2_S1_Ev17rocblas_diagonal_iiT6_lPT7_lllS7_lllPT8_llli,comdat
.Lfunc_end82:
	.size	_ZL30rocblas_trmm_outofplace_kernelI19rocblas_complex_numIfELi32ELi2ELb1ELb1ELb1ELb1EPKS1_S2_S1_Ev17rocblas_diagonal_iiT6_lPT7_lllS7_lllPT8_llli, .Lfunc_end82-_ZL30rocblas_trmm_outofplace_kernelI19rocblas_complex_numIfELi32ELi2ELb1ELb1ELb1ELb1EPKS1_S2_S1_Ev17rocblas_diagonal_iiT6_lPT7_lllS7_lllPT8_llli
                                        ; -- End function
	.section	.AMDGPU.csdata,"",@progbits
; Kernel info:
; codeLenInByte = 7448
; NumSgprs: 46
; NumVgprs: 81
; ScratchSize: 0
; MemoryBound: 0
; FloatMode: 240
; IeeeMode: 1
; LDSByteSize: 16384 bytes/workgroup (compile time only)
; SGPRBlocks: 5
; VGPRBlocks: 10
; NumSGPRsForWavesPerEU: 46
; NumVGPRsForWavesPerEU: 81
; Occupancy: 16
; WaveLimiterHint : 0
; COMPUTE_PGM_RSRC2:SCRATCH_EN: 0
; COMPUTE_PGM_RSRC2:USER_SGPR: 13
; COMPUTE_PGM_RSRC2:TRAP_HANDLER: 0
; COMPUTE_PGM_RSRC2:TGID_X_EN: 1
; COMPUTE_PGM_RSRC2:TGID_Y_EN: 1
; COMPUTE_PGM_RSRC2:TGID_Z_EN: 1
; COMPUTE_PGM_RSRC2:TIDIG_COMP_CNT: 1
	.section	.text._ZL30rocblas_trmm_outofplace_kernelI19rocblas_complex_numIfELi32ELi2ELb1ELb1ELb1ELb1ES1_KS1_S1_Ev17rocblas_diagonal_iiT6_lPT7_lllS6_lllPT8_llli,"axG",@progbits,_ZL30rocblas_trmm_outofplace_kernelI19rocblas_complex_numIfELi32ELi2ELb1ELb1ELb1ELb1ES1_KS1_S1_Ev17rocblas_diagonal_iiT6_lPT7_lllS6_lllPT8_llli,comdat
	.globl	_ZL30rocblas_trmm_outofplace_kernelI19rocblas_complex_numIfELi32ELi2ELb1ELb1ELb1ELb1ES1_KS1_S1_Ev17rocblas_diagonal_iiT6_lPT7_lllS6_lllPT8_llli ; -- Begin function _ZL30rocblas_trmm_outofplace_kernelI19rocblas_complex_numIfELi32ELi2ELb1ELb1ELb1ELb1ES1_KS1_S1_Ev17rocblas_diagonal_iiT6_lPT7_lllS6_lllPT8_llli
	.p2align	8
	.type	_ZL30rocblas_trmm_outofplace_kernelI19rocblas_complex_numIfELi32ELi2ELb1ELb1ELb1ELb1ES1_KS1_S1_Ev17rocblas_diagonal_iiT6_lPT7_lllS6_lllPT8_llli,@function
_ZL30rocblas_trmm_outofplace_kernelI19rocblas_complex_numIfELi32ELi2ELb1ELb1ELb1ELb1ES1_KS1_S1_Ev17rocblas_diagonal_iiT6_lPT7_lllS6_lllPT8_llli: ; @_ZL30rocblas_trmm_outofplace_kernelI19rocblas_complex_numIfELi32ELi2ELb1ELb1ELb1ELb1ES1_KS1_S1_Ev17rocblas_diagonal_iiT6_lPT7_lllS6_lllPT8_llli
; %bb.0:
	s_clause 0x1
	s_load_b128 s[8:11], s[0:1], 0x0
	s_load_b32 s33, s[0:1], 0x10
	s_waitcnt lgkmcnt(0)
	s_or_b32 s2, s11, s33
	s_delay_alu instid0(SALU_CYCLE_1) | instskip(NEXT) | instid1(SALU_CYCLE_1)
	s_bitset0_b32 s2, 31
	s_cmp_eq_u32 s2, 0
	s_cbranch_scc1 .LBB83_63
; %bb.1:
	s_add_i32 s2, s10, -1
	s_delay_alu instid0(SALU_CYCLE_1) | instskip(NEXT) | instid1(SALU_CYCLE_1)
	s_ashr_i32 s3, s2, 31
	s_lshr_b32 s3, s3, 27
	s_delay_alu instid0(SALU_CYCLE_1) | instskip(NEXT) | instid1(SALU_CYCLE_1)
	s_add_i32 s2, s2, s3
	s_ashr_i32 s34, s2, 5
	s_delay_alu instid0(SALU_CYCLE_1)
	s_cmp_gt_i32 s14, s34
	s_cbranch_scc1 .LBB83_63
; %bb.2:
	s_clause 0x2
	s_load_b512 s[16:31], s[0:1], 0x20
	s_load_b256 s[36:43], s[0:1], 0x60
	s_load_b32 s35, s[0:1], 0x8c
	v_and_b32_e32 v29, 0x3ff, v0
	v_bfe_u32 v28, v0, 10, 10
	v_mov_b32_e32 v5, 0
	s_mov_b32 s12, s9
	s_delay_alu instid0(VALU_DEP_3) | instskip(NEXT) | instid1(VALU_DEP_3)
	v_lshlrev_b32_e32 v30, 3, v29
	v_lshlrev_b32_e32 v2, 3, v28
	;; [unrolled: 1-line block ×3, first 2 shown]
	v_lshl_add_u32 v22, s14, 5, v28
	s_delay_alu instid0(VALU_DEP_2) | instskip(SKIP_1) | instid1(VALU_DEP_2)
	v_add_nc_u32_e32 v31, 0x2000, v0
	v_add_nc_u32_e32 v32, v30, v0
	;; [unrolled: 1-line block ×3, first 2 shown]
	s_waitcnt lgkmcnt(0)
	s_mul_i32 s1, s15, s23
	s_mul_hi_u32 s2, s15, s22
	s_mul_i32 s0, s15, s22
	s_add_i32 s1, s2, s1
	s_mul_i32 s2, s15, s43
	s_lshl_b64 s[4:5], s[0:1], 3
	s_mul_hi_u32 s1, s15, s42
	s_add_u32 s3, s16, s4
	s_addc_u32 s22, s17, s5
	s_lshl_b64 s[6:7], s[18:19], 3
	s_mul_i32 s0, s15, s42
	s_add_u32 s3, s3, s6
	s_addc_u32 s22, s22, s7
	s_add_i32 s1, s1, s2
	s_delay_alu instid0(SALU_CYCLE_1) | instskip(NEXT) | instid1(SALU_CYCLE_1)
	s_lshl_b64 s[0:1], s[0:1], 3
	s_add_u32 s2, s36, s0
	s_addc_u32 s18, s37, s1
	s_lshl_b64 s[0:1], s[38:39], 3
	s_delay_alu instid0(SALU_CYCLE_1)
	s_add_u32 s36, s2, s0
	s_addc_u32 s37, s18, s1
	s_lshl_b32 s38, s13, 5
	s_cmp_gt_i32 s13, -1
	v_add_nc_u32_e32 v6, s38, v29
	s_cselect_b32 s39, -1, 0
	s_cmpk_eq_i32 s8, 0x84
	s_cselect_b32 s42, -1, 0
	s_delay_alu instid0(VALU_DEP_1) | instskip(SKIP_3) | instid1(VALU_DEP_4)
	v_ashrrev_i32_e32 v7, 31, v6
	v_mul_lo_u32 v3, v6, s21
	v_mad_u64_u32 v[0:1], null, v6, s20, 0
	v_add_co_u32 v10, vcc_lo, v6, 16
	v_mul_lo_u32 v4, v7, s20
	v_add_co_ci_u32_e32 v11, vcc_lo, 0, v7, vcc_lo
	v_sub_co_u32 v12, vcc_lo, v6, v28
	v_subrev_co_ci_u32_e32 v13, vcc_lo, 0, v7, vcc_lo
	v_lshlrev_b64 v[14:15], 3, v[6:7]
	v_add3_u32 v1, v1, v3, v4
	s_ashr_i32 s13, s9, 31
	s_ashr_i32 s43, s10, 31
	s_add_u32 s18, s9, -16
	s_addc_u32 s19, s13, -1
	v_lshlrev_b64 v[0:1], 3, v[0:1]
	s_add_u32 s4, s6, s4
	s_addc_u32 s5, s7, s5
	s_lshl_b64 s[6:7], s[26:27], 3
	v_add_nc_u32_e32 v8, 16, v6
	v_cmp_le_i32_e64 s0, s9, v6
	v_add_co_u32 v0, vcc_lo, s3, v0
	v_add_co_ci_u32_e32 v1, vcc_lo, s22, v1, vcc_lo
	v_cmp_le_i64_e64 s3, s[12:13], v[10:11]
	s_delay_alu instid0(VALU_DEP_3) | instskip(NEXT) | instid1(VALU_DEP_3)
	v_add_co_u32 v34, vcc_lo, v0, v2
	v_add_co_ci_u32_e32 v35, vcc_lo, 0, v1, vcc_lo
	v_add_co_u32 v3, vcc_lo, 0x80, v14
	v_add_co_ci_u32_e32 v0, vcc_lo, 0, v15, vcc_lo
	v_add_co_u32 v16, vcc_lo, v12, 16
	s_delay_alu instid0(VALU_DEP_3) | instskip(NEXT) | instid1(VALU_DEP_3)
	v_mul_lo_u32 v20, s21, v3
	v_mul_lo_u32 v4, s20, v0
	v_mad_u64_u32 v[0:1], null, s20, v3, s[4:5]
	s_mul_i32 s4, s31, s15
	s_mul_hi_u32 s5, s30, s15
	v_add_co_ci_u32_e32 v17, vcc_lo, 0, v13, vcc_lo
	s_add_i32 s5, s5, s4
	s_mul_i32 s4, s30, s15
	v_add_co_u32 v18, vcc_lo, v12, -16
	s_delay_alu instid0(VALU_DEP_3)
	v_add3_u32 v1, v20, v1, v4
	s_lshl_b64 s[4:5], s[4:5], 3
	v_add_co_ci_u32_e32 v19, vcc_lo, -1, v13, vcc_lo
	s_add_u32 s4, s4, s6
	v_add_co_u32 v0, vcc_lo, v0, v2
	s_addc_u32 s5, s5, s7
	s_add_u32 s4, s24, s4
	v_add_co_ci_u32_e32 v1, vcc_lo, 0, v1, vcc_lo
	s_addc_u32 s5, s25, s5
	v_add_co_u32 v2, s4, s4, v30
	s_delay_alu instid0(VALU_DEP_1) | instskip(SKIP_2) | instid1(VALU_DEP_4)
	v_add_co_ci_u32_e64 v3, null, s5, 0, s4
	v_add_co_u32 v36, vcc_lo, s16, v0
	v_add_co_ci_u32_e32 v37, vcc_lo, s17, v1, vcc_lo
	v_add_co_u32 v20, vcc_lo, 0x80, v2
	v_cmp_gt_i32_e64 s1, s9, v6
	v_cmp_gt_i32_e64 s2, s9, v8
	v_ashrrev_i32_e32 v9, 31, v8
	v_add_co_ci_u32_e32 v21, vcc_lo, 0, v3, vcc_lo
	v_mov_b32_e32 v4, 1.0
	s_mov_b32 s9, s10
	s_lshl_b64 s[16:17], s[28:29], 3
	s_lshl_b32 s15, s35, 5
	s_branch .LBB83_4
.LBB83_3:                               ;   in Loop: Header=BB83_4 Depth=1
	s_or_b32 exec_lo, exec_lo, s4
	v_add_nc_u32_e32 v22, s15, v22
	s_add_i32 s14, s35, s14
	s_delay_alu instid0(SALU_CYCLE_1)
	s_cmp_le_i32 s14, s34
	s_cbranch_scc0 .LBB83_63
.LBB83_4:                               ; =>This Loop Header: Depth=1
                                        ;     Child Loop BB83_7 Depth 2
	v_lshl_add_u32 v38, s14, 5, v28
	v_mov_b32_e32 v45, v5
	v_mov_b32_e32 v46, v5
	;; [unrolled: 1-line block ×4, first 2 shown]
	v_ashrrev_i32_e32 v39, 31, v38
	v_mov_b32_e32 v42, v5
	v_mov_b32_e32 v41, v5
	;; [unrolled: 1-line block ×4, first 2 shown]
	s_and_not1_b32 vcc_lo, exec_lo, s39
	s_cbranch_vccnz .LBB83_55
; %bb.5:                                ;   in Loop: Header=BB83_4 Depth=1
	v_ashrrev_i32_e32 v23, 31, v22
	v_mad_u64_u32 v[24:25], null, s16, v22, v[20:21]
	v_mul_lo_u32 v2, s17, v22
	v_mov_b32_e32 v41, 0
	s_delay_alu instid0(VALU_DEP_4) | instskip(SKIP_3) | instid1(VALU_DEP_4)
	v_lshlrev_b64 v[0:1], 3, v[22:23]
	v_mul_lo_u32 v42, s16, v23
	v_dual_mov_b32 v23, 0 :: v_dual_mov_b32 v40, 0
	v_dual_mov_b32 v46, 0 :: v_dual_mov_b32 v45, 0
	v_add_co_u32 v3, vcc_lo, 0x80, v0
	v_add_co_ci_u32_e32 v26, vcc_lo, 0, v1, vcc_lo
	v_sub_co_u32 v0, vcc_lo, s9, v38
	s_delay_alu instid0(VALU_DEP_3) | instskip(NEXT) | instid1(VALU_DEP_3)
	v_mul_lo_u32 v44, s29, v3
	v_mul_lo_u32 v43, s28, v26
	v_mad_u64_u32 v[26:27], null, s28, v3, v[20:21]
	v_sub_co_ci_u32_e32 v1, vcc_lo, s43, v39, vcc_lo
	v_add3_u32 v25, v2, v25, v42
	v_mov_b32_e32 v42, 0
	s_mov_b64 s[20:21], 0
	s_delay_alu instid0(VALU_DEP_3)
	v_cmp_lt_i64_e32 vcc_lo, 0, v[0:1]
	v_cmp_lt_i64_e64 s4, 16, v[0:1]
	v_add3_u32 v27, v44, v27, v43
	v_dual_mov_b32 v44, 0 :: v_dual_mov_b32 v43, 0
	s_mov_b64 s[22:23], 0
	s_branch .LBB83_7
.LBB83_6:                               ;   in Loop: Header=BB83_7 Depth=2
	s_or_b32 exec_lo, exec_lo, s6
	s_waitcnt lgkmcnt(0)
	s_waitcnt_vscnt null, 0x0
	s_barrier
	buffer_gl0_inv
	ds_load_2addr_b64 v[47:50], v30 offset1:16
	ds_load_b128 v[51:54], v31
	ds_load_b128 v[55:58], v31 offset:4096
	ds_load_b128 v[59:62], v31 offset:16
	;; [unrolled: 1-line block ×4, first 2 shown]
	ds_load_2addr_b64 v[67:70], v30 offset0:32 offset1:48
	ds_load_b128 v[71:74], v31 offset:4112
	s_add_u32 s22, s22, 32
	s_addc_u32 s23, s23, 0
	s_sub_i32 s5, s22, 32
	s_add_u32 s20, s20, 0x100
	s_addc_u32 s21, s21, 0
	s_cmp_ge_i32 s5, s38
	s_waitcnt lgkmcnt(6)
	v_dual_mul_f32 v75, v52, v48 :: v_dual_mul_f32 v78, v51, v50
	v_dual_mul_f32 v76, v51, v48 :: v_dual_mul_f32 v77, v52, v50
	s_waitcnt lgkmcnt(5)
	v_mul_f32_e32 v79, v56, v48
	s_delay_alu instid0(VALU_DEP_3)
	v_fma_f32 v75, v51, v47, -v75
	v_mul_f32_e32 v48, v55, v48
	v_fmac_f32_e32 v76, v52, v47
	v_fma_f32 v51, v51, v49, -v77
	v_mul_f32_e32 v80, v56, v50
	v_mul_f32_e32 v50, v55, v50
	v_fmac_f32_e32 v78, v52, v49
	v_fma_f32 v52, v55, v47, -v79
	v_add_f32_e32 v45, v45, v75
	s_delay_alu instid0(VALU_DEP_4)
	v_dual_add_f32 v51, v43, v51 :: v_dual_fmac_f32 v50, v56, v49
	v_fmac_f32_e32 v48, v56, v47
	v_fma_f32 v47, v55, v49, -v80
	s_waitcnt lgkmcnt(1)
	v_mul_f32_e32 v55, v54, v68
	v_mul_f32_e32 v49, v53, v68
	v_dual_add_f32 v23, v23, v50 :: v_dual_add_f32 v46, v46, v76
	v_add_f32_e32 v47, v40, v47
	s_delay_alu instid0(VALU_DEP_3)
	v_dual_add_f32 v44, v44, v78 :: v_dual_fmac_f32 v49, v54, v67
	v_add_f32_e32 v48, v41, v48
	v_fma_f32 v55, v53, v67, -v55
	v_add_f32_e32 v52, v42, v52
	ds_load_2addr_b64 v[40:43], v30 offset0:64 offset1:80
	v_mul_f32_e32 v56, v54, v70
	v_mul_f32_e32 v50, v53, v70
	v_add_f32_e32 v55, v45, v55
	v_dual_add_f32 v49, v46, v49 :: v_dual_mul_f32 v46, v57, v68
	s_delay_alu instid0(VALU_DEP_4) | instskip(SKIP_1) | instid1(VALU_DEP_2)
	v_fma_f32 v45, v53, v69, -v56
	v_mul_f32_e32 v53, v58, v68
	v_add_f32_e32 v51, v51, v45
	s_delay_alu instid0(VALU_DEP_2) | instskip(NEXT) | instid1(VALU_DEP_1)
	v_fma_f32 v45, v57, v67, -v53
	v_dual_mul_f32 v53, v58, v70 :: v_dual_add_f32 v52, v52, v45
	s_waitcnt lgkmcnt(0)
	v_mul_f32_e32 v45, v60, v41
	v_fmac_f32_e32 v50, v54, v69
	v_mul_f32_e32 v54, v57, v70
	s_delay_alu instid0(VALU_DEP_2) | instskip(SKIP_2) | instid1(VALU_DEP_4)
	v_add_f32_e32 v50, v44, v50
	v_fma_f32 v44, v57, v69, -v53
	v_mul_f32_e32 v53, v59, v41
	v_fmac_f32_e32 v54, v58, v69
	v_fmac_f32_e32 v46, v58, v67
	v_fma_f32 v57, v59, v40, -v45
	v_add_f32_e32 v56, v47, v44
	v_fmac_f32_e32 v53, v60, v40
	v_add_f32_e32 v23, v23, v54
	v_add_f32_e32 v48, v48, v46
	ds_load_2addr_b64 v[44:47], v30 offset0:96 offset1:112
	v_mul_f32_e32 v58, v60, v43
	v_add_f32_e32 v54, v55, v57
	v_mul_f32_e32 v55, v59, v43
	v_add_f32_e32 v49, v49, v53
	v_mul_f32_e32 v53, v72, v41
	v_mul_f32_e32 v41, v71, v41
	v_fma_f32 v57, v59, v42, -v58
	v_dual_fmac_f32 v55, v60, v42 :: v_dual_mul_f32 v58, v71, v43
	s_delay_alu instid0(VALU_DEP_4) | instskip(NEXT) | instid1(VALU_DEP_4)
	v_fma_f32 v53, v71, v40, -v53
	v_fmac_f32_e32 v41, v72, v40
	s_delay_alu instid0(VALU_DEP_4) | instskip(SKIP_3) | instid1(VALU_DEP_3)
	v_add_f32_e32 v51, v51, v57
	v_mul_f32_e32 v57, v72, v43
	v_dual_fmac_f32 v58, v72, v42 :: v_dual_add_f32 v55, v50, v55
	v_add_f32_e32 v52, v52, v53
	v_fma_f32 v40, v71, v42, -v57
	s_delay_alu instid0(VALU_DEP_3) | instskip(SKIP_4) | instid1(VALU_DEP_3)
	v_add_f32_e32 v23, v23, v58
	s_waitcnt lgkmcnt(0)
	v_dual_mul_f32 v57, v62, v47 :: v_dual_mul_f32 v50, v61, v45
	v_add_f32_e32 v53, v48, v41
	v_mul_f32_e32 v48, v62, v45
	v_fma_f32 v57, v61, v46, -v57
	v_mul_f32_e32 v58, v61, v47
	s_delay_alu instid0(VALU_DEP_3) | instskip(SKIP_1) | instid1(VALU_DEP_4)
	v_fma_f32 v48, v61, v44, -v48
	v_mul_f32_e32 v61, v74, v47
	v_dual_add_f32 v57, v51, v57 :: v_dual_fmac_f32 v50, v62, v44
	v_add_f32_e32 v56, v56, v40
	ds_load_2addr_b64 v[40:43], v30 offset0:128 offset1:144
	v_add_f32_e32 v54, v54, v48
	v_mul_f32_e32 v48, v74, v45
	v_dual_fmac_f32 v58, v62, v46 :: v_dual_mul_f32 v45, v73, v45
	v_add_f32_e32 v59, v49, v50
	s_delay_alu instid0(VALU_DEP_2)
	v_dual_add_f32 v58, v55, v58 :: v_dual_fmac_f32 v45, v74, v44
	v_mul_f32_e32 v55, v73, v47
	v_fma_f32 v60, v73, v44, -v48
	ds_load_b128 v[48:51], v31 offset:4128
	v_fma_f32 v44, v73, v46, -v61
	v_add_f32_e32 v61, v53, v45
	v_dual_fmac_f32 v55, v74, v46 :: v_dual_add_f32 v60, v52, v60
	s_delay_alu instid0(VALU_DEP_3)
	v_add_f32_e32 v56, v56, v44
	s_waitcnt lgkmcnt(1)
	v_mul_f32_e32 v47, v64, v41
	v_dual_mul_f32 v62, v63, v41 :: v_dual_mul_f32 v53, v64, v43
	v_add_f32_e32 v23, v23, v55
	v_mul_f32_e32 v68, v63, v43
	s_delay_alu instid0(VALU_DEP_4) | instskip(NEXT) | instid1(VALU_DEP_4)
	v_fma_f32 v52, v63, v40, -v47
	v_fmac_f32_e32 v62, v64, v40
	ds_load_2addr_b64 v[44:47], v30 offset0:160 offset1:176
	v_fma_f32 v63, v63, v42, -v53
	v_dual_fmac_f32 v68, v64, v42 :: v_dual_add_f32 v67, v54, v52
	ds_load_b128 v[52:55], v31 offset:4144
	s_waitcnt lgkmcnt(2)
	v_mul_f32_e32 v69, v49, v41
	v_dual_add_f32 v59, v59, v62 :: v_dual_add_f32 v58, v58, v68
	v_mul_f32_e32 v64, v48, v43
	s_delay_alu instid0(VALU_DEP_3) | instskip(SKIP_1) | instid1(VALU_DEP_2)
	v_fma_f32 v62, v48, v40, -v69
	v_add_f32_e32 v57, v57, v63
	v_dual_mul_f32 v63, v49, v43 :: v_dual_add_f32 v60, v60, v62
	s_waitcnt lgkmcnt(1)
	v_mul_f32_e32 v43, v66, v45
	v_dual_mul_f32 v41, v48, v41 :: v_dual_fmac_f32 v64, v49, v42
	s_delay_alu instid0(VALU_DEP_1) | instskip(SKIP_1) | instid1(VALU_DEP_2)
	v_dual_mul_f32 v62, v66, v47 :: v_dual_fmac_f32 v41, v49, v40
	v_mul_f32_e32 v49, v65, v45
	v_fma_f32 v62, v65, v46, -v62
	v_fma_f32 v40, v48, v42, -v63
	s_delay_alu instid0(VALU_DEP_2) | instskip(NEXT) | instid1(VALU_DEP_4)
	v_dual_add_f32 v57, v57, v62 :: v_dual_mul_f32 v62, v51, v47
	v_dual_add_f32 v48, v61, v41 :: v_dual_fmac_f32 v49, v66, v44
	s_delay_alu instid0(VALU_DEP_3)
	v_add_f32_e32 v56, v56, v40
	v_fma_f32 v61, v65, v44, -v43
	ds_load_2addr_b64 v[40:43], v30 offset0:192 offset1:208
	v_add_f32_e32 v49, v59, v49
	v_mul_f32_e32 v59, v51, v45
	v_mul_f32_e32 v45, v50, v45
	s_delay_alu instid0(VALU_DEP_2) | instskip(NEXT) | instid1(VALU_DEP_2)
	v_fma_f32 v59, v50, v44, -v59
	v_fmac_f32_e32 v45, v51, v44
	v_mul_f32_e32 v63, v65, v47
	v_fma_f32 v44, v50, v46, -v62
	v_add_f32_e32 v61, v67, v61
	s_delay_alu instid0(VALU_DEP_3) | instskip(NEXT) | instid1(VALU_DEP_1)
	v_dual_add_f32 v48, v48, v45 :: v_dual_fmac_f32 v63, v66, v46
	v_dual_add_f32 v23, v23, v64 :: v_dual_add_f32 v58, v58, v63
	v_mul_f32_e32 v63, v50, v47
	s_waitcnt lgkmcnt(0)
	v_mul_f32_e32 v62, v0, v43
	v_add_f32_e32 v50, v60, v59
	s_delay_alu instid0(VALU_DEP_3) | instskip(NEXT) | instid1(VALU_DEP_3)
	v_dual_mul_f32 v60, v1, v43 :: v_dual_fmac_f32 v63, v51, v46
	v_dual_add_f32 v51, v56, v44 :: v_dual_fmac_f32 v62, v1, v42
	ds_load_2addr_b64 v[44:47], v30 offset0:224 offset1:240
	v_mul_f32_e32 v59, v1, v41
	v_mul_f32_e32 v56, v0, v41
	v_add_f32_e32 v58, v58, v62
	s_delay_alu instid0(VALU_DEP_3) | instskip(SKIP_3) | instid1(VALU_DEP_4)
	v_fma_f32 v59, v0, v40, -v59
	v_fma_f32 v0, v0, v42, -v60
	v_mul_f32_e32 v60, v53, v41
	v_dual_fmac_f32 v56, v1, v40 :: v_dual_mul_f32 v1, v52, v41
	v_add_f32_e32 v59, v61, v59
	s_delay_alu instid0(VALU_DEP_4) | instskip(NEXT) | instid1(VALU_DEP_4)
	v_add_f32_e32 v57, v57, v0
	v_fma_f32 v0, v52, v40, -v60
	v_mul_f32_e32 v60, v52, v43
	v_add_f32_e32 v56, v49, v56
	s_delay_alu instid0(VALU_DEP_2) | instskip(SKIP_2) | instid1(VALU_DEP_1)
	v_fmac_f32_e32 v60, v53, v42
	s_waitcnt lgkmcnt(0)
	v_dual_mul_f32 v62, v2, v45 :: v_dual_add_f32 v23, v23, v63
	v_dual_mul_f32 v41, v53, v43 :: v_dual_fmac_f32 v62, v3, v44
	v_fmac_f32_e32 v1, v53, v40
	s_delay_alu instid0(VALU_DEP_2) | instskip(NEXT) | instid1(VALU_DEP_4)
	v_fma_f32 v40, v52, v42, -v41
	v_dual_add_f32 v23, v23, v60 :: v_dual_mul_f32 v60, v2, v47
	v_add_f32_e32 v61, v50, v0
	v_dual_mul_f32 v41, v3, v45 :: v_dual_add_nc_u32 v0, 0x800, v30
	s_delay_alu instid0(VALU_DEP_4) | instskip(SKIP_2) | instid1(VALU_DEP_4)
	v_add_f32_e32 v52, v51, v40
	v_add_f32_e32 v64, v56, v62
	v_dual_add_f32 v1, v48, v1 :: v_dual_mul_f32 v62, v55, v47
	v_fma_f32 v53, v2, v44, -v41
	ds_load_2addr_b64 v[40:43], v0 offset1:16
	ds_load_b128 v[48:51], v31 offset:64
	v_fmac_f32_e32 v60, v3, v46
	v_mul_f32_e32 v63, v3, v47
	v_mul_f32_e32 v3, v54, v45
	v_add_f32_e32 v53, v59, v53
	v_mul_f32_e32 v59, v55, v45
	v_add_f32_e32 v65, v58, v60
	s_delay_alu instid0(VALU_DEP_2) | instskip(NEXT) | instid1(VALU_DEP_1)
	v_fma_f32 v45, v54, v44, -v59
	v_add_f32_e32 v66, v61, v45
	v_fma_f32 v2, v2, v46, -v63
	s_waitcnt lgkmcnt(0)
	v_mul_f32_e32 v45, v49, v41
	s_delay_alu instid0(VALU_DEP_2)
	v_add_f32_e32 v2, v57, v2
	ds_load_b128 v[56:59], v31 offset:4160
	v_fmac_f32_e32 v3, v55, v44
	v_fma_f32 v44, v54, v46, -v62
	v_mul_f32_e32 v54, v54, v47
	v_mul_f32_e32 v69, v48, v43
	ds_load_b128 v[60:63], v31 offset:80
	v_dual_add_f32 v1, v1, v3 :: v_dual_fmac_f32 v54, v55, v46
	v_fmac_f32_e32 v69, v49, v42
	v_add_f32_e32 v67, v52, v44
	v_fma_f32 v52, v48, v40, -v45
	ds_load_2addr_b64 v[44:47], v0 offset0:32 offset1:48
	v_mul_f32_e32 v3, v48, v41
	v_mul_f32_e32 v55, v49, v43
	v_add_f32_e32 v23, v23, v54
	s_delay_alu instid0(VALU_DEP_3) | instskip(NEXT) | instid1(VALU_DEP_3)
	v_fmac_f32_e32 v3, v49, v40
	v_fma_f32 v48, v48, v42, -v55
	s_waitcnt lgkmcnt(2)
	s_delay_alu instid0(VALU_DEP_2) | instskip(NEXT) | instid1(VALU_DEP_2)
	v_dual_add_f32 v3, v64, v3 :: v_dual_mul_f32 v64, v57, v41
	v_dual_mul_f32 v41, v56, v41 :: v_dual_add_f32 v2, v2, v48
	v_mul_f32_e32 v48, v57, v43
	v_add_f32_e32 v68, v53, v52
	s_delay_alu instid0(VALU_DEP_4)
	v_fma_f32 v49, v56, v40, -v64
	v_add_f32_e32 v64, v65, v69
	v_fmac_f32_e32 v41, v57, v40
	v_mul_f32_e32 v65, v56, v43
	v_fma_f32 v40, v56, v42, -v48
	s_waitcnt lgkmcnt(0)
	v_mul_f32_e32 v56, v50, v45
	v_add_f32_e32 v48, v66, v49
	v_mul_f32_e32 v43, v51, v45
	v_dual_fmac_f32 v65, v57, v42 :: v_dual_mul_f32 v66, v51, v47
	s_delay_alu instid0(VALU_DEP_4) | instskip(SKIP_1) | instid1(VALU_DEP_4)
	v_fmac_f32_e32 v56, v51, v44
	v_add_f32_e32 v49, v67, v40
	v_fma_f32 v57, v50, v44, -v43
	ds_load_b128 v[52:55], v31 offset:4176
	v_dual_add_f32 v3, v3, v56 :: v_dual_mul_f32 v56, v58, v47
	v_add_f32_e32 v23, v23, v65
	v_mul_f32_e32 v65, v50, v47
	v_fma_f32 v50, v50, v46, -v66
	v_mul_f32_e32 v66, v59, v45
	v_fmac_f32_e32 v56, v59, v46
	s_delay_alu instid0(VALU_DEP_3) | instskip(NEXT) | instid1(VALU_DEP_3)
	v_add_f32_e32 v2, v2, v50
	v_fma_f32 v50, v58, v44, -v66
	s_delay_alu instid0(VALU_DEP_1) | instskip(SKIP_4) | instid1(VALU_DEP_2)
	v_dual_add_f32 v23, v23, v56 :: v_dual_add_f32 v48, v48, v50
	v_add_f32_e32 v1, v1, v41
	ds_load_2addr_b64 v[40:43], v0 offset0:64 offset1:80
	v_mul_f32_e32 v45, v58, v45
	v_add_f32_e32 v57, v68, v57
	v_fmac_f32_e32 v45, v59, v44
	v_mul_f32_e32 v44, v59, v47
	s_delay_alu instid0(VALU_DEP_1) | instskip(NEXT) | instid1(VALU_DEP_1)
	v_fma_f32 v50, v58, v46, -v44
	v_add_f32_e32 v49, v49, v50
	s_waitcnt lgkmcnt(0)
	v_mul_f32_e32 v58, v61, v41
	v_mul_f32_e32 v59, v60, v41
	s_delay_alu instid0(VALU_DEP_2) | instskip(SKIP_1) | instid1(VALU_DEP_3)
	v_fma_f32 v50, v60, v40, -v58
	v_mul_f32_e32 v58, v61, v43
	v_fmac_f32_e32 v59, v61, v40
	s_delay_alu instid0(VALU_DEP_3) | instskip(SKIP_1) | instid1(VALU_DEP_4)
	v_add_f32_e32 v56, v57, v50
	v_fmac_f32_e32 v65, v51, v46
	v_fma_f32 v50, v60, v42, -v58
	v_mul_f32_e32 v57, v53, v41
	v_mul_f32_e32 v41, v52, v41
	s_delay_alu instid0(VALU_DEP_4) | instskip(SKIP_4) | instid1(VALU_DEP_4)
	v_add_f32_e32 v51, v64, v65
	v_mul_f32_e32 v64, v60, v43
	v_add_f32_e32 v2, v2, v50
	v_mul_f32_e32 v50, v53, v43
	v_fmac_f32_e32 v41, v53, v40
	v_fmac_f32_e32 v64, v61, v42
	s_delay_alu instid0(VALU_DEP_1) | instskip(SKIP_3) | instid1(VALU_DEP_3)
	v_add_f32_e32 v58, v51, v64
	v_fma_f32 v51, v52, v40, -v57
	v_mul_f32_e32 v57, v52, v43
	v_fma_f32 v40, v52, v42, -v50
	v_dual_add_f32 v52, v48, v51 :: v_dual_add_f32 v1, v1, v45
	ds_load_2addr_b64 v[44:47], v0 offset0:96 offset1:112
	v_fmac_f32_e32 v57, v53, v42
	s_waitcnt lgkmcnt(0)
	v_mul_f32_e32 v43, v63, v45
	v_dual_mul_f32 v60, v62, v45 :: v_dual_add_f32 v3, v3, v59
	s_delay_alu instid0(VALU_DEP_2) | instskip(NEXT) | instid1(VALU_DEP_2)
	v_fma_f32 v59, v62, v44, -v43
	v_fmac_f32_e32 v60, v63, v44
	s_delay_alu instid0(VALU_DEP_2) | instskip(SKIP_1) | instid1(VALU_DEP_3)
	v_add_f32_e32 v64, v56, v59
	v_mul_f32_e32 v56, v55, v45
	v_add_f32_e32 v3, v3, v60
	v_add_f32_e32 v53, v49, v40
	v_mul_f32_e32 v45, v54, v45
	s_delay_alu instid0(VALU_DEP_4) | instskip(NEXT) | instid1(VALU_DEP_2)
	v_fma_f32 v60, v54, v44, -v56
	v_fmac_f32_e32 v45, v55, v44
	s_delay_alu instid0(VALU_DEP_2) | instskip(SKIP_4) | instid1(VALU_DEP_2)
	v_dual_add_f32 v66, v52, v60 :: v_dual_add_f32 v1, v1, v41
	ds_load_2addr_b64 v[40:43], v0 offset0:128 offset1:144
	ds_load_b128 v[48:51], v31 offset:96
	v_mul_f32_e32 v61, v63, v47
	v_mul_f32_e32 v52, v54, v47
	v_fma_f32 v61, v62, v46, -v61
	s_delay_alu instid0(VALU_DEP_2) | instskip(NEXT) | instid1(VALU_DEP_2)
	v_fmac_f32_e32 v52, v55, v46
	v_dual_add_f32 v2, v2, v61 :: v_dual_mul_f32 v61, v55, v47
	s_delay_alu instid0(VALU_DEP_1) | instskip(SKIP_3) | instid1(VALU_DEP_3)
	v_fma_f32 v44, v54, v46, -v61
	s_waitcnt lgkmcnt(0)
	v_dual_mul_f32 v54, v49, v43 :: v_dual_add_f32 v23, v23, v57
	v_dual_mul_f32 v57, v62, v47 :: v_dual_mul_f32 v68, v48, v41
	v_add_f32_e32 v67, v53, v44
	s_delay_alu instid0(VALU_DEP_2)
	v_fmac_f32_e32 v57, v63, v46
	ds_load_b128 v[60:63], v31 offset:112
	v_mul_f32_e32 v47, v49, v41
	v_dual_fmac_f32 v68, v49, v40 :: v_dual_mul_f32 v69, v48, v43
	v_add_f32_e32 v65, v58, v57
	ds_load_b128 v[56:59], v31 offset:4192
	v_fma_f32 v53, v48, v40, -v47
	v_add_f32_e32 v3, v3, v68
	v_fma_f32 v48, v48, v42, -v54
	s_delay_alu instid0(VALU_DEP_3) | instskip(NEXT) | instid1(VALU_DEP_2)
	v_dual_fmac_f32 v69, v49, v42 :: v_dual_add_f32 v64, v64, v53
	v_add_f32_e32 v2, v2, v48
	s_waitcnt lgkmcnt(0)
	v_dual_mul_f32 v68, v56, v43 :: v_dual_add_f32 v1, v1, v45
	ds_load_2addr_b64 v[44:47], v0 offset0:160 offset1:176
	v_mul_f32_e32 v70, v57, v41
	v_mul_f32_e32 v41, v56, v41
	;; [unrolled: 1-line block ×3, first 2 shown]
	v_fmac_f32_e32 v68, v57, v42
	s_delay_alu instid0(VALU_DEP_4) | instskip(NEXT) | instid1(VALU_DEP_4)
	v_fma_f32 v48, v56, v40, -v70
	v_fmac_f32_e32 v41, v57, v40
	s_delay_alu instid0(VALU_DEP_4) | instskip(NEXT) | instid1(VALU_DEP_2)
	v_fma_f32 v40, v56, v42, -v49
	v_dual_add_f32 v48, v66, v48 :: v_dual_add_f32 v1, v1, v41
	s_delay_alu instid0(VALU_DEP_2) | instskip(SKIP_3) | instid1(VALU_DEP_2)
	v_add_f32_e32 v56, v67, v40
	s_waitcnt lgkmcnt(0)
	v_mul_f32_e32 v43, v51, v45
	v_dual_mul_f32 v49, v50, v45 :: v_dual_mul_f32 v66, v51, v47
	v_fma_f32 v57, v50, v44, -v43
	ds_load_2addr_b64 v[40:43], v0 offset0:192 offset1:208
	v_fmac_f32_e32 v49, v51, v44
	v_dual_add_f32 v57, v64, v57 :: v_dual_mul_f32 v64, v50, v47
	v_fma_f32 v50, v50, v46, -v66
	s_delay_alu instid0(VALU_DEP_3) | instskip(SKIP_1) | instid1(VALU_DEP_4)
	v_add_f32_e32 v3, v3, v49
	v_mul_f32_e32 v49, v59, v45
	v_dual_mul_f32 v45, v58, v45 :: v_dual_fmac_f32 v64, v51, v46
	s_delay_alu instid0(VALU_DEP_4) | instskip(SKIP_1) | instid1(VALU_DEP_4)
	v_add_f32_e32 v2, v2, v50
	v_mul_f32_e32 v50, v59, v47
	v_fma_f32 v49, v58, v44, -v49
	s_delay_alu instid0(VALU_DEP_4) | instskip(NEXT) | instid1(VALU_DEP_3)
	v_fmac_f32_e32 v45, v59, v44
	v_fma_f32 v44, v58, v46, -v50
	s_delay_alu instid0(VALU_DEP_3) | instskip(NEXT) | instid1(VALU_DEP_3)
	v_add_f32_e32 v48, v48, v49
	v_add_f32_e32 v1, v1, v45
	s_waitcnt lgkmcnt(0)
	s_delay_alu instid0(VALU_DEP_3) | instskip(SKIP_1) | instid1(VALU_DEP_1)
	v_dual_mul_f32 v49, v61, v41 :: v_dual_add_f32 v50, v56, v44
	v_add_f32_e32 v65, v65, v69
	v_dual_mul_f32 v56, v60, v41 :: v_dual_add_f32 v51, v65, v64
	v_mul_f32_e32 v64, v58, v47
	v_dual_mul_f32 v58, v60, v43 :: v_dual_add_f32 v23, v23, v52
	ds_load_b128 v[52:55], v31 offset:4208
	v_fmac_f32_e32 v56, v61, v40
	v_fmac_f32_e32 v64, v59, v46
	v_fmac_f32_e32 v58, v61, v42
	ds_load_2addr_b64 v[44:47], v0 offset0:224 offset1:240
	v_fma_f32 v0, v60, v40, -v49
	v_mul_f32_e32 v49, v61, v43
	v_add_f32_e32 v3, v3, v56
	v_add_f32_e32 v56, v51, v58
	;; [unrolled: 1-line block ×4, first 2 shown]
	v_fma_f32 v0, v60, v42, -v49
	s_waitcnt lgkmcnt(1)
	s_delay_alu instid0(VALU_DEP_1) | instskip(SKIP_3) | instid1(VALU_DEP_3)
	v_dual_add_f32 v2, v2, v0 :: v_dual_mul_f32 v49, v53, v41
	v_mul_f32_e32 v41, v52, v41
	s_waitcnt lgkmcnt(0)
	v_dual_mul_f32 v58, v52, v43 :: v_dual_mul_f32 v59, v62, v45
	v_fma_f32 v0, v52, v40, -v49
	v_mul_f32_e32 v49, v53, v43
	v_fmac_f32_e32 v41, v53, v40
	s_delay_alu instid0(VALU_DEP_4) | instskip(NEXT) | instid1(VALU_DEP_4)
	v_dual_mul_f32 v43, v63, v45 :: v_dual_fmac_f32 v58, v53, v42
	v_add_f32_e32 v60, v48, v0
	s_delay_alu instid0(VALU_DEP_4) | instskip(NEXT) | instid1(VALU_DEP_4)
	v_fma_f32 v40, v52, v42, -v49
	v_dual_add_f32 v1, v1, v41 :: v_dual_add_nc_u32 v0, 0x1000, v30
	s_delay_alu instid0(VALU_DEP_4) | instskip(NEXT) | instid1(VALU_DEP_3)
	v_fma_f32 v53, v62, v44, -v43
	v_dual_mul_f32 v61, v63, v47 :: v_dual_add_f32 v52, v50, v40
	ds_load_2addr_b64 v[40:43], v0 offset1:16
	ds_load_b128 v[48:51], v31 offset:128
	v_add_f32_e32 v23, v23, v64
	v_fmac_f32_e32 v59, v63, v44
	v_add_f32_e32 v53, v57, v53
	v_fma_f32 v57, v62, v46, -v61
	v_mul_f32_e32 v61, v55, v45
	v_dual_add_f32 v23, v23, v58 :: v_dual_mul_f32 v58, v62, v47
	v_dual_mul_f32 v45, v54, v45 :: v_dual_mul_f32 v62, v55, v47
	s_delay_alu instid0(VALU_DEP_4) | instskip(NEXT) | instid1(VALU_DEP_3)
	v_dual_add_f32 v3, v3, v59 :: v_dual_add_f32 v2, v2, v57
	v_fmac_f32_e32 v58, v63, v46
	v_fma_f32 v61, v54, v44, -v61
	s_delay_alu instid0(VALU_DEP_4)
	v_fmac_f32_e32 v45, v55, v44
	v_fma_f32 v44, v54, v46, -v62
	v_mul_f32_e32 v54, v54, v47
	v_add_f32_e32 v64, v56, v58
	ds_load_b128 v[56:59], v31 offset:4224
	v_add_f32_e32 v65, v60, v61
	s_waitcnt lgkmcnt(1)
	v_mul_f32_e32 v47, v49, v41
	ds_load_b128 v[60:63], v31 offset:144
	v_dual_add_f32 v1, v1, v45 :: v_dual_fmac_f32 v54, v55, v46
	v_add_f32_e32 v67, v52, v44
	v_fma_f32 v52, v48, v40, -v47
	ds_load_2addr_b64 v[44:47], v0 offset0:32 offset1:48
	v_dual_mul_f32 v66, v48, v41 :: v_dual_mul_f32 v55, v49, v43
	v_mul_f32_e32 v69, v48, v43
	s_delay_alu instid0(VALU_DEP_2) | instskip(NEXT) | instid1(VALU_DEP_3)
	v_dual_add_f32 v23, v23, v54 :: v_dual_fmac_f32 v66, v49, v40
	v_fma_f32 v48, v48, v42, -v55
	s_delay_alu instid0(VALU_DEP_3) | instskip(SKIP_1) | instid1(VALU_DEP_3)
	v_fmac_f32_e32 v69, v49, v42
	s_waitcnt lgkmcnt(2)
	v_dual_add_f32 v3, v3, v66 :: v_dual_mul_f32 v66, v57, v41
	s_delay_alu instid0(VALU_DEP_3) | instskip(SKIP_2) | instid1(VALU_DEP_4)
	v_dual_mul_f32 v41, v56, v41 :: v_dual_add_f32 v2, v2, v48
	v_mul_f32_e32 v48, v57, v43
	v_add_f32_e32 v64, v64, v69
	v_fma_f32 v49, v56, v40, -v66
	s_delay_alu instid0(VALU_DEP_4) | instskip(NEXT) | instid1(VALU_DEP_4)
	v_dual_fmac_f32 v41, v57, v40 :: v_dual_mul_f32 v66, v56, v43
	v_fma_f32 v40, v56, v42, -v48
	s_waitcnt lgkmcnt(0)
	v_mul_f32_e32 v43, v51, v45
	v_add_f32_e32 v48, v65, v49
	v_add_f32_e32 v1, v1, v41
	v_dual_fmac_f32 v66, v57, v42 :: v_dual_add_f32 v49, v67, v40
	v_mul_f32_e32 v56, v50, v45
	v_fma_f32 v57, v50, v44, -v43
	ds_load_2addr_b64 v[40:43], v0 offset0:64 offset1:80
	v_mul_f32_e32 v65, v51, v47
	v_add_f32_e32 v23, v23, v66
	v_fmac_f32_e32 v56, v51, v44
	v_mul_f32_e32 v66, v50, v47
	s_delay_alu instid0(VALU_DEP_4) | instskip(SKIP_3) | instid1(VALU_DEP_4)
	v_fma_f32 v50, v50, v46, -v65
	v_mul_f32_e32 v65, v59, v45
	v_mul_f32_e32 v45, v58, v45
	v_dual_add_f32 v3, v3, v56 :: v_dual_mul_f32 v56, v58, v47
	v_add_f32_e32 v2, v2, v50
	s_delay_alu instid0(VALU_DEP_4) | instskip(NEXT) | instid1(VALU_DEP_4)
	v_fma_f32 v50, v58, v44, -v65
	v_fmac_f32_e32 v45, v59, v44
	v_mul_f32_e32 v44, v59, v47
	v_fmac_f32_e32 v56, v59, v46
	v_add_f32_e32 v68, v53, v52
	ds_load_b128 v[52:55], v31 offset:4240
	v_fmac_f32_e32 v66, v51, v46
	v_dual_add_f32 v48, v48, v50 :: v_dual_add_f32 v1, v1, v45
	v_fma_f32 v50, v58, v46, -v44
	s_waitcnt lgkmcnt(1)
	v_mul_f32_e32 v58, v61, v41
	ds_load_2addr_b64 v[44:47], v0 offset0:96 offset1:112
	v_add_f32_e32 v57, v68, v57
	v_add_f32_e32 v51, v64, v66
	;; [unrolled: 1-line block ×3, first 2 shown]
	v_fma_f32 v50, v60, v40, -v58
	v_mul_f32_e32 v58, v61, v43
	v_dual_mul_f32 v64, v60, v43 :: v_dual_add_f32 v23, v23, v56
	s_delay_alu instid0(VALU_DEP_3) | instskip(NEXT) | instid1(VALU_DEP_3)
	v_dual_mul_f32 v59, v60, v41 :: v_dual_add_f32 v56, v57, v50
	v_fma_f32 v50, v60, v42, -v58
	s_delay_alu instid0(VALU_DEP_3) | instskip(NEXT) | instid1(VALU_DEP_3)
	v_fmac_f32_e32 v64, v61, v42
	v_fmac_f32_e32 v59, v61, v40
	s_waitcnt lgkmcnt(1)
	v_mul_f32_e32 v57, v53, v41
	v_dual_mul_f32 v41, v52, v41 :: v_dual_add_f32 v2, v2, v50
	v_mul_f32_e32 v50, v53, v43
	v_add_f32_e32 v58, v51, v64
	s_delay_alu instid0(VALU_DEP_4) | instskip(NEXT) | instid1(VALU_DEP_4)
	v_fma_f32 v51, v52, v40, -v57
	v_fmac_f32_e32 v41, v53, v40
	v_mul_f32_e32 v57, v52, v43
	v_fma_f32 v40, v52, v42, -v50
	s_waitcnt lgkmcnt(0)
	v_mul_f32_e32 v43, v63, v45
	v_add_f32_e32 v3, v3, v59
	v_dual_add_f32 v52, v48, v51 :: v_dual_add_f32 v1, v1, v41
	v_fmac_f32_e32 v57, v53, v42
	v_add_f32_e32 v53, v49, v40
	v_fma_f32 v59, v62, v44, -v43
	ds_load_2addr_b64 v[40:43], v0 offset0:128 offset1:144
	ds_load_b128 v[48:51], v31 offset:160
	v_dual_mul_f32 v60, v62, v45 :: v_dual_mul_f32 v61, v63, v47
	v_dual_add_f32 v23, v23, v57 :: v_dual_add_f32 v64, v56, v59
	v_mul_f32_e32 v56, v55, v45
	s_delay_alu instid0(VALU_DEP_3) | instskip(NEXT) | instid1(VALU_DEP_4)
	v_fmac_f32_e32 v60, v63, v44
	v_fma_f32 v61, v62, v46, -v61
	v_mul_f32_e32 v45, v54, v45
	v_mul_f32_e32 v57, v62, v47
	s_delay_alu instid0(VALU_DEP_3) | instskip(SKIP_3) | instid1(VALU_DEP_3)
	v_dual_add_f32 v3, v3, v60 :: v_dual_add_f32 v2, v2, v61
	v_fma_f32 v60, v54, v44, -v56
	v_mul_f32_e32 v61, v55, v47
	v_fmac_f32_e32 v45, v55, v44
	v_dual_fmac_f32 v57, v63, v46 :: v_dual_add_f32 v66, v52, v60
	v_mul_f32_e32 v52, v54, v47
	s_delay_alu instid0(VALU_DEP_4)
	v_fma_f32 v44, v54, v46, -v61
	s_waitcnt lgkmcnt(0)
	v_mul_f32_e32 v47, v49, v41
	v_mul_f32_e32 v54, v49, v43
	;; [unrolled: 1-line block ×3, first 2 shown]
	v_dual_fmac_f32 v52, v55, v46 :: v_dual_add_f32 v67, v53, v44
	s_delay_alu instid0(VALU_DEP_4) | instskip(SKIP_2) | instid1(VALU_DEP_4)
	v_fma_f32 v53, v48, v40, -v47
	v_mul_f32_e32 v69, v48, v43
	v_fma_f32 v48, v48, v42, -v54
	v_add_f32_e32 v23, v23, v52
	ds_load_b128 v[60:63], v31 offset:176
	v_add_f32_e32 v64, v64, v53
	ds_load_b128 v[52:55], v31 offset:4272
	;; [unrolled: 2-line block ×3, first 2 shown]
	v_add_f32_e32 v1, v1, v45
	ds_load_2addr_b64 v[44:47], v0 offset0:160 offset1:176
	v_fmac_f32_e32 v68, v49, v40
	v_dual_fmac_f32 v69, v49, v42 :: v_dual_add_f32 v2, v2, v48
	s_delay_alu instid0(VALU_DEP_2) | instskip(NEXT) | instid1(VALU_DEP_2)
	v_add_f32_e32 v3, v3, v68
	v_add_f32_e32 v65, v65, v69
	s_waitcnt lgkmcnt(1)
	v_mul_f32_e32 v70, v57, v41
	v_mul_f32_e32 v41, v56, v41
	;; [unrolled: 1-line block ×3, first 2 shown]
	s_waitcnt lgkmcnt(0)
	v_dual_mul_f32 v68, v56, v43 :: v_dual_mul_f32 v43, v51, v45
	v_fma_f32 v48, v56, v40, -v70
	v_fmac_f32_e32 v41, v57, v40
	v_fma_f32 v40, v56, v42, -v49
	s_delay_alu instid0(VALU_DEP_4) | instskip(NEXT) | instid1(VALU_DEP_4)
	v_dual_fmac_f32 v68, v57, v42 :: v_dual_mul_f32 v49, v50, v45
	v_add_f32_e32 v48, v66, v48
	v_fma_f32 v57, v50, v44, -v43
	v_dual_mul_f32 v66, v51, v47 :: v_dual_add_f32 v1, v1, v41
	v_add_f32_e32 v56, v67, v40
	ds_load_2addr_b64 v[40:43], v0 offset0:192 offset1:208
	v_fmac_f32_e32 v49, v51, v44
	v_dual_add_f32 v57, v64, v57 :: v_dual_mul_f32 v64, v50, v47
	v_fma_f32 v50, v50, v46, -v66
	s_delay_alu instid0(VALU_DEP_3) | instskip(SKIP_1) | instid1(VALU_DEP_4)
	v_add_f32_e32 v3, v3, v49
	v_mul_f32_e32 v49, v59, v45
	v_dual_mul_f32 v45, v58, v45 :: v_dual_fmac_f32 v64, v51, v46
	s_delay_alu instid0(VALU_DEP_4) | instskip(SKIP_1) | instid1(VALU_DEP_4)
	v_add_f32_e32 v2, v2, v50
	v_mul_f32_e32 v50, v59, v47
	v_fma_f32 v49, v58, v44, -v49
	s_delay_alu instid0(VALU_DEP_4) | instskip(SKIP_1) | instid1(VALU_DEP_4)
	v_fmac_f32_e32 v45, v59, v44
	v_dual_add_f32 v51, v65, v64 :: v_dual_mul_f32 v64, v58, v47
	v_fma_f32 v44, v58, v46, -v50
	s_delay_alu instid0(VALU_DEP_4) | instskip(NEXT) | instid1(VALU_DEP_3)
	v_add_f32_e32 v48, v48, v49
	v_dual_add_f32 v1, v1, v45 :: v_dual_fmac_f32 v64, v59, v46
	s_delay_alu instid0(VALU_DEP_3)
	v_add_f32_e32 v50, v56, v44
	ds_load_2addr_b64 v[44:47], v0 offset0:224 offset1:240
	s_waitcnt lgkmcnt(1)
	v_mul_f32_e32 v49, v61, v41
	v_mul_f32_e32 v56, v60, v41
	;; [unrolled: 1-line block ×3, first 2 shown]
	s_delay_alu instid0(VALU_DEP_3) | instskip(SKIP_1) | instid1(VALU_DEP_4)
	v_fma_f32 v0, v60, v40, -v49
	v_mul_f32_e32 v49, v61, v43
	v_fmac_f32_e32 v56, v61, v40
	s_delay_alu instid0(VALU_DEP_4) | instskip(NEXT) | instid1(VALU_DEP_4)
	v_fmac_f32_e32 v58, v61, v42
	v_add_f32_e32 v57, v57, v0
	s_delay_alu instid0(VALU_DEP_4) | instskip(SKIP_3) | instid1(VALU_DEP_4)
	v_fma_f32 v0, v60, v42, -v49
	v_mul_f32_e32 v49, v53, v41
	v_add_f32_e32 v3, v3, v56
	v_dual_mul_f32 v41, v52, v41 :: v_dual_add_f32 v56, v51, v58
	v_add_f32_e32 v2, v2, v0
	s_delay_alu instid0(VALU_DEP_4)
	v_fma_f32 v0, v52, v40, -v49
	v_mul_f32_e32 v49, v53, v43
	s_waitcnt lgkmcnt(0)
	v_dual_mul_f32 v58, v52, v43 :: v_dual_mul_f32 v43, v63, v45
	v_fmac_f32_e32 v41, v53, v40
	v_dual_mul_f32 v61, v63, v47 :: v_dual_add_f32 v60, v48, v0
	s_delay_alu instid0(VALU_DEP_3) | instskip(NEXT) | instid1(VALU_DEP_4)
	v_fmac_f32_e32 v58, v53, v42
	v_fma_f32 v53, v62, v44, -v43
	v_fma_f32 v40, v52, v42, -v49
	v_dual_add_f32 v1, v1, v41 :: v_dual_add_nc_u32 v0, 0x1800, v30
	v_mul_f32_e32 v59, v62, v45
	s_delay_alu instid0(VALU_DEP_4)
	v_add_f32_e32 v53, v57, v53
	v_fma_f32 v57, v62, v46, -v61
	v_dual_mul_f32 v61, v55, v45 :: v_dual_add_f32 v52, v50, v40
	ds_load_2addr_b64 v[40:43], v0 offset1:16
	ds_load_b128 v[48:51], v31 offset:192
	v_fmac_f32_e32 v59, v63, v44
	v_mul_f32_e32 v45, v54, v45
	v_fma_f32 v61, v54, v44, -v61
	s_delay_alu instid0(VALU_DEP_3) | instskip(NEXT) | instid1(VALU_DEP_3)
	v_dual_add_f32 v2, v2, v57 :: v_dual_add_f32 v3, v3, v59
	v_fmac_f32_e32 v45, v55, v44
	s_delay_alu instid0(VALU_DEP_3) | instskip(SKIP_1) | instid1(VALU_DEP_3)
	v_add_f32_e32 v65, v60, v61
	v_add_f32_e32 v23, v23, v68
	;; [unrolled: 1-line block ×3, first 2 shown]
	s_delay_alu instid0(VALU_DEP_2) | instskip(NEXT) | instid1(VALU_DEP_1)
	v_add_f32_e32 v23, v23, v64
	v_dual_add_f32 v23, v23, v58 :: v_dual_mul_f32 v58, v62, v47
	v_mul_f32_e32 v62, v55, v47
	s_waitcnt lgkmcnt(0)
	v_mul_f32_e32 v66, v48, v41
	s_delay_alu instid0(VALU_DEP_3) | instskip(NEXT) | instid1(VALU_DEP_3)
	v_dual_mul_f32 v69, v48, v43 :: v_dual_fmac_f32 v58, v63, v46
	v_fma_f32 v44, v54, v46, -v62
	v_dual_mul_f32 v54, v54, v47 :: v_dual_mul_f32 v47, v49, v41
	s_delay_alu instid0(VALU_DEP_4) | instskip(NEXT) | instid1(VALU_DEP_4)
	v_fmac_f32_e32 v66, v49, v40
	v_add_f32_e32 v64, v56, v58
	ds_load_b128 v[56:59], v31 offset:4288
	ds_load_b128 v[60:63], v31 offset:208
	v_dual_fmac_f32 v54, v55, v46 :: v_dual_add_f32 v67, v52, v44
	v_fma_f32 v52, v48, v40, -v47
	ds_load_2addr_b64 v[44:47], v0 offset0:32 offset1:48
	v_mul_f32_e32 v55, v49, v43
	v_add_f32_e32 v3, v3, v66
	v_fmac_f32_e32 v69, v49, v42
	v_dual_add_f32 v23, v23, v54 :: v_dual_add_f32 v68, v53, v52
	s_delay_alu instid0(VALU_DEP_4)
	v_fma_f32 v48, v48, v42, -v55
	ds_load_b128 v[52:55], v31 offset:4304
	v_add_f32_e32 v64, v64, v69
	v_add_f32_e32 v2, v2, v48
	s_waitcnt lgkmcnt(3)
	v_mul_f32_e32 v66, v57, v41
	v_dual_mul_f32 v41, v56, v41 :: v_dual_mul_f32 v48, v57, v43
	s_delay_alu instid0(VALU_DEP_2) | instskip(NEXT) | instid1(VALU_DEP_2)
	v_fma_f32 v49, v56, v40, -v66
	v_dual_fmac_f32 v41, v57, v40 :: v_dual_mul_f32 v66, v56, v43
	s_delay_alu instid0(VALU_DEP_3)
	v_fma_f32 v40, v56, v42, -v48
	s_waitcnt lgkmcnt(1)
	v_mul_f32_e32 v43, v51, v45
	v_add_f32_e32 v48, v65, v49
	v_add_f32_e32 v1, v1, v41
	v_dual_fmac_f32 v66, v57, v42 :: v_dual_add_f32 v49, v67, v40
	s_delay_alu instid0(VALU_DEP_4) | instskip(SKIP_3) | instid1(VALU_DEP_2)
	v_fma_f32 v57, v50, v44, -v43
	ds_load_2addr_b64 v[40:43], v0 offset0:64 offset1:80
	v_dual_mul_f32 v56, v50, v45 :: v_dual_mul_f32 v65, v51, v47
	v_dual_add_f32 v23, v23, v66 :: v_dual_mul_f32 v66, v50, v47
	v_dual_add_f32 v57, v68, v57 :: v_dual_fmac_f32 v56, v51, v44
	s_delay_alu instid0(VALU_DEP_3) | instskip(SKIP_1) | instid1(VALU_DEP_4)
	v_fma_f32 v50, v50, v46, -v65
	v_mul_f32_e32 v65, v59, v45
	v_dual_mul_f32 v45, v58, v45 :: v_dual_fmac_f32 v66, v51, v46
	s_delay_alu instid0(VALU_DEP_3) | instskip(NEXT) | instid1(VALU_DEP_3)
	v_dual_add_f32 v3, v3, v56 :: v_dual_add_f32 v2, v2, v50
	v_fma_f32 v50, v58, v44, -v65
	s_delay_alu instid0(VALU_DEP_3) | instskip(SKIP_2) | instid1(VALU_DEP_3)
	v_fmac_f32_e32 v45, v59, v44
	v_mul_f32_e32 v44, v59, v47
	v_dual_mul_f32 v56, v58, v47 :: v_dual_add_f32 v51, v64, v66
	v_dual_add_f32 v48, v48, v50 :: v_dual_add_f32 v1, v1, v45
	s_delay_alu instid0(VALU_DEP_3)
	v_fma_f32 v50, v58, v46, -v44
	s_waitcnt lgkmcnt(0)
	v_mul_f32_e32 v58, v61, v41
	v_fmac_f32_e32 v56, v59, v46
	ds_load_2addr_b64 v[44:47], v0 offset0:96 offset1:112
	v_dual_mul_f32 v64, v60, v43 :: v_dual_add_f32 v49, v49, v50
	v_fma_f32 v50, v60, v40, -v58
	v_dual_mul_f32 v58, v61, v43 :: v_dual_add_f32 v23, v23, v56
	s_delay_alu instid0(VALU_DEP_3) | instskip(NEXT) | instid1(VALU_DEP_3)
	v_dual_mul_f32 v59, v60, v41 :: v_dual_fmac_f32 v64, v61, v42
	v_add_f32_e32 v56, v57, v50
	s_delay_alu instid0(VALU_DEP_3)
	v_fma_f32 v50, v60, v42, -v58
	v_mul_f32_e32 v57, v53, v41
	v_mul_f32_e32 v41, v52, v41
	v_fmac_f32_e32 v59, v61, v40
	v_add_f32_e32 v58, v51, v64
	v_add_f32_e32 v2, v2, v50
	v_mul_f32_e32 v50, v53, v43
	v_fma_f32 v51, v52, v40, -v57
	v_fmac_f32_e32 v41, v53, v40
	v_mul_f32_e32 v57, v52, v43
	v_add_f32_e32 v3, v3, v59
	v_fma_f32 v40, v52, v42, -v50
	s_waitcnt lgkmcnt(0)
	v_dual_mul_f32 v43, v63, v45 :: v_dual_add_f32 v52, v48, v51
	v_add_f32_e32 v1, v1, v41
	v_fmac_f32_e32 v57, v53, v42
	v_add_f32_e32 v53, v49, v40
	s_delay_alu instid0(VALU_DEP_4)
	v_fma_f32 v59, v62, v44, -v43
	ds_load_2addr_b64 v[40:43], v0 offset0:128 offset1:144
	ds_load_b128 v[48:51], v31 offset:224
	v_dual_mul_f32 v60, v62, v45 :: v_dual_mul_f32 v61, v63, v47
	v_add_f32_e32 v23, v23, v57
	v_mul_f32_e32 v57, v62, v47
	v_add_f32_e32 v64, v56, v59
	s_delay_alu instid0(VALU_DEP_4) | instskip(SKIP_4) | instid1(VALU_DEP_4)
	v_fmac_f32_e32 v60, v63, v44
	v_fma_f32 v61, v62, v46, -v61
	v_mul_f32_e32 v56, v55, v45
	v_fmac_f32_e32 v57, v63, v46
	v_mul_f32_e32 v45, v54, v45
	v_dual_add_f32 v3, v3, v60 :: v_dual_add_f32 v2, v2, v61
	s_delay_alu instid0(VALU_DEP_4)
	v_fma_f32 v60, v54, v44, -v56
	v_mul_f32_e32 v61, v55, v47
	v_add_f32_e32 v65, v58, v57
	ds_load_b128 v[56:59], v31 offset:4320
	v_fmac_f32_e32 v45, v55, v44
	v_add_f32_e32 v66, v52, v60
	v_mul_f32_e32 v52, v54, v47
	v_fma_f32 v44, v54, v46, -v61
	ds_load_b128 v[60:63], v31 offset:240
	s_waitcnt lgkmcnt(2)
	v_mul_f32_e32 v47, v49, v41
	v_dual_add_f32 v1, v1, v45 :: v_dual_fmac_f32 v52, v55, v46
	v_dual_add_f32 v67, v53, v44 :: v_dual_mul_f32 v68, v48, v41
	s_delay_alu instid0(VALU_DEP_3) | instskip(SKIP_4) | instid1(VALU_DEP_3)
	v_fma_f32 v53, v48, v40, -v47
	ds_load_2addr_b64 v[44:47], v0 offset0:160 offset1:176
	v_mul_f32_e32 v54, v49, v43
	v_dual_mul_f32 v69, v48, v43 :: v_dual_fmac_f32 v68, v49, v40
	v_dual_add_f32 v64, v64, v53 :: v_dual_add_f32 v23, v23, v52
	v_fma_f32 v48, v48, v42, -v54
	s_delay_alu instid0(VALU_DEP_3)
	v_fmac_f32_e32 v69, v49, v42
	s_waitcnt lgkmcnt(2)
	v_mul_f32_e32 v70, v57, v41
	v_mul_f32_e32 v41, v56, v41
	;; [unrolled: 1-line block ×3, first 2 shown]
	v_add_f32_e32 v3, v3, v68
	v_add_f32_e32 v2, v2, v48
	v_fma_f32 v48, v56, v40, -v70
	v_dual_fmac_f32 v41, v57, v40 :: v_dual_mul_f32 v68, v56, v43
	v_fma_f32 v40, v56, v42, -v49
	ds_load_b128 v[52:55], v31 offset:4336
	v_dual_add_f32 v48, v66, v48 :: v_dual_add_f32 v1, v1, v41
	s_waitcnt lgkmcnt(1)
	v_dual_mul_f32 v43, v51, v45 :: v_dual_fmac_f32 v68, v57, v42
	v_dual_mul_f32 v49, v50, v45 :: v_dual_add_f32 v56, v67, v40
	v_mul_f32_e32 v66, v51, v47
	s_delay_alu instid0(VALU_DEP_3)
	v_fma_f32 v57, v50, v44, -v43
	ds_load_2addr_b64 v[40:43], v0 offset0:192 offset1:208
	v_fmac_f32_e32 v49, v51, v44
	v_add_f32_e32 v23, v23, v68
	v_add_f32_e32 v65, v65, v69
	v_dual_add_f32 v57, v64, v57 :: v_dual_mul_f32 v64, v50, v47
	v_fma_f32 v50, v50, v46, -v66
	v_add_f32_e32 v49, v3, v49
	v_mul_f32_e32 v3, v59, v45
	s_delay_alu instid0(VALU_DEP_4) | instskip(NEXT) | instid1(VALU_DEP_4)
	v_dual_mul_f32 v45, v58, v45 :: v_dual_fmac_f32 v64, v51, v46
	v_add_f32_e32 v50, v2, v50
	v_mul_f32_e32 v2, v59, v47
	s_delay_alu instid0(VALU_DEP_4) | instskip(NEXT) | instid1(VALU_DEP_4)
	v_fma_f32 v3, v58, v44, -v3
	v_fmac_f32_e32 v45, v59, v44
	v_dual_mul_f32 v47, v58, v47 :: v_dual_add_f32 v44, v65, v64
	s_delay_alu instid0(VALU_DEP_4) | instskip(NEXT) | instid1(VALU_DEP_3)
	v_fma_f32 v2, v58, v46, -v2
	v_dual_add_f32 v48, v48, v3 :: v_dual_add_f32 v45, v1, v45
	s_waitcnt lgkmcnt(0)
	v_mul_f32_e32 v51, v61, v41
	v_fmac_f32_e32 v47, v59, v46
	v_add_f32_e32 v46, v56, v2
	ds_load_2addr_b64 v[0:3], v0 offset0:224 offset1:240
	v_mul_f32_e32 v56, v60, v41
	v_fma_f32 v51, v60, v40, -v51
	v_add_f32_e32 v23, v23, v47
	v_mul_f32_e32 v47, v61, v43
	v_mul_f32_e32 v58, v60, v43
	v_fmac_f32_e32 v56, v61, v40
	v_add_f32_e32 v51, v57, v51
	v_mul_f32_e32 v57, v53, v41
	v_fma_f32 v47, v60, v42, -v47
	v_mul_f32_e32 v41, v52, v41
	v_add_f32_e32 v49, v49, v56
	v_fmac_f32_e32 v58, v61, v42
	v_fma_f32 v56, v52, v40, -v57
	v_add_f32_e32 v47, v50, v47
	v_mul_f32_e32 v50, v53, v43
	v_fmac_f32_e32 v41, v53, v40
	v_mul_f32_e32 v43, v52, v43
	v_add_f32_e32 v40, v48, v56
	v_add_f32_e32 v44, v44, v58
	v_fma_f32 v48, v52, v42, -v50
	s_waitcnt lgkmcnt(0)
	v_mul_f32_e32 v50, v63, v1
	v_dual_mul_f32 v52, v62, v1 :: v_dual_fmac_f32 v43, v53, v42
	s_delay_alu instid0(VALU_DEP_3) | instskip(NEXT) | instid1(VALU_DEP_3)
	v_dual_add_f32 v41, v45, v41 :: v_dual_add_f32 v48, v46, v48
	v_fma_f32 v42, v62, v0, -v50
	s_delay_alu instid0(VALU_DEP_3) | instskip(SKIP_3) | instid1(VALU_DEP_4)
	v_fmac_f32_e32 v52, v63, v0
	v_mul_f32_e32 v50, v63, v3
	v_mul_f32_e32 v53, v62, v3
	v_add_f32_e32 v23, v23, v43
	v_dual_add_f32 v45, v51, v42 :: v_dual_add_f32 v46, v49, v52
	s_delay_alu instid0(VALU_DEP_4)
	v_fma_f32 v42, v62, v2, -v50
	v_mul_f32_e32 v49, v55, v1
	v_dual_mul_f32 v1, v54, v1 :: v_dual_mul_f32 v50, v55, v3
	v_mul_f32_e32 v3, v54, v3
	v_fmac_f32_e32 v53, v63, v2
	v_add_f32_e32 v43, v47, v42
	v_fma_f32 v42, v54, v0, -v49
	v_fmac_f32_e32 v1, v55, v0
	v_fma_f32 v0, v54, v2, -v50
	v_dual_fmac_f32 v3, v55, v2 :: v_dual_add_f32 v44, v44, v53
	s_delay_alu instid0(VALU_DEP_3) | instskip(NEXT) | instid1(VALU_DEP_2)
	v_dual_add_f32 v42, v40, v42 :: v_dual_add_f32 v41, v41, v1
	v_dual_add_f32 v40, v48, v0 :: v_dual_add_f32 v23, v23, v3
	s_barrier
	buffer_gl0_inv
	s_cbranch_scc1 .LBB83_55
.LBB83_7:                               ;   Parent Loop BB83_4 Depth=1
                                        ; =>  This Inner Loop Header: Depth=2
	v_add_co_u32 v2, s5, v28, s22
	s_delay_alu instid0(VALU_DEP_1) | instskip(SKIP_1) | instid1(VALU_DEP_2)
	v_add_co_ci_u32_e64 v3, null, 0, s23, s5
	v_cmp_eq_u64_e64 s7, s[22:23], v[12:13]
	v_cmp_le_i64_e64 s6, s[12:13], v[2:3]
	v_cmp_gt_i64_e64 s5, v[2:3], v[6:7]
	s_delay_alu instid0(VALU_DEP_3) | instskip(NEXT) | instid1(VALU_DEP_1)
	s_and_b32 s25, s42, s7
	s_or_b32 s7, s6, s5
	s_delay_alu instid0(SALU_CYCLE_1) | instskip(SKIP_1) | instid1(VALU_DEP_1)
	s_or_b32 s8, s7, s25
	v_add_co_u32 v0, s7, v34, s20
	v_add_co_ci_u32_e64 v1, s7, s21, v35, s7
	s_or_b32 s7, s0, s8
	s_delay_alu instid0(SALU_CYCLE_1) | instskip(NEXT) | instid1(SALU_CYCLE_1)
	s_xor_b32 s7, s7, -1
	s_and_saveexec_b32 s8, s7
	s_delay_alu instid0(SALU_CYCLE_1)
	s_xor_b32 s7, exec_lo, s8
	s_cbranch_execz .LBB83_9
; %bb.8:                                ;   in Loop: Header=BB83_7 Depth=2
	global_load_b64 v[47:48], v[0:1], off
	s_waitcnt vmcnt(0)
	v_xor_b32_e32 v48, 0x80000000, v48
	ds_store_b64 v32, v[47:48]
.LBB83_9:                               ;   in Loop: Header=BB83_7 Depth=2
	s_or_saveexec_b32 s7, s7
	s_xor_b32 s24, s25, -1
	s_xor_b32 exec_lo, exec_lo, s7
	s_cbranch_execz .LBB83_15
; %bb.10:                               ;   in Loop: Header=BB83_7 Depth=2
	s_and_saveexec_b32 s8, s24
	s_delay_alu instid0(SALU_CYCLE_1)
	s_xor_b32 s8, exec_lo, s8
	s_cbranch_execz .LBB83_12
; %bb.11:                               ;   in Loop: Header=BB83_7 Depth=2
	v_mov_b32_e32 v47, v5
	v_mov_b32_e32 v48, v5
	ds_store_b64 v32, v[47:48]
.LBB83_12:                              ;   in Loop: Header=BB83_7 Depth=2
	s_and_not1_saveexec_b32 s8, s8
	s_cbranch_execz .LBB83_14
; %bb.13:                               ;   in Loop: Header=BB83_7 Depth=2
	ds_store_b64 v32, v[4:5]
.LBB83_14:                              ;   in Loop: Header=BB83_7 Depth=2
	s_or_b32 exec_lo, exec_lo, s8
.LBB83_15:                              ;   in Loop: Header=BB83_7 Depth=2
	s_delay_alu instid0(SALU_CYCLE_1) | instskip(SKIP_2) | instid1(VALU_DEP_2)
	s_or_b32 exec_lo, exec_lo, s7
	v_cmp_eq_u64_e64 s7, s[22:23], v[16:17]
	v_cmp_lt_i64_e64 s8, v[10:11], v[2:3]
	s_and_b32 s7, s42, s7
	s_delay_alu instid0(VALU_DEP_1) | instskip(NEXT) | instid1(SALU_CYCLE_1)
	s_or_b32 s6, s6, s8
	s_or_b32 s6, s6, s7
	s_delay_alu instid0(SALU_CYCLE_1) | instskip(NEXT) | instid1(SALU_CYCLE_1)
	s_or_b32 s6, s3, s6
	s_xor_b32 s6, s6, -1
	s_delay_alu instid0(SALU_CYCLE_1) | instskip(NEXT) | instid1(SALU_CYCLE_1)
	s_and_saveexec_b32 s8, s6
	s_xor_b32 s8, exec_lo, s8
	s_cbranch_execz .LBB83_17
; %bb.16:                               ;   in Loop: Header=BB83_7 Depth=2
	v_add_co_u32 v47, s6, v36, s20
	s_delay_alu instid0(VALU_DEP_1)
	v_add_co_ci_u32_e64 v48, s6, s21, v37, s6
	global_load_b64 v[47:48], v[47:48], off
	s_waitcnt vmcnt(0)
	v_xor_b32_e32 v48, 0x80000000, v48
	ds_store_b64 v32, v[47:48] offset:128
.LBB83_17:                              ;   in Loop: Header=BB83_7 Depth=2
	s_and_not1_saveexec_b32 s6, s8
	s_cbranch_execz .LBB83_23
; %bb.18:                               ;   in Loop: Header=BB83_7 Depth=2
	s_xor_b32 s7, s7, -1
	s_delay_alu instid0(SALU_CYCLE_1) | instskip(NEXT) | instid1(SALU_CYCLE_1)
	s_and_saveexec_b32 s8, s7
	s_xor_b32 s7, exec_lo, s8
	s_cbranch_execz .LBB83_20
; %bb.19:                               ;   in Loop: Header=BB83_7 Depth=2
	v_mov_b32_e32 v47, v5
	v_mov_b32_e32 v48, v5
	ds_store_b64 v32, v[47:48] offset:128
.LBB83_20:                              ;   in Loop: Header=BB83_7 Depth=2
	s_and_not1_saveexec_b32 s7, s7
	s_cbranch_execz .LBB83_22
; %bb.21:                               ;   in Loop: Header=BB83_7 Depth=2
	ds_store_b64 v32, v[4:5] offset:128
.LBB83_22:                              ;   in Loop: Header=BB83_7 Depth=2
	s_or_b32 exec_lo, exec_lo, s7
.LBB83_23:                              ;   in Loop: Header=BB83_7 Depth=2
	s_delay_alu instid0(SALU_CYCLE_1) | instskip(SKIP_1) | instid1(VALU_DEP_1)
	s_or_b32 exec_lo, exec_lo, s6
	v_add_co_u32 v2, s6, v2, 16
	v_add_co_ci_u32_e64 v3, s6, 0, v3, s6
	v_cmp_eq_u64_e64 s7, s[22:23], v[18:19]
	s_delay_alu instid0(VALU_DEP_2) | instskip(SKIP_1) | instid1(VALU_DEP_3)
	v_cmp_le_i64_e64 s6, s[12:13], v[2:3]
	v_cmp_gt_i64_e64 s8, v[2:3], v[6:7]
	s_and_b32 s26, s42, s7
	s_delay_alu instid0(VALU_DEP_1) | instskip(NEXT) | instid1(SALU_CYCLE_1)
	s_or_b32 s7, s6, s8
	s_or_b32 s7, s7, s26
	s_delay_alu instid0(SALU_CYCLE_1) | instskip(NEXT) | instid1(SALU_CYCLE_1)
	s_or_b32 s7, s0, s7
	s_xor_b32 s7, s7, -1
	s_delay_alu instid0(SALU_CYCLE_1) | instskip(NEXT) | instid1(SALU_CYCLE_1)
	s_and_saveexec_b32 s8, s7
	s_xor_b32 s7, exec_lo, s8
	s_cbranch_execz .LBB83_25
; %bb.24:                               ;   in Loop: Header=BB83_7 Depth=2
	global_load_b64 v[0:1], v[0:1], off offset:128
	s_waitcnt vmcnt(0)
	v_xor_b32_e32 v1, 0x80000000, v1
	ds_store_b64 v32, v[0:1] offset:4096
.LBB83_25:                              ;   in Loop: Header=BB83_7 Depth=2
	s_and_not1_saveexec_b32 s7, s7
	s_cbranch_execz .LBB83_31
; %bb.26:                               ;   in Loop: Header=BB83_7 Depth=2
	s_xor_b32 s8, s26, -1
	s_delay_alu instid0(SALU_CYCLE_1) | instskip(NEXT) | instid1(SALU_CYCLE_1)
	s_and_saveexec_b32 s26, s8
	s_xor_b32 s8, exec_lo, s26
	s_cbranch_execz .LBB83_28
; %bb.27:                               ;   in Loop: Header=BB83_7 Depth=2
	v_mov_b32_e32 v0, v5
	v_mov_b32_e32 v1, v5
	ds_store_b64 v32, v[0:1] offset:4096
.LBB83_28:                              ;   in Loop: Header=BB83_7 Depth=2
	s_and_not1_saveexec_b32 s8, s8
	s_cbranch_execz .LBB83_30
; %bb.29:                               ;   in Loop: Header=BB83_7 Depth=2
	ds_store_b64 v32, v[4:5] offset:4096
.LBB83_30:                              ;   in Loop: Header=BB83_7 Depth=2
	s_or_b32 exec_lo, exec_lo, s8
.LBB83_31:                              ;   in Loop: Header=BB83_7 Depth=2
	s_delay_alu instid0(SALU_CYCLE_1) | instskip(SKIP_1) | instid1(SALU_CYCLE_1)
	s_or_b32 exec_lo, exec_lo, s7
	s_or_b32 s5, s6, s5
	s_or_b32 s5, s5, s25
	s_delay_alu instid0(SALU_CYCLE_1) | instskip(NEXT) | instid1(SALU_CYCLE_1)
	s_or_b32 s5, s3, s5
	s_xor_b32 s5, s5, -1
	s_delay_alu instid0(SALU_CYCLE_1) | instskip(NEXT) | instid1(SALU_CYCLE_1)
	s_and_saveexec_b32 s6, s5
	s_xor_b32 s6, exec_lo, s6
	s_cbranch_execz .LBB83_33
; %bb.32:                               ;   in Loop: Header=BB83_7 Depth=2
	v_add_co_u32 v0, s5, v36, s20
	s_delay_alu instid0(VALU_DEP_1)
	v_add_co_ci_u32_e64 v1, s5, s21, v37, s5
	global_load_b64 v[0:1], v[0:1], off offset:128
	s_waitcnt vmcnt(0)
	v_xor_b32_e32 v1, 0x80000000, v1
	ds_store_b64 v32, v[0:1] offset:4224
.LBB83_33:                              ;   in Loop: Header=BB83_7 Depth=2
	s_and_not1_saveexec_b32 s5, s6
	s_cbranch_execz .LBB83_39
; %bb.34:                               ;   in Loop: Header=BB83_7 Depth=2
	s_and_saveexec_b32 s6, s24
	s_delay_alu instid0(SALU_CYCLE_1)
	s_xor_b32 s6, exec_lo, s6
	s_cbranch_execz .LBB83_36
; %bb.35:                               ;   in Loop: Header=BB83_7 Depth=2
	v_mov_b32_e32 v0, v5
	v_mov_b32_e32 v1, v5
	ds_store_b64 v32, v[0:1] offset:4224
.LBB83_36:                              ;   in Loop: Header=BB83_7 Depth=2
	s_and_not1_saveexec_b32 s6, s6
	s_cbranch_execz .LBB83_38
; %bb.37:                               ;   in Loop: Header=BB83_7 Depth=2
	ds_store_b64 v32, v[4:5] offset:4224
.LBB83_38:                              ;   in Loop: Header=BB83_7 Depth=2
	s_or_b32 exec_lo, exec_lo, s6
.LBB83_39:                              ;   in Loop: Header=BB83_7 Depth=2
	s_delay_alu instid0(SALU_CYCLE_1) | instskip(SKIP_1) | instid1(VALU_DEP_1)
	s_or_b32 exec_lo, exec_lo, s5
	v_add_co_u32 v0, s5, v29, s22
	v_add_co_ci_u32_e64 v1, null, 0, s23, s5
	s_delay_alu instid0(VALU_DEP_1) | instskip(NEXT) | instid1(VALU_DEP_1)
	v_cmp_gt_i64_e64 s5, s[12:13], v[0:1]
	s_and_b32 s6, vcc_lo, s5
	s_delay_alu instid0(SALU_CYCLE_1) | instskip(NEXT) | instid1(SALU_CYCLE_1)
	s_xor_b32 s6, s6, -1
	s_and_saveexec_b32 s7, s6
	s_delay_alu instid0(SALU_CYCLE_1)
	s_xor_b32 s6, exec_lo, s7
	s_cbranch_execz .LBB83_41
; %bb.40:                               ;   in Loop: Header=BB83_7 Depth=2
	v_mov_b32_e32 v2, v5
	v_mov_b32_e32 v3, v5
	ds_store_b64 v33, v[2:3]
.LBB83_41:                              ;   in Loop: Header=BB83_7 Depth=2
	s_or_saveexec_b32 s7, s6
	v_add_co_u32 v2, s6, v24, s20
	s_delay_alu instid0(VALU_DEP_1)
	v_add_co_ci_u32_e64 v3, s6, s21, v25, s6
	s_xor_b32 exec_lo, exec_lo, s7
	s_cbranch_execz .LBB83_43
; %bb.42:                               ;   in Loop: Header=BB83_7 Depth=2
	global_load_b64 v[47:48], v[2:3], off offset:-128
	s_waitcnt vmcnt(0)
	ds_store_b64 v33, v[47:48]
.LBB83_43:                              ;   in Loop: Header=BB83_7 Depth=2
	s_or_b32 exec_lo, exec_lo, s7
	v_cmp_gt_i64_e64 s6, s[18:19], v[0:1]
	s_delay_alu instid0(VALU_DEP_1) | instskip(NEXT) | instid1(SALU_CYCLE_1)
	s_and_b32 s7, vcc_lo, s6
	s_xor_b32 s7, s7, -1
	s_delay_alu instid0(SALU_CYCLE_1) | instskip(NEXT) | instid1(SALU_CYCLE_1)
	s_and_saveexec_b32 s8, s7
	s_xor_b32 s7, exec_lo, s8
	s_cbranch_execz .LBB83_45
; %bb.44:                               ;   in Loop: Header=BB83_7 Depth=2
	v_mov_b32_e32 v0, v5
	v_mov_b32_e32 v1, v5
                                        ; implicit-def: $vgpr2_vgpr3
	ds_store_b64 v33, v[0:1] offset:128
.LBB83_45:                              ;   in Loop: Header=BB83_7 Depth=2
	s_and_not1_saveexec_b32 s7, s7
	s_cbranch_execz .LBB83_47
; %bb.46:                               ;   in Loop: Header=BB83_7 Depth=2
	global_load_b64 v[0:1], v[2:3], off
	s_waitcnt vmcnt(0)
	ds_store_b64 v33, v[0:1] offset:128
.LBB83_47:                              ;   in Loop: Header=BB83_7 Depth=2
	s_or_b32 exec_lo, exec_lo, s7
	s_and_b32 s5, s4, s5
	s_delay_alu instid0(SALU_CYCLE_1) | instskip(NEXT) | instid1(SALU_CYCLE_1)
	s_xor_b32 s5, s5, -1
	s_and_saveexec_b32 s7, s5
	s_delay_alu instid0(SALU_CYCLE_1)
	s_xor_b32 s5, exec_lo, s7
	s_cbranch_execz .LBB83_49
; %bb.48:                               ;   in Loop: Header=BB83_7 Depth=2
	v_mov_b32_e32 v0, v5
	v_mov_b32_e32 v1, v5
	ds_store_b64 v33, v[0:1] offset:4096
.LBB83_49:                              ;   in Loop: Header=BB83_7 Depth=2
	s_and_not1_saveexec_b32 s7, s5
	s_cbranch_execz .LBB83_51
; %bb.50:                               ;   in Loop: Header=BB83_7 Depth=2
	v_add_co_u32 v0, s5, v26, s20
	s_delay_alu instid0(VALU_DEP_1)
	v_add_co_ci_u32_e64 v1, s5, s21, v27, s5
	global_load_b64 v[0:1], v[0:1], off offset:-128
	s_waitcnt vmcnt(0)
	ds_store_b64 v33, v[0:1] offset:4096
.LBB83_51:                              ;   in Loop: Header=BB83_7 Depth=2
	s_or_b32 exec_lo, exec_lo, s7
	s_and_b32 s5, s4, s6
	s_delay_alu instid0(SALU_CYCLE_1) | instskip(NEXT) | instid1(SALU_CYCLE_1)
	s_xor_b32 s5, s5, -1
	s_and_saveexec_b32 s6, s5
	s_delay_alu instid0(SALU_CYCLE_1)
	s_xor_b32 s5, exec_lo, s6
	s_cbranch_execz .LBB83_53
; %bb.52:                               ;   in Loop: Header=BB83_7 Depth=2
	v_mov_b32_e32 v0, v5
	v_mov_b32_e32 v1, v5
	ds_store_b64 v33, v[0:1] offset:4224
.LBB83_53:                              ;   in Loop: Header=BB83_7 Depth=2
	s_and_not1_saveexec_b32 s6, s5
	s_cbranch_execz .LBB83_6
; %bb.54:                               ;   in Loop: Header=BB83_7 Depth=2
	v_add_co_u32 v0, s5, v26, s20
	s_delay_alu instid0(VALU_DEP_1)
	v_add_co_ci_u32_e64 v1, s5, s21, v27, s5
	global_load_b64 v[0:1], v[0:1], off
	s_waitcnt vmcnt(0)
	ds_store_b64 v33, v[0:1] offset:4224
	s_branch .LBB83_6
.LBB83_55:                              ;   in Loop: Header=BB83_4 Depth=1
	v_mul_lo_u32 v2, v39, s40
	v_mul_lo_u32 v3, v38, s41
	v_mad_u64_u32 v[0:1], null, v38, s40, 0
	v_cmp_gt_i32_e32 vcc_lo, s10, v38
	s_delay_alu instid0(VALU_DEP_2) | instskip(NEXT) | instid1(VALU_DEP_1)
	v_add3_u32 v1, v1, v3, v2
	v_lshlrev_b64 v[0:1], 3, v[0:1]
	s_delay_alu instid0(VALU_DEP_1) | instskip(NEXT) | instid1(VALU_DEP_1)
	v_add_co_u32 v0, s4, s36, v0
	v_add_co_ci_u32_e64 v1, s4, s37, v1, s4
	s_and_b32 s4, s1, vcc_lo
	s_delay_alu instid0(SALU_CYCLE_1)
	s_and_saveexec_b32 s5, s4
	s_cbranch_execz .LBB83_57
; %bb.56:                               ;   in Loop: Header=BB83_4 Depth=1
	v_add_co_u32 v2, s4, v0, v14
	s_delay_alu instid0(VALU_DEP_1)
	v_add_co_ci_u32_e64 v3, s4, v1, v15, s4
	v_mul_f32_e32 v27, s11, v46
	v_mul_f32_e32 v26, s33, v46
	global_load_b64 v[24:25], v[2:3], off
	v_fmac_f32_e32 v27, s33, v45
	v_fma_f32 v26, v45, s11, -v26
	s_waitcnt vmcnt(0)
	s_delay_alu instid0(VALU_DEP_1)
	v_dual_add_f32 v24, v24, v26 :: v_dual_add_f32 v25, v25, v27
	global_store_b64 v[2:3], v[24:25], off
.LBB83_57:                              ;   in Loop: Header=BB83_4 Depth=1
	s_or_b32 exec_lo, exec_lo, s5
	s_and_b32 s5, s2, vcc_lo
	s_delay_alu instid0(SALU_CYCLE_1)
	s_and_saveexec_b32 s4, s5
	s_cbranch_execz .LBB83_59
; %bb.58:                               ;   in Loop: Header=BB83_4 Depth=1
	v_lshlrev_b64 v[2:3], 3, v[8:9]
	v_mul_f32_e32 v25, s11, v44
	s_delay_alu instid0(VALU_DEP_1) | instskip(NEXT) | instid1(VALU_DEP_3)
	v_dual_mul_f32 v24, s33, v44 :: v_dual_fmac_f32 v25, s33, v43
	v_add_co_u32 v0, vcc_lo, v0, v2
	s_delay_alu instid0(VALU_DEP_4) | instskip(NEXT) | instid1(VALU_DEP_3)
	v_add_co_ci_u32_e32 v1, vcc_lo, v1, v3, vcc_lo
	v_fma_f32 v24, v43, s11, -v24
	global_load_b64 v[2:3], v[0:1], off
	s_waitcnt vmcnt(0)
	v_dual_add_f32 v2, v2, v24 :: v_dual_add_f32 v3, v3, v25
	global_store_b64 v[0:1], v[2:3], off
.LBB83_59:                              ;   in Loop: Header=BB83_4 Depth=1
	s_or_b32 exec_lo, exec_lo, s4
	v_add_nc_u32_e32 v2, 16, v38
	s_delay_alu instid0(VALU_DEP_1) | instskip(SKIP_3) | instid1(VALU_DEP_4)
	v_ashrrev_i32_e32 v3, 31, v2
	v_mul_lo_u32 v24, v2, s41
	v_mad_u64_u32 v[0:1], null, v2, s40, 0
	v_cmp_gt_i32_e32 vcc_lo, s10, v2
	v_mul_lo_u32 v3, v3, s40
	s_delay_alu instid0(VALU_DEP_1) | instskip(NEXT) | instid1(VALU_DEP_1)
	v_add3_u32 v1, v1, v24, v3
	v_lshlrev_b64 v[0:1], 3, v[0:1]
	s_delay_alu instid0(VALU_DEP_1) | instskip(NEXT) | instid1(VALU_DEP_1)
	v_add_co_u32 v0, s4, s36, v0
	v_add_co_ci_u32_e64 v1, s4, s37, v1, s4
	s_and_b32 s4, s1, vcc_lo
	s_delay_alu instid0(SALU_CYCLE_1)
	s_and_saveexec_b32 s5, s4
	s_cbranch_execz .LBB83_61
; %bb.60:                               ;   in Loop: Header=BB83_4 Depth=1
	v_add_co_u32 v2, s4, v0, v14
	s_delay_alu instid0(VALU_DEP_1) | instskip(SKIP_2) | instid1(VALU_DEP_1)
	v_add_co_ci_u32_e64 v3, s4, v1, v15, s4
	global_load_b64 v[24:25], v[2:3], off
	v_mul_f32_e32 v27, s11, v41
	v_dual_mul_f32 v26, s33, v41 :: v_dual_fmac_f32 v27, s33, v42
	s_delay_alu instid0(VALU_DEP_1) | instskip(SKIP_1) | instid1(VALU_DEP_1)
	v_fma_f32 v26, v42, s11, -v26
	s_waitcnt vmcnt(0)
	v_dual_add_f32 v24, v24, v26 :: v_dual_add_f32 v25, v25, v27
	global_store_b64 v[2:3], v[24:25], off
.LBB83_61:                              ;   in Loop: Header=BB83_4 Depth=1
	s_or_b32 exec_lo, exec_lo, s5
	s_and_b32 s5, s2, vcc_lo
	s_delay_alu instid0(SALU_CYCLE_1)
	s_and_saveexec_b32 s4, s5
	s_cbranch_execz .LBB83_3
; %bb.62:                               ;   in Loop: Header=BB83_4 Depth=1
	v_lshlrev_b64 v[2:3], 3, v[8:9]
	v_mul_f32_e32 v24, s33, v23
	s_delay_alu instid0(VALU_DEP_2) | instskip(NEXT) | instid1(VALU_DEP_3)
	v_add_co_u32 v0, vcc_lo, v0, v2
	v_add_co_ci_u32_e32 v1, vcc_lo, v1, v3, vcc_lo
	global_load_b64 v[2:3], v[0:1], off
	v_mul_f32_e32 v23, s11, v23
	s_delay_alu instid0(VALU_DEP_1) | instskip(SKIP_2) | instid1(VALU_DEP_1)
	v_fmac_f32_e32 v23, s33, v40
	v_fma_f32 v24, v40, s11, -v24
	s_waitcnt vmcnt(0)
	v_dual_add_f32 v2, v2, v24 :: v_dual_add_f32 v3, v3, v23
	global_store_b64 v[0:1], v[2:3], off
	s_branch .LBB83_3
.LBB83_63:
	s_nop 0
	s_sendmsg sendmsg(MSG_DEALLOC_VGPRS)
	s_endpgm
	.section	.rodata,"a",@progbits
	.p2align	6, 0x0
	.amdhsa_kernel _ZL30rocblas_trmm_outofplace_kernelI19rocblas_complex_numIfELi32ELi2ELb1ELb1ELb1ELb1ES1_KS1_S1_Ev17rocblas_diagonal_iiT6_lPT7_lllS6_lllPT8_llli
		.amdhsa_group_segment_fixed_size 16384
		.amdhsa_private_segment_fixed_size 0
		.amdhsa_kernarg_size 392
		.amdhsa_user_sgpr_count 13
		.amdhsa_user_sgpr_dispatch_ptr 0
		.amdhsa_user_sgpr_queue_ptr 0
		.amdhsa_user_sgpr_kernarg_segment_ptr 1
		.amdhsa_user_sgpr_dispatch_id 0
		.amdhsa_user_sgpr_private_segment_size 0
		.amdhsa_wavefront_size32 1
		.amdhsa_uses_dynamic_stack 0
		.amdhsa_enable_private_segment 0
		.amdhsa_system_sgpr_workgroup_id_x 1
		.amdhsa_system_sgpr_workgroup_id_y 1
		.amdhsa_system_sgpr_workgroup_id_z 1
		.amdhsa_system_sgpr_workgroup_info 0
		.amdhsa_system_vgpr_workitem_id 1
		.amdhsa_next_free_vgpr 81
		.amdhsa_next_free_sgpr 44
		.amdhsa_reserve_vcc 1
		.amdhsa_float_round_mode_32 0
		.amdhsa_float_round_mode_16_64 0
		.amdhsa_float_denorm_mode_32 3
		.amdhsa_float_denorm_mode_16_64 3
		.amdhsa_dx10_clamp 1
		.amdhsa_ieee_mode 1
		.amdhsa_fp16_overflow 0
		.amdhsa_workgroup_processor_mode 1
		.amdhsa_memory_ordered 1
		.amdhsa_forward_progress 0
		.amdhsa_shared_vgpr_count 0
		.amdhsa_exception_fp_ieee_invalid_op 0
		.amdhsa_exception_fp_denorm_src 0
		.amdhsa_exception_fp_ieee_div_zero 0
		.amdhsa_exception_fp_ieee_overflow 0
		.amdhsa_exception_fp_ieee_underflow 0
		.amdhsa_exception_fp_ieee_inexact 0
		.amdhsa_exception_int_div_zero 0
	.end_amdhsa_kernel
	.section	.text._ZL30rocblas_trmm_outofplace_kernelI19rocblas_complex_numIfELi32ELi2ELb1ELb1ELb1ELb1ES1_KS1_S1_Ev17rocblas_diagonal_iiT6_lPT7_lllS6_lllPT8_llli,"axG",@progbits,_ZL30rocblas_trmm_outofplace_kernelI19rocblas_complex_numIfELi32ELi2ELb1ELb1ELb1ELb1ES1_KS1_S1_Ev17rocblas_diagonal_iiT6_lPT7_lllS6_lllPT8_llli,comdat
.Lfunc_end83:
	.size	_ZL30rocblas_trmm_outofplace_kernelI19rocblas_complex_numIfELi32ELi2ELb1ELb1ELb1ELb1ES1_KS1_S1_Ev17rocblas_diagonal_iiT6_lPT7_lllS6_lllPT8_llli, .Lfunc_end83-_ZL30rocblas_trmm_outofplace_kernelI19rocblas_complex_numIfELi32ELi2ELb1ELb1ELb1ELb1ES1_KS1_S1_Ev17rocblas_diagonal_iiT6_lPT7_lllS6_lllPT8_llli
                                        ; -- End function
	.section	.AMDGPU.csdata,"",@progbits
; Kernel info:
; codeLenInByte = 7400
; NumSgprs: 46
; NumVgprs: 81
; ScratchSize: 0
; MemoryBound: 0
; FloatMode: 240
; IeeeMode: 1
; LDSByteSize: 16384 bytes/workgroup (compile time only)
; SGPRBlocks: 5
; VGPRBlocks: 10
; NumSGPRsForWavesPerEU: 46
; NumVGPRsForWavesPerEU: 81
; Occupancy: 16
; WaveLimiterHint : 0
; COMPUTE_PGM_RSRC2:SCRATCH_EN: 0
; COMPUTE_PGM_RSRC2:USER_SGPR: 13
; COMPUTE_PGM_RSRC2:TRAP_HANDLER: 0
; COMPUTE_PGM_RSRC2:TGID_X_EN: 1
; COMPUTE_PGM_RSRC2:TGID_Y_EN: 1
; COMPUTE_PGM_RSRC2:TGID_Z_EN: 1
; COMPUTE_PGM_RSRC2:TIDIG_COMP_CNT: 1
	.section	.text._ZL30rocblas_trmm_outofplace_kernelI19rocblas_complex_numIfELi32ELi2ELb0ELb0ELb0ELb0EPKS1_S2_S1_Ev17rocblas_diagonal_iiT6_lPT7_lllS7_lllPT8_llli,"axG",@progbits,_ZL30rocblas_trmm_outofplace_kernelI19rocblas_complex_numIfELi32ELi2ELb0ELb0ELb0ELb0EPKS1_S2_S1_Ev17rocblas_diagonal_iiT6_lPT7_lllS7_lllPT8_llli,comdat
	.globl	_ZL30rocblas_trmm_outofplace_kernelI19rocblas_complex_numIfELi32ELi2ELb0ELb0ELb0ELb0EPKS1_S2_S1_Ev17rocblas_diagonal_iiT6_lPT7_lllS7_lllPT8_llli ; -- Begin function _ZL30rocblas_trmm_outofplace_kernelI19rocblas_complex_numIfELi32ELi2ELb0ELb0ELb0ELb0EPKS1_S2_S1_Ev17rocblas_diagonal_iiT6_lPT7_lllS7_lllPT8_llli
	.p2align	8
	.type	_ZL30rocblas_trmm_outofplace_kernelI19rocblas_complex_numIfELi32ELi2ELb0ELb0ELb0ELb0EPKS1_S2_S1_Ev17rocblas_diagonal_iiT6_lPT7_lllS7_lllPT8_llli,@function
_ZL30rocblas_trmm_outofplace_kernelI19rocblas_complex_numIfELi32ELi2ELb0ELb0ELb0ELb0EPKS1_S2_S1_Ev17rocblas_diagonal_iiT6_lPT7_lllS7_lllPT8_llli: ; @_ZL30rocblas_trmm_outofplace_kernelI19rocblas_complex_numIfELi32ELi2ELb0ELb0ELb0ELb0EPKS1_S2_S1_Ev17rocblas_diagonal_iiT6_lPT7_lllS7_lllPT8_llli
; %bb.0:
	s_load_b512 s[16:31], s[0:1], 0x10
	s_waitcnt lgkmcnt(0)
	s_mul_i32 s2, s15, s19
	s_mul_hi_u32 s3, s15, s18
	s_delay_alu instid0(SALU_CYCLE_1) | instskip(SKIP_1) | instid1(SALU_CYCLE_1)
	s_add_i32 s3, s3, s2
	s_mul_i32 s2, s15, s18
	s_lshl_b64 s[2:3], s[2:3], 3
	s_delay_alu instid0(SALU_CYCLE_1) | instskip(SKIP_4) | instid1(SALU_CYCLE_1)
	s_add_u32 s2, s16, s2
	s_addc_u32 s3, s17, s3
	s_load_b64 s[34:35], s[2:3], 0x0
	s_waitcnt lgkmcnt(0)
	s_or_b32 s2, s34, s35
	s_bitset0_b32 s2, 31
	s_delay_alu instid0(SALU_CYCLE_1)
	s_cmp_eq_u32 s2, 0
	s_cbranch_scc1 .LBB84_63
; %bb.1:
	s_load_b128 s[8:11], s[0:1], 0x0
	s_waitcnt lgkmcnt(0)
	s_add_i32 s2, s10, -1
	s_delay_alu instid0(SALU_CYCLE_1) | instskip(NEXT) | instid1(SALU_CYCLE_1)
	s_ashr_i32 s3, s2, 31
	s_lshr_b32 s3, s3, 27
	s_delay_alu instid0(SALU_CYCLE_1) | instskip(NEXT) | instid1(SALU_CYCLE_1)
	s_add_i32 s2, s2, s3
	s_ashr_i32 s33, s2, 5
	s_delay_alu instid0(SALU_CYCLE_1)
	s_cmp_gt_i32 s14, s33
	s_cbranch_scc1 .LBB84_63
; %bb.2:
	s_clause 0x2
	s_load_b256 s[36:43], s[0:1], 0x50
	s_load_b128 s[16:19], s[0:1], 0x70
	s_load_b32 s44, s[0:1], 0x8c
	v_dual_mov_b32 v15, 0 :: v_dual_and_b32 v10, 0x3ff, v0
	v_bfe_u32 v38, v0, 10, 10
	v_mov_b32_e32 v14, 1.0
	s_delay_alu instid0(VALU_DEP_3) | instskip(SKIP_1) | instid1(VALU_DEP_4)
	v_lshl_add_u32 v0, s13, 5, v10
	v_lshlrev_b32_e32 v11, 3, v10
	v_lshlrev_b32_e32 v39, 8, v38
	s_delay_alu instid0(VALU_DEP_3) | instskip(SKIP_1) | instid1(VALU_DEP_4)
	v_ashrrev_i32_e32 v1, 31, v0
	v_sub_co_u32 v2, vcc_lo, s9, v0
	v_or_b32_e32 v41, 0x2000, v11
	v_add_nc_u32_e32 v4, 16, v0
	s_delay_alu instid0(VALU_DEP_4)
	v_lshlrev_b64 v[6:7], 3, v[0:1]
	v_add_nc_u32_e32 v40, v39, v11
	s_waitcnt lgkmcnt(0)
	s_mul_i32 s1, s15, s39
	s_mul_hi_u32 s2, s15, s38
	s_mul_i32 s0, s15, s38
	s_add_i32 s1, s2, s1
	s_mul_i32 s3, s15, s19
	s_lshl_b64 s[0:1], s[0:1], 3
	s_mul_hi_u32 s4, s15, s18
	s_add_u32 s5, s28, s0
	s_addc_u32 s6, s29, s1
	s_lshl_b64 s[0:1], s[30:31], 3
	s_mul_i32 s2, s15, s18
	s_add_u32 s5, s5, s0
	s_addc_u32 s6, s6, s1
	s_add_i32 s3, s4, s3
	s_mul_i32 s4, s27, s15
	s_lshl_b64 s[0:1], s[2:3], 3
	v_add_nc_u32_e32 v42, v41, v39
	s_add_u32 s2, s40, s0
	s_addc_u32 s3, s41, s1
	s_lshl_b64 s[0:1], s[42:43], 3
	v_ashrrev_i32_e32 v5, 31, v4
	s_add_u32 s30, s2, s0
	s_addc_u32 s31, s3, s1
	s_cmpk_eq_i32 s8, 0x84
	v_cmp_gt_i32_e64 s1, s9, v0
	s_cselect_b32 s38, -1, 0
	s_ashr_i32 s0, s9, 31
	s_ashr_i32 s11, s10, 31
	v_sub_co_ci_u32_e32 v3, vcc_lo, s0, v1, vcc_lo
	v_add_co_u32 v8, vcc_lo, s5, v6
	s_lshl_b64 s[12:13], s[36:37], 8
	s_mul_hi_u32 s5, s26, s15
	s_add_u32 s18, s10, -16
	s_addc_u32 s19, s11, -1
	s_add_i32 s5, s5, s4
	s_mul_i32 s4, s26, s15
	v_add_co_ci_u32_e32 v9, vcc_lo, s6, v7, vcc_lo
	s_lshl_b32 s3, s14, 5
	s_lshl_b64 s[4:5], s[4:5], 3
	s_lshl_b64 s[6:7], s[22:23], 3
	v_cmp_gt_i64_e32 vcc_lo, 1, v[2:3]
	v_cmp_gt_i64_e64 s0, 17, v[2:3]
	s_lshl_b32 s39, s44, 5
	s_lshl_b64 s[22:23], s[36:37], 3
	v_cmp_gt_i32_e64 s2, s9, v4
	v_add_nc_u32_e32 v43, 0x2080, v11
	v_add_nc_u32_e32 v10, s3, v10
	;; [unrolled: 1-line block ×3, first 2 shown]
	s_add_u32 s3, s4, s6
	s_addc_u32 s4, s5, s7
	s_add_u32 s20, s20, s3
	s_addc_u32 s21, s21, s4
	s_lshl_b64 s[26:27], s[24:25], 3
	s_branch .LBB84_4
.LBB84_3:                               ;   in Loop: Header=BB84_4 Depth=1
	s_or_b32 exec_lo, exec_lo, s4
	v_add_nc_u32_e32 v10, s39, v10
	v_add_nc_u32_e32 v12, s39, v12
	s_add_i32 s14, s44, s14
	s_delay_alu instid0(SALU_CYCLE_1)
	s_cmp_le_i32 s14, s33
	s_cbranch_scc0 .LBB84_63
.LBB84_4:                               ; =>This Loop Header: Depth=1
                                        ;     Child Loop BB84_7 Depth 2
	s_lshl_b32 s3, s14, 5
	v_ashrrev_i32_e32 v11, 31, v10
	v_dual_mov_b32 v51, v15 :: v_dual_add_nc_u32 v16, s3, v38
	v_ashrrev_i32_e32 v13, 31, v12
	v_mov_b32_e32 v50, v15
	v_mov_b32_e32 v48, v15
	s_delay_alu instid0(VALU_DEP_4)
	v_ashrrev_i32_e32 v17, 31, v16
	v_mov_b32_e32 v49, v15
	v_mov_b32_e32 v46, v15
	;; [unrolled: 1-line block ×5, first 2 shown]
	s_sub_i32 s15, s10, s3
	s_delay_alu instid0(SALU_CYCLE_1)
	s_cmp_lt_i32 s15, 1
	s_cbranch_scc1 .LBB84_55
; %bb.5:                                ;   in Loop: Header=BB84_4 Depth=1
	v_lshlrev_b64 v[0:1], 3, v[12:13]
	v_sub_co_u32 v20, s3, v12, v10
	s_delay_alu instid0(VALU_DEP_1) | instskip(SKIP_1) | instid1(VALU_DEP_4)
	v_sub_co_ci_u32_e64 v21, s3, v13, v11, s3
	v_mad_u64_u32 v[18:19], null, s22, v12, 0x80
	v_add_co_u32 v0, s3, 0x80, v0
	s_delay_alu instid0(VALU_DEP_1) | instskip(SKIP_2) | instid1(VALU_DEP_4)
	v_add_co_ci_u32_e64 v1, s3, 0, v1, s3
	v_mul_lo_u32 v2, s22, v13
	v_mul_lo_u32 v3, s23, v12
	;; [unrolled: 1-line block ×3, first 2 shown]
	s_delay_alu instid0(VALU_DEP_4)
	v_mul_lo_u32 v32, s24, v1
	v_mad_u64_u32 v[24:25], null, s24, v0, s[20:21]
	v_mul_lo_u32 v1, s36, v1
	v_mul_lo_u32 v34, s37, v0
	v_mad_u64_u32 v[26:27], null, s36, v0, 0x80
	v_add3_u32 v19, v3, v19, v2
	v_mad_u64_u32 v[22:23], null, s26, v12, s[20:21]
	v_mul_lo_u32 v2, s26, v13
	v_mul_lo_u32 v3, s27, v12
	v_add_co_u32 v30, s3, v16, 16
	s_delay_alu instid0(VALU_DEP_1) | instskip(SKIP_2) | instid1(VALU_DEP_1)
	v_add_co_ci_u32_e64 v31, s3, 0, v17, s3
	v_add3_u32 v25, v33, v25, v32
	v_add_co_u32 v32, s5, v20, 16
	v_add_co_ci_u32_e64 v33, s5, 0, v21, s5
	v_add3_u32 v27, v34, v27, v1
	v_add_co_u32 v34, s5, v20, -16
	v_lshlrev_b64 v[28:29], 3, v[10:11]
	v_cmp_le_i64_e64 s4, s[10:11], v[30:31]
	v_dual_mov_b32 v44, 0 :: v_dual_mov_b32 v37, v9
	v_add3_u32 v23, v3, v23, v2
	v_cmp_le_i32_e64 s3, s10, v16
	v_add_co_ci_u32_e64 v35, s5, -1, v21, s5
	v_dual_mov_b32 v36, v8 :: v_dual_mov_b32 v45, 0
	v_dual_mov_b32 v47, 0 :: v_dual_mov_b32 v46, 0
	;; [unrolled: 1-line block ×4, first 2 shown]
	s_mov_b64 s[28:29], 0
	s_branch .LBB84_7
.LBB84_6:                               ;   in Loop: Header=BB84_7 Depth=2
	s_or_b32 exec_lo, exec_lo, s5
	s_waitcnt lgkmcnt(0)
	s_waitcnt_vscnt null, 0x0
	s_barrier
	buffer_gl0_inv
	ds_load_2addr_b64 v[52:55], v41 offset1:32
	ds_load_b128 v[56:59], v39
	ds_load_2addr_b64 v[60:63], v43 offset1:32
	ds_load_b128 v[64:67], v39 offset:4096
	ds_load_b128 v[68:71], v39 offset:16
	;; [unrolled: 1-line block ×5, first 2 shown]
	v_add_co_u32 v36, s5, v36, s12
	s_delay_alu instid0(VALU_DEP_1) | instskip(SKIP_1) | instid1(VALU_DEP_1)
	v_add_co_ci_u32_e64 v37, s5, s13, v37, s5
	v_add_co_u32 v22, s5, 0x100, v22
	v_add_co_ci_u32_e64 v23, s5, 0, v23, s5
	v_add_co_u32 v24, s5, 0x100, v24
	s_delay_alu instid0(VALU_DEP_1)
	v_add_co_ci_u32_e64 v25, s5, 0, v25, s5
	s_add_u32 s28, s28, 32
	s_waitcnt lgkmcnt(6)
	v_mul_f32_e32 v80, v57, v53
	s_waitcnt lgkmcnt(5)
	v_mul_f32_e32 v82, v57, v61
	v_mul_f32_e32 v83, v56, v61
	s_waitcnt lgkmcnt(4)
	v_mul_f32_e32 v85, v65, v61
	v_mul_f32_e32 v61, v64, v61
	;; [unrolled: 1-line block ×3, first 2 shown]
	s_addc_u32 s29, s29, 0
	s_cmp_ge_i32 s28, s15
	s_delay_alu instid0(VALU_DEP_2) | instskip(NEXT) | instid1(VALU_DEP_1)
	v_fmac_f32_e32 v61, v65, v60
	v_dual_add_f32 v44, v44, v61 :: v_dual_mul_f32 v61, v59, v63
	v_fma_f32 v80, v56, v52, -v80
	s_delay_alu instid0(VALU_DEP_1) | instskip(NEXT) | instid1(VALU_DEP_1)
	v_dual_mul_f32 v81, v56, v53 :: v_dual_add_f32 v50, v50, v80
	v_fmac_f32_e32 v81, v57, v52
	v_fmac_f32_e32 v83, v57, v60
	v_mul_f32_e32 v53, v64, v53
	v_fma_f32 v57, v64, v52, -v84
	s_delay_alu instid0(VALU_DEP_3) | instskip(SKIP_3) | instid1(VALU_DEP_2)
	v_add_f32_e32 v80, v49, v83
	v_mul_f32_e32 v83, v67, v55
	v_fma_f32 v56, v56, v60, -v82
	v_dual_fmac_f32 v53, v65, v52 :: v_dual_mul_f32 v82, v58, v63
	v_add_f32_e32 v56, v48, v56
	v_fma_f32 v52, v64, v60, -v85
	v_mul_f32_e32 v60, v58, v55
	s_delay_alu instid0(VALU_DEP_2) | instskip(NEXT) | instid1(VALU_DEP_2)
	v_dual_fmac_f32 v82, v59, v62 :: v_dual_add_f32 v65, v45, v52
	v_fmac_f32_e32 v60, v59, v54
	v_add_f32_e32 v64, v51, v81
	v_dual_add_f32 v57, v46, v57 :: v_dual_mul_f32 v46, v59, v55
	v_mul_f32_e32 v55, v66, v55
	v_fma_f32 v59, v66, v54, -v83
	s_delay_alu instid0(VALU_DEP_4) | instskip(NEXT) | instid1(VALU_DEP_4)
	v_add_f32_e32 v60, v64, v60
	v_fma_f32 v49, v58, v54, -v46
	v_fma_f32 v58, v58, v62, -v61
	v_add_f32_e32 v53, v47, v53
	ds_load_2addr_b64 v[45:48], v41 offset0:64 offset1:96
	v_fmac_f32_e32 v55, v67, v54
	v_dual_add_f32 v81, v50, v49 :: v_dual_add_f32 v54, v57, v59
	ds_load_2addr_b64 v[49:52], v43 offset0:64 offset1:96
	v_dual_add_f32 v56, v56, v58 :: v_dual_add_f32 v53, v53, v55
	v_mul_f32_e32 v58, v67, v63
	s_delay_alu instid0(VALU_DEP_1) | instskip(NEXT) | instid1(VALU_DEP_1)
	v_fma_f32 v58, v66, v62, -v58
	v_dual_mul_f32 v57, v66, v63 :: v_dual_add_f32 v58, v65, v58
	s_waitcnt lgkmcnt(1)
	v_dual_mul_f32 v55, v68, v46 :: v_dual_mul_f32 v64, v79, v48
	s_delay_alu instid0(VALU_DEP_1) | instskip(NEXT) | instid1(VALU_DEP_1)
	v_fmac_f32_e32 v55, v69, v45
	v_add_f32_e32 v63, v60, v55
	v_mul_f32_e32 v55, v77, v46
	s_delay_alu instid0(VALU_DEP_1) | instskip(SKIP_3) | instid1(VALU_DEP_3)
	v_fma_f32 v55, v76, v45, -v55
	v_fmac_f32_e32 v57, v67, v62
	s_waitcnt lgkmcnt(0)
	v_mul_f32_e32 v67, v70, v52
	v_dual_add_f32 v66, v54, v55 :: v_dual_mul_f32 v59, v69, v46
	s_delay_alu instid0(VALU_DEP_3) | instskip(SKIP_4) | instid1(VALU_DEP_4)
	v_add_f32_e32 v44, v44, v57
	v_mul_f32_e32 v57, v68, v50
	v_mul_f32_e32 v46, v76, v46
	v_add_f32_e32 v61, v80, v82
	v_fma_f32 v59, v68, v45, -v59
	v_dual_mul_f32 v54, v71, v48 :: v_dual_fmac_f32 v57, v69, v49
	s_delay_alu instid0(VALU_DEP_4) | instskip(NEXT) | instid1(VALU_DEP_3)
	v_dual_fmac_f32 v46, v77, v45 :: v_dual_mul_f32 v45, v76, v50
	v_add_f32_e32 v59, v81, v59
	v_fmac_f32_e32 v67, v71, v51
	s_delay_alu instid0(VALU_DEP_4)
	v_add_f32_e32 v65, v61, v57
	v_fma_f32 v57, v70, v47, -v54
	v_mul_f32_e32 v62, v69, v50
	v_fmac_f32_e32 v45, v77, v49
	v_add_f32_e32 v46, v53, v46
	v_fma_f32 v69, v78, v47, -v64
	s_delay_alu instid0(VALU_DEP_3) | instskip(SKIP_2) | instid1(VALU_DEP_1)
	v_add_f32_e32 v44, v44, v45
	v_add_f32_e32 v45, v59, v57
	v_fma_f32 v62, v68, v49, -v62
	v_add_f32_e32 v62, v56, v62
	v_mul_f32_e32 v56, v77, v50
	s_delay_alu instid0(VALU_DEP_1)
	v_fma_f32 v50, v76, v49, -v56
	ds_load_2addr_b64 v[53:56], v41 offset0:128 offset1:160
	v_dual_add_f32 v49, v58, v50 :: v_dual_mul_f32 v58, v71, v52
	v_mul_f32_e32 v50, v70, v48
	v_dual_mul_f32 v48, v78, v48 :: v_dual_add_f32 v65, v65, v67
	v_mul_f32_e32 v67, v79, v52
	s_delay_alu instid0(VALU_DEP_4)
	v_fma_f32 v61, v70, v51, -v58
	ds_load_2addr_b64 v[57:60], v43 offset0:128 offset1:160
	v_fmac_f32_e32 v50, v71, v47
	v_dual_fmac_f32 v48, v79, v47 :: v_dual_mul_f32 v47, v78, v52
	v_add_f32_e32 v68, v62, v61
	v_add_f32_e32 v52, v66, v69
	s_delay_alu instid0(VALU_DEP_4)
	v_add_f32_e32 v50, v63, v50
	ds_load_b128 v[61:64], v39 offset:4128
	v_add_f32_e32 v48, v46, v48
	s_waitcnt lgkmcnt(2)
	v_mul_f32_e32 v66, v73, v54
	v_fma_f32 v67, v78, v51, -v67
	s_delay_alu instid0(VALU_DEP_2) | instskip(SKIP_1) | instid1(VALU_DEP_2)
	v_fma_f32 v46, v72, v53, -v66
	s_waitcnt lgkmcnt(1)
	v_dual_add_f32 v49, v49, v67 :: v_dual_mul_f32 v70, v72, v58
	v_dual_mul_f32 v66, v73, v58 :: v_dual_fmac_f32 v47, v79, v51
	s_delay_alu instid0(VALU_DEP_2) | instskip(NEXT) | instid1(VALU_DEP_2)
	v_dual_mul_f32 v51, v72, v54 :: v_dual_fmac_f32 v70, v73, v57
	v_fma_f32 v66, v72, v57, -v66
	s_delay_alu instid0(VALU_DEP_3) | instskip(NEXT) | instid1(VALU_DEP_3)
	v_add_f32_e32 v67, v44, v47
	v_fmac_f32_e32 v51, v73, v53
	v_add_f32_e32 v69, v45, v46
	ds_load_b128 v[44:47], v39 offset:4144
	s_waitcnt lgkmcnt(1)
	v_mul_f32_e32 v71, v62, v54
	v_add_f32_e32 v72, v50, v51
	v_mul_f32_e32 v50, v61, v54
	v_add_f32_e32 v54, v68, v66
	s_delay_alu instid0(VALU_DEP_4) | instskip(NEXT) | instid1(VALU_DEP_3)
	v_fma_f32 v51, v61, v53, -v71
	v_dual_mul_f32 v73, v64, v56 :: v_dual_fmac_f32 v50, v62, v53
	v_mul_f32_e32 v53, v61, v58
	v_add_f32_e32 v70, v65, v70
	s_delay_alu instid0(VALU_DEP_2) | instskip(SKIP_2) | instid1(VALU_DEP_3)
	v_dual_add_f32 v52, v52, v51 :: v_dual_fmac_f32 v53, v62, v57
	v_mul_f32_e32 v66, v62, v58
	v_mul_f32_e32 v58, v75, v56
	v_add_f32_e32 v53, v67, v53
	s_delay_alu instid0(VALU_DEP_3)
	v_fma_f32 v51, v61, v57, -v66
	v_add_f32_e32 v61, v48, v50
	v_mul_f32_e32 v57, v74, v56
	v_fma_f32 v58, v74, v55, -v58
	v_mul_f32_e32 v56, v63, v56
	v_add_f32_e32 v62, v49, v51
	ds_load_2addr_b64 v[48:51], v41 offset0:192 offset1:224
	v_dual_fmac_f32 v57, v75, v55 :: v_dual_add_f32 v58, v69, v58
	v_dual_mul_f32 v71, v75, v60 :: v_dual_fmac_f32 v56, v64, v55
	ds_load_2addr_b64 v[65:68], v43 offset0:192 offset1:224
	v_add_f32_e32 v57, v72, v57
	v_mul_f32_e32 v69, v74, v60
	v_fma_f32 v71, v74, v59, -v71
	v_add_f32_e32 v56, v61, v56
	s_delay_alu instid0(VALU_DEP_2) | instskip(SKIP_3) | instid1(VALU_DEP_3)
	v_add_f32_e32 v54, v54, v71
	v_fma_f32 v72, v63, v55, -v73
	v_fmac_f32_e32 v69, v75, v59
	v_mul_f32_e32 v55, v63, v60
	v_add_f32_e32 v52, v52, v72
	v_add_nc_u32_e32 v72, 0x800, v41
	s_delay_alu instid0(VALU_DEP_4) | instskip(SKIP_4) | instid1(VALU_DEP_2)
	v_add_f32_e32 v69, v70, v69
	s_waitcnt lgkmcnt(1)
	v_mul_f32_e32 v61, v0, v49
	s_waitcnt lgkmcnt(0)
	v_dual_fmac_f32 v55, v64, v59 :: v_dual_mul_f32 v74, v47, v68
	v_fmac_f32_e32 v61, v1, v48
	v_mul_f32_e32 v71, v64, v60
	s_delay_alu instid0(VALU_DEP_3) | instskip(NEXT) | instid1(VALU_DEP_3)
	v_add_f32_e32 v53, v53, v55
	v_dual_mul_f32 v55, v0, v66 :: v_dual_add_f32 v64, v57, v61
	s_delay_alu instid0(VALU_DEP_3) | instskip(SKIP_1) | instid1(VALU_DEP_3)
	v_fma_f32 v60, v63, v59, -v71
	v_mul_f32_e32 v63, v1, v49
	v_fmac_f32_e32 v55, v1, v65
	v_mul_f32_e32 v57, v45, v49
	v_mul_f32_e32 v61, v3, v68
	v_dual_add_f32 v59, v62, v60 :: v_dual_mul_f32 v62, v1, v66
	v_fma_f32 v60, v0, v48, -v63
	v_mul_f32_e32 v1, v44, v49
	s_delay_alu instid0(VALU_DEP_3) | instskip(NEXT) | instid1(VALU_DEP_3)
	v_fma_f32 v0, v0, v65, -v62
	v_dual_add_f32 v60, v58, v60 :: v_dual_mul_f32 v49, v45, v66
	s_delay_alu instid0(VALU_DEP_2) | instskip(SKIP_2) | instid1(VALU_DEP_1)
	v_add_f32_e32 v0, v54, v0
	v_fma_f32 v54, v44, v48, -v57
	v_dual_mul_f32 v57, v44, v66 :: v_dual_mul_f32 v66, v2, v51
	v_dual_fmac_f32 v57, v45, v65 :: v_dual_fmac_f32 v66, v3, v50
	s_delay_alu instid0(VALU_DEP_1) | instskip(SKIP_1) | instid1(VALU_DEP_1)
	v_add_f32_e32 v64, v64, v66
	v_mul_f32_e32 v66, v46, v51
	v_dual_fmac_f32 v66, v47, v50 :: v_dual_fmac_f32 v1, v45, v48
	v_dual_add_f32 v48, v69, v55 :: v_dual_mul_f32 v69, v2, v68
	v_mul_f32_e32 v68, v46, v68
	s_delay_alu instid0(VALU_DEP_1) | instskip(SKIP_1) | instid1(VALU_DEP_1)
	v_dual_fmac_f32 v68, v47, v67 :: v_dual_add_f32 v45, v56, v1
	v_mul_f32_e32 v1, v3, v51
	v_fma_f32 v1, v2, v50, -v1
	s_delay_alu instid0(VALU_DEP_1) | instskip(SKIP_3) | instid1(VALU_DEP_3)
	v_add_f32_e32 v70, v60, v1
	v_fma_f32 v44, v44, v65, -v49
	v_fma_f32 v1, v2, v67, -v61
	v_dual_mul_f32 v2, v47, v51 :: v_dual_add_f32 v49, v52, v54
	v_add_f32_e32 v44, v59, v44
	s_delay_alu instid0(VALU_DEP_2)
	v_fma_f32 v51, v46, v50, -v2
	v_fma_f32 v46, v46, v67, -v74
	v_add_f32_e32 v65, v53, v57
	ds_load_2addr_b64 v[52:55], v72 offset1:32
	ds_load_b128 v[56:59], v39 offset:64
	v_dual_add_f32 v74, v44, v46 :: v_dual_add_nc_u32 v73, 0x800, v43
	v_add_f32_e32 v68, v65, v68
	v_add_f32_e32 v66, v45, v66
	ds_load_2addr_b64 v[60:63], v73 offset1:32
	v_fmac_f32_e32 v69, v3, v67
	v_add_f32_e32 v71, v0, v1
	ds_load_b128 v[0:3], v39 offset:4160
	s_waitcnt lgkmcnt(2)
	v_mul_f32_e32 v76, v57, v53
	v_add_f32_e32 v75, v49, v51
	v_mul_f32_e32 v67, v56, v53
	s_delay_alu instid0(VALU_DEP_3) | instskip(SKIP_2) | instid1(VALU_DEP_2)
	v_fma_f32 v45, v56, v52, -v76
	s_waitcnt lgkmcnt(1)
	v_mul_f32_e32 v44, v57, v61
	v_dual_fmac_f32 v67, v57, v52 :: v_dual_add_f32 v70, v70, v45
	v_mul_f32_e32 v65, v56, v61
	s_delay_alu instid0(VALU_DEP_3)
	v_fma_f32 v56, v56, v60, -v44
	v_add_f32_e32 v69, v48, v69
	ds_load_b128 v[48:51], v39 offset:80
	s_waitcnt lgkmcnt(1)
	v_mul_f32_e32 v76, v1, v53
	v_mul_f32_e32 v53, v0, v53
	v_fmac_f32_e32 v65, v57, v60
	ds_load_b128 v[44:47], v39 offset:4176
	v_fma_f32 v57, v0, v52, -v76
	v_dual_fmac_f32 v53, v1, v52 :: v_dual_mul_f32 v52, v0, v61
	s_delay_alu instid0(VALU_DEP_1) | instskip(SKIP_2) | instid1(VALU_DEP_3)
	v_fmac_f32_e32 v52, v1, v60
	v_dual_add_f32 v56, v71, v56 :: v_dual_add_f32 v77, v64, v67
	v_dual_mul_f32 v64, v1, v61 :: v_dual_mul_f32 v61, v59, v55
	v_dual_add_f32 v57, v75, v57 :: v_dual_add_f32 v52, v68, v52
	s_delay_alu instid0(VALU_DEP_2) | instskip(NEXT) | instid1(VALU_DEP_3)
	v_fma_f32 v0, v0, v60, -v64
	v_fma_f32 v60, v58, v54, -v61
	s_delay_alu instid0(VALU_DEP_2) | instskip(SKIP_1) | instid1(VALU_DEP_3)
	v_add_f32_e32 v0, v74, v0
	v_mul_f32_e32 v74, v58, v63
	v_add_f32_e32 v60, v70, v60
	s_delay_alu instid0(VALU_DEP_2)
	v_dual_mul_f32 v1, v58, v55 :: v_dual_fmac_f32 v74, v59, v62
	v_add_f32_e32 v76, v69, v65
	ds_load_2addr_b64 v[68:71], v73 offset0:64 offset1:96
	v_mul_f32_e32 v61, v59, v63
	v_mul_f32_e32 v75, v3, v55
	v_fmac_f32_e32 v1, v59, v54
	s_delay_alu instid0(VALU_DEP_3) | instskip(NEXT) | instid1(VALU_DEP_3)
	v_fma_f32 v58, v58, v62, -v61
	v_fma_f32 v59, v2, v54, -v75
	v_add_f32_e32 v61, v76, v74
	s_delay_alu instid0(VALU_DEP_3)
	v_dual_mul_f32 v55, v2, v55 :: v_dual_add_f32 v56, v56, v58
	v_add_f32_e32 v53, v66, v53
	ds_load_2addr_b64 v[64:67], v72 offset0:64 offset1:96
	v_mul_f32_e32 v58, v3, v63
	v_dual_fmac_f32 v55, v3, v54 :: v_dual_add_f32 v54, v57, v59
	v_mul_f32_e32 v57, v2, v63
	s_delay_alu instid0(VALU_DEP_3) | instskip(SKIP_2) | instid1(VALU_DEP_3)
	v_fma_f32 v2, v2, v62, -v58
	s_waitcnt lgkmcnt(1)
	v_mul_f32_e32 v63, v50, v71
	v_fmac_f32_e32 v57, v3, v62
	s_delay_alu instid0(VALU_DEP_3) | instskip(SKIP_1) | instid1(VALU_DEP_3)
	v_dual_mul_f32 v3, v49, v69 :: v_dual_add_f32 v0, v0, v2
	s_waitcnt lgkmcnt(0)
	v_dual_fmac_f32 v63, v51, v70 :: v_dual_mul_f32 v58, v49, v65
	v_mul_f32_e32 v62, v50, v67
	v_add_f32_e32 v53, v53, v55
	s_delay_alu instid0(VALU_DEP_3) | instskip(NEXT) | instid1(VALU_DEP_3)
	v_fma_f32 v2, v48, v64, -v58
	v_fmac_f32_e32 v62, v51, v66
	v_mul_f32_e32 v58, v48, v69
	v_add_f32_e32 v1, v77, v1
	s_delay_alu instid0(VALU_DEP_4) | instskip(SKIP_1) | instid1(VALU_DEP_4)
	v_add_f32_e32 v59, v60, v2
	v_fma_f32 v2, v48, v68, -v3
	v_dual_mul_f32 v3, v44, v65 :: v_dual_fmac_f32 v58, v49, v68
	s_delay_alu instid0(VALU_DEP_1) | instskip(SKIP_1) | instid1(VALU_DEP_1)
	v_fmac_f32_e32 v3, v45, v64
	v_mul_f32_e32 v55, v48, v65
	v_fmac_f32_e32 v55, v49, v64
	v_dual_add_f32 v49, v56, v2 :: v_dual_mul_f32 v2, v45, v69
	v_mul_f32_e32 v56, v44, v69
	s_delay_alu instid0(VALU_DEP_2) | instskip(NEXT) | instid1(VALU_DEP_2)
	v_fma_f32 v2, v44, v68, -v2
	v_fmac_f32_e32 v56, v45, v68
	v_mul_f32_e32 v68, v47, v67
	v_add_f32_e32 v48, v1, v55
	v_add_f32_e32 v60, v61, v58
	v_dual_mul_f32 v1, v45, v65 :: v_dual_mul_f32 v58, v51, v71
	v_add_f32_e32 v45, v0, v2
	s_delay_alu instid0(VALU_DEP_4)
	v_add_f32_e32 v69, v48, v62
	v_fma_f32 v62, v46, v66, -v68
	v_add_f32_e32 v68, v60, v63
	v_fma_f32 v1, v44, v64, -v1
	v_mul_f32_e32 v44, v51, v67
	v_mul_f32_e32 v67, v46, v67
	v_add_f32_e32 v64, v53, v3
	s_delay_alu instid0(VALU_DEP_3) | instskip(NEXT) | instid1(VALU_DEP_3)
	v_fma_f32 v44, v50, v66, -v44
	v_fmac_f32_e32 v67, v47, v66
	v_dual_mul_f32 v66, v47, v71 :: v_dual_add_f32 v57, v52, v57
	s_delay_alu instid0(VALU_DEP_3) | instskip(SKIP_1) | instid1(VALU_DEP_3)
	v_dual_mul_f32 v71, v46, v71 :: v_dual_add_f32 v44, v59, v44
	v_fma_f32 v50, v50, v70, -v58
	v_fma_f32 v46, v46, v70, -v66
	s_delay_alu instid0(VALU_DEP_4) | instskip(NEXT) | instid1(VALU_DEP_4)
	v_add_f32_e32 v65, v57, v56
	v_fmac_f32_e32 v71, v47, v70
	v_add_f32_e32 v61, v54, v1
	ds_load_2addr_b64 v[0:3], v72 offset0:128 offset1:160
	ds_load_b128 v[52:55], v39 offset:96
	ds_load_2addr_b64 v[56:59], v73 offset0:128 offset1:160
	v_add_f32_e32 v64, v64, v67
	s_waitcnt lgkmcnt(1)
	v_mul_f32_e32 v76, v53, v1
	v_add_f32_e32 v74, v49, v50
	ds_load_b128 v[48:51], v39 offset:4192
	v_mul_f32_e32 v66, v52, v1
	v_add_f32_e32 v70, v65, v71
	v_fma_f32 v47, v52, v0, -v76
	s_delay_alu instid0(VALU_DEP_1)
	v_dual_fmac_f32 v66, v53, v0 :: v_dual_add_f32 v71, v44, v47
	v_add_f32_e32 v67, v45, v46
	s_waitcnt lgkmcnt(1)
	v_mul_f32_e32 v45, v53, v57
	v_add_f32_e32 v75, v61, v62
	ds_load_b128 v[60:63], v39 offset:112
	v_mul_f32_e32 v65, v52, v57
	v_fma_f32 v52, v52, v56, -v45
	ds_load_b128 v[44:47], v39 offset:4208
	s_waitcnt lgkmcnt(2)
	v_mul_f32_e32 v76, v49, v1
	v_dual_mul_f32 v1, v48, v1 :: v_dual_add_f32 v52, v74, v52
	v_fmac_f32_e32 v65, v53, v56
	s_delay_alu instid0(VALU_DEP_3) | instskip(NEXT) | instid1(VALU_DEP_3)
	v_fma_f32 v53, v48, v0, -v76
	v_dual_fmac_f32 v1, v49, v0 :: v_dual_mul_f32 v0, v48, v57
	s_delay_alu instid0(VALU_DEP_3) | instskip(NEXT) | instid1(VALU_DEP_2)
	v_add_f32_e32 v74, v68, v65
	v_dual_add_f32 v1, v64, v1 :: v_dual_fmac_f32 v0, v49, v56
	s_delay_alu instid0(VALU_DEP_1) | instskip(SKIP_2) | instid1(VALU_DEP_2)
	v_dual_add_f32 v0, v70, v0 :: v_dual_add_f32 v77, v69, v66
	v_dual_mul_f32 v66, v49, v57 :: v_dual_mul_f32 v57, v55, v3
	v_mul_f32_e32 v49, v54, v3
	v_fma_f32 v48, v48, v56, -v66
	s_delay_alu instid0(VALU_DEP_3) | instskip(SKIP_1) | instid1(VALU_DEP_2)
	v_fma_f32 v56, v54, v2, -v57
	v_mul_f32_e32 v57, v55, v59
	v_add_f32_e32 v56, v71, v56
	s_delay_alu instid0(VALU_DEP_4)
	v_add_f32_e32 v48, v67, v48
	ds_load_2addr_b64 v[64:67], v72 offset0:192 offset1:224
	v_mul_f32_e32 v72, v54, v59
	ds_load_2addr_b64 v[68:71], v73 offset0:192 offset1:224
	v_mul_f32_e32 v73, v51, v3
	v_fma_f32 v54, v54, v58, -v57
	v_add_f32_e32 v53, v75, v53
	v_fmac_f32_e32 v72, v55, v58
	v_fmac_f32_e32 v49, v55, v2
	s_delay_alu instid0(VALU_DEP_4) | instskip(NEXT) | instid1(VALU_DEP_3)
	v_dual_mul_f32 v3, v50, v3 :: v_dual_add_f32 v52, v52, v54
	v_dual_mul_f32 v54, v51, v59 :: v_dual_add_f32 v57, v74, v72
	v_add_nc_u32_e32 v72, 0x1000, v41
	v_fma_f32 v55, v50, v2, -v73
	s_delay_alu instid0(VALU_DEP_1) | instskip(SKIP_3) | instid1(VALU_DEP_2)
	v_dual_fmac_f32 v3, v51, v2 :: v_dual_add_f32 v2, v53, v55
	v_mul_f32_e32 v53, v50, v59
	v_fma_f32 v50, v50, v58, -v54
	s_waitcnt lgkmcnt(1)
	v_dual_mul_f32 v54, v61, v65 :: v_dual_fmac_f32 v53, v51, v58
	s_delay_alu instid0(VALU_DEP_2) | instskip(NEXT) | instid1(VALU_DEP_2)
	v_add_f32_e32 v48, v48, v50
	v_fma_f32 v50, v60, v64, -v54
	s_waitcnt lgkmcnt(0)
	v_mul_f32_e32 v51, v61, v69
	v_add_f32_e32 v0, v0, v53
	v_mul_f32_e32 v53, v60, v69
	v_add_f32_e32 v54, v56, v50
	s_delay_alu instid0(VALU_DEP_4) | instskip(SKIP_1) | instid1(VALU_DEP_2)
	v_fma_f32 v50, v60, v68, -v51
	v_mul_f32_e32 v51, v44, v69
	v_dual_add_f32 v58, v52, v50 :: v_dual_add_f32 v1, v1, v3
	v_mul_f32_e32 v3, v60, v65
	v_mul_f32_e32 v50, v45, v69
	v_add_f32_e32 v49, v77, v49
	v_fmac_f32_e32 v51, v45, v68
	s_delay_alu instid0(VALU_DEP_4) | instskip(NEXT) | instid1(VALU_DEP_1)
	v_fmac_f32_e32 v3, v61, v64
	v_dual_add_f32 v56, v49, v3 :: v_dual_mul_f32 v49, v44, v65
	v_mul_f32_e32 v3, v45, v65
	s_delay_alu instid0(VALU_DEP_2) | instskip(NEXT) | instid1(VALU_DEP_2)
	v_fmac_f32_e32 v49, v45, v64
	v_fma_f32 v3, v44, v64, -v3
	v_fma_f32 v44, v44, v68, -v50
	s_delay_alu instid0(VALU_DEP_3) | instskip(SKIP_1) | instid1(VALU_DEP_4)
	v_dual_add_f32 v64, v0, v51 :: v_dual_add_f32 v45, v1, v49
	v_mul_f32_e32 v1, v63, v67
	v_add_f32_e32 v60, v2, v3
	s_delay_alu instid0(VALU_DEP_4) | instskip(NEXT) | instid1(VALU_DEP_3)
	v_add_f32_e32 v44, v48, v44
	v_fma_f32 v52, v62, v66, -v1
	ds_load_2addr_b64 v[0:3], v72 offset1:32
	ds_load_b128 v[48:51], v39 offset:128
	v_fmac_f32_e32 v53, v61, v68
	v_add_nc_u32_e32 v73, 0x1000, v43
	v_mul_f32_e32 v61, v62, v71
	v_add_f32_e32 v65, v54, v52
	v_mul_f32_e32 v59, v62, v67
	v_add_f32_e32 v57, v57, v53
	v_mul_f32_e32 v53, v63, v71
	v_mul_f32_e32 v68, v47, v67
	v_fmac_f32_e32 v61, v63, v70
	v_fmac_f32_e32 v59, v63, v66
	s_delay_alu instid0(VALU_DEP_4)
	v_fma_f32 v62, v62, v70, -v53
	ds_load_2addr_b64 v[52:55], v73 offset1:32
	v_dual_add_f32 v69, v56, v59 :: v_dual_add_f32 v74, v58, v62
	v_fma_f32 v62, v46, v66, -v68
	v_add_f32_e32 v68, v57, v61
	ds_load_b128 v[56:59], v39 offset:4224
	s_waitcnt lgkmcnt(2)
	v_dual_mul_f32 v76, v49, v1 :: v_dual_add_f32 v75, v60, v62
	ds_load_b128 v[60:63], v39 offset:144
	v_mul_f32_e32 v67, v46, v67
	s_delay_alu instid0(VALU_DEP_1) | instskip(SKIP_2) | instid1(VALU_DEP_2)
	v_fmac_f32_e32 v67, v47, v66
	v_mul_f32_e32 v66, v47, v71
	v_mul_f32_e32 v71, v46, v71
	v_fma_f32 v46, v46, v70, -v66
	s_delay_alu instid0(VALU_DEP_2) | instskip(SKIP_2) | instid1(VALU_DEP_4)
	v_dual_add_f32 v66, v45, v67 :: v_dual_fmac_f32 v71, v47, v70
	v_fma_f32 v45, v48, v0, -v76
	v_mul_f32_e32 v67, v48, v1
	v_add_f32_e32 v70, v44, v46
	s_waitcnt lgkmcnt(2)
	v_dual_mul_f32 v44, v49, v53 :: v_dual_add_f32 v71, v64, v71
	v_add_f32_e32 v76, v65, v45
	v_mul_f32_e32 v64, v48, v53
	s_waitcnt lgkmcnt(1)
	v_mul_f32_e32 v65, v57, v1
	v_fma_f32 v48, v48, v52, -v44
	ds_load_b128 v[44:47], v39 offset:4240
	v_mul_f32_e32 v1, v56, v1
	v_fmac_f32_e32 v67, v49, v0
	v_fmac_f32_e32 v64, v49, v52
	v_fma_f32 v49, v56, v0, -v65
	v_mul_f32_e32 v65, v57, v53
	v_dual_fmac_f32 v1, v57, v0 :: v_dual_mul_f32 v0, v56, v53
	s_delay_alu instid0(VALU_DEP_3) | instskip(NEXT) | instid1(VALU_DEP_3)
	v_dual_add_f32 v48, v74, v48 :: v_dual_add_f32 v49, v75, v49
	v_fma_f32 v53, v56, v52, -v65
	v_mul_f32_e32 v56, v51, v3
	s_delay_alu instid0(VALU_DEP_4) | instskip(SKIP_2) | instid1(VALU_DEP_4)
	v_dual_fmac_f32 v0, v57, v52 :: v_dual_mul_f32 v57, v51, v55
	v_mul_f32_e32 v52, v50, v3
	v_mul_f32_e32 v75, v50, v55
	v_fma_f32 v56, v50, v2, -v56
	v_add_f32_e32 v53, v70, v53
	v_fma_f32 v50, v50, v54, -v57
	v_add_f32_e32 v74, v68, v64
	v_add_f32_e32 v0, v71, v0
	v_fmac_f32_e32 v52, v51, v2
	v_add_f32_e32 v56, v76, v56
	v_add_f32_e32 v48, v48, v50
	v_mul_f32_e32 v50, v59, v55
	v_mul_f32_e32 v76, v59, v3
	v_fmac_f32_e32 v75, v51, v54
	v_mul_f32_e32 v3, v58, v3
	s_delay_alu instid0(VALU_DEP_4) | instskip(NEXT) | instid1(VALU_DEP_4)
	v_fma_f32 v50, v58, v54, -v50
	v_fma_f32 v51, v58, v2, -v76
	s_delay_alu instid0(VALU_DEP_3) | instskip(NEXT) | instid1(VALU_DEP_3)
	v_fmac_f32_e32 v3, v59, v2
	v_add_f32_e32 v50, v53, v50
	v_add_f32_e32 v77, v69, v67
	ds_load_2addr_b64 v[68:71], v73 offset0:64 offset1:96
	v_add_f32_e32 v1, v66, v1
	ds_load_2addr_b64 v[64:67], v72 offset0:64 offset1:96
	v_add_f32_e32 v2, v49, v51
	v_dual_mul_f32 v49, v58, v55 :: v_dual_add_f32 v52, v77, v52
	v_add_f32_e32 v1, v1, v3
	s_delay_alu instid0(VALU_DEP_2) | instskip(NEXT) | instid1(VALU_DEP_1)
	v_fmac_f32_e32 v49, v59, v54
	v_add_f32_e32 v55, v0, v49
	s_waitcnt lgkmcnt(1)
	v_mul_f32_e32 v53, v61, v69
	v_mul_f32_e32 v54, v60, v69
	s_waitcnt lgkmcnt(0)
	v_mul_f32_e32 v3, v60, v65
	v_mul_f32_e32 v51, v61, v65
	;; [unrolled: 1-line block ×3, first 2 shown]
	v_fma_f32 v0, v60, v68, -v53
	v_fmac_f32_e32 v54, v61, v68
	v_fmac_f32_e32 v3, v61, v64
	v_fma_f32 v51, v60, v64, -v51
	v_fmac_f32_e32 v49, v45, v64
	v_dual_add_f32 v59, v48, v0 :: v_dual_mul_f32 v0, v45, v69
	s_delay_alu instid0(VALU_DEP_4) | instskip(SKIP_2) | instid1(VALU_DEP_4)
	v_dual_add_f32 v58, v52, v3 :: v_dual_mul_f32 v3, v45, v65
	v_mul_f32_e32 v52, v44, v69
	v_add_f32_e32 v56, v56, v51
	v_fma_f32 v0, v44, v68, -v0
	v_mul_f32_e32 v61, v62, v67
	v_fma_f32 v3, v44, v64, -v3
	v_add_f32_e32 v64, v1, v49
	v_fmac_f32_e32 v52, v45, v68
	v_dual_add_f32 v45, v50, v0 :: v_dual_mul_f32 v44, v63, v67
	s_delay_alu instid0(VALU_DEP_4)
	v_add_f32_e32 v60, v2, v3
	ds_load_2addr_b64 v[0:3], v72 offset0:128 offset1:160
	ds_load_b128 v[48:51], v39 offset:160
	v_mul_f32_e32 v53, v63, v71
	v_fmac_f32_e32 v61, v63, v66
	v_fma_f32 v44, v62, v66, -v44
	v_dual_mul_f32 v68, v62, v71 :: v_dual_add_f32 v65, v55, v52
	s_delay_alu instid0(VALU_DEP_2) | instskip(SKIP_2) | instid1(VALU_DEP_4)
	v_dual_add_f32 v69, v58, v61 :: v_dual_add_f32 v44, v56, v44
	v_fma_f32 v56, v62, v70, -v53
	v_mul_f32_e32 v62, v47, v67
	v_dual_mul_f32 v67, v46, v67 :: v_dual_fmac_f32 v68, v63, v70
	s_delay_alu instid0(VALU_DEP_2) | instskip(NEXT) | instid1(VALU_DEP_2)
	v_fma_f32 v61, v46, v66, -v62
	v_fmac_f32_e32 v67, v47, v66
	v_mul_f32_e32 v66, v47, v71
	s_waitcnt lgkmcnt(0)
	v_dual_mul_f32 v71, v46, v71 :: v_dual_mul_f32 v76, v49, v1
	s_delay_alu instid0(VALU_DEP_3) | instskip(SKIP_1) | instid1(VALU_DEP_3)
	v_add_f32_e32 v64, v64, v67
	v_add_f32_e32 v57, v74, v75
	v_fmac_f32_e32 v71, v47, v70
	v_fma_f32 v46, v46, v70, -v66
	v_fma_f32 v47, v48, v0, -v76
	v_add_f32_e32 v74, v59, v56
	v_mul_f32_e32 v66, v48, v1
	v_add_f32_e32 v70, v65, v71
	v_add_f32_e32 v67, v45, v46
	;; [unrolled: 1-line block ×4, first 2 shown]
	ds_load_2addr_b64 v[52:55], v73 offset0:128 offset1:160
	v_fmac_f32_e32 v66, v49, v0
	v_add_f32_e32 v68, v57, v68
	ds_load_b128 v[56:59], v39 offset:4256
	v_add_f32_e32 v77, v69, v66
	s_waitcnt lgkmcnt(1)
	v_mul_f32_e32 v45, v49, v53
	v_mul_f32_e32 v65, v48, v53
	s_delay_alu instid0(VALU_DEP_2)
	v_fma_f32 v48, v48, v52, -v45
	ds_load_b128 v[44:47], v39 offset:4272
	v_add_f32_e32 v75, v60, v61
	ds_load_b128 v[60:63], v39 offset:176
	s_waitcnt lgkmcnt(2)
	v_mul_f32_e32 v76, v57, v1
	v_mul_f32_e32 v1, v56, v1
	;; [unrolled: 1-line block ×3, first 2 shown]
	v_fmac_f32_e32 v65, v49, v52
	v_add_f32_e32 v48, v74, v48
	v_fma_f32 v49, v56, v0, -v76
	v_dual_fmac_f32 v1, v57, v0 :: v_dual_mul_f32 v0, v56, v53
	v_fma_f32 v53, v56, v52, -v66
	v_mul_f32_e32 v56, v51, v3
	v_add_f32_e32 v74, v68, v65
	s_delay_alu instid0(VALU_DEP_4) | instskip(NEXT) | instid1(VALU_DEP_4)
	v_dual_add_f32 v1, v64, v1 :: v_dual_fmac_f32 v0, v57, v52
	v_add_f32_e32 v53, v67, v53
	s_delay_alu instid0(VALU_DEP_4)
	v_fma_f32 v56, v50, v2, -v56
	ds_load_2addr_b64 v[64:67], v72 offset0:192 offset1:224
	v_dual_mul_f32 v57, v51, v55 :: v_dual_add_f32 v0, v70, v0
	v_mul_f32_e32 v52, v50, v3
	v_add_f32_e32 v56, v71, v56
	ds_load_2addr_b64 v[68:71], v73 offset0:192 offset1:224
	v_mul_f32_e32 v72, v50, v55
	v_mul_f32_e32 v73, v59, v3
	v_fma_f32 v50, v50, v54, -v57
	v_mul_f32_e32 v3, v58, v3
	v_add_f32_e32 v49, v75, v49
	v_fmac_f32_e32 v52, v51, v2
	v_fmac_f32_e32 v72, v51, v54
	v_fma_f32 v51, v58, v2, -v73
	v_add_f32_e32 v48, v48, v50
	v_mul_f32_e32 v50, v59, v55
	v_fmac_f32_e32 v3, v59, v2
	s_delay_alu instid0(VALU_DEP_4) | instskip(SKIP_1) | instid1(VALU_DEP_4)
	v_dual_add_f32 v57, v74, v72 :: v_dual_add_f32 v2, v49, v51
	v_mul_f32_e32 v49, v58, v55
	v_fma_f32 v50, v58, v54, -v50
	s_waitcnt lgkmcnt(1)
	v_mul_f32_e32 v51, v61, v65
	v_add_f32_e32 v1, v1, v3
	v_mul_f32_e32 v3, v60, v65
	v_add_nc_u32_e32 v72, 0x1800, v41
	v_add_f32_e32 v52, v77, v52
	v_add_f32_e32 v50, v53, v50
	v_fma_f32 v51, v60, v64, -v51
	s_waitcnt lgkmcnt(0)
	v_mul_f32_e32 v53, v61, v69
	v_fmac_f32_e32 v3, v61, v64
	v_fmac_f32_e32 v49, v59, v54
	v_add_nc_u32_e32 v73, 0x1800, v43
	v_add_f32_e32 v54, v56, v51
	v_fma_f32 v51, v60, v68, -v53
	v_add_f32_e32 v56, v52, v3
	v_mul_f32_e32 v52, v44, v65
	v_add_f32_e32 v0, v0, v49
	v_mul_f32_e32 v49, v60, v69
	v_dual_mul_f32 v3, v45, v65 :: v_dual_add_f32 v58, v48, v51
	v_mul_f32_e32 v48, v45, v69
	v_dual_mul_f32 v51, v44, v69 :: v_dual_fmac_f32 v52, v45, v64
	s_delay_alu instid0(VALU_DEP_4) | instskip(NEXT) | instid1(VALU_DEP_4)
	v_fmac_f32_e32 v49, v61, v68
	v_fma_f32 v3, v44, v64, -v3
	s_delay_alu instid0(VALU_DEP_4) | instskip(NEXT) | instid1(VALU_DEP_4)
	v_fma_f32 v44, v44, v68, -v48
	v_fmac_f32_e32 v51, v45, v68
	v_add_f32_e32 v45, v1, v52
	v_mul_f32_e32 v1, v63, v67
	v_dual_add_f32 v57, v57, v49 :: v_dual_add_f32 v60, v2, v3
	v_add_f32_e32 v44, v50, v44
	v_add_f32_e32 v64, v0, v51
	s_delay_alu instid0(VALU_DEP_4)
	v_fma_f32 v52, v62, v66, -v1
	v_mul_f32_e32 v53, v63, v71
	ds_load_2addr_b64 v[0:3], v72 offset1:32
	ds_load_b128 v[48:51], v39 offset:192
	v_mul_f32_e32 v59, v62, v67
	v_mul_f32_e32 v61, v62, v71
	v_add_f32_e32 v65, v54, v52
	v_fma_f32 v62, v62, v70, -v53
	ds_load_2addr_b64 v[52:55], v73 offset1:32
	v_mul_f32_e32 v68, v47, v67
	v_mul_f32_e32 v67, v46, v67
	v_fmac_f32_e32 v59, v63, v66
	v_add_f32_e32 v74, v58, v62
	v_fmac_f32_e32 v61, v63, v70
	v_fma_f32 v62, v46, v66, -v68
	v_fmac_f32_e32 v67, v47, v66
	v_mul_f32_e32 v66, v47, v71
	s_delay_alu instid0(VALU_DEP_4) | instskip(NEXT) | instid1(VALU_DEP_4)
	v_dual_mul_f32 v71, v46, v71 :: v_dual_add_f32 v68, v57, v61
	v_add_f32_e32 v75, v60, v62
	ds_load_b128 v[60:63], v39 offset:208
	v_fma_f32 v46, v46, v70, -v66
	v_add_f32_e32 v66, v45, v67
	s_waitcnt lgkmcnt(2)
	v_dual_mul_f32 v76, v49, v1 :: v_dual_fmac_f32 v71, v47, v70
	v_mul_f32_e32 v67, v48, v1
	v_add_f32_e32 v70, v44, v46
	s_delay_alu instid0(VALU_DEP_3) | instskip(SKIP_3) | instid1(VALU_DEP_3)
	v_fma_f32 v45, v48, v0, -v76
	s_waitcnt lgkmcnt(1)
	v_dual_mul_f32 v44, v49, v53 :: v_dual_add_f32 v71, v64, v71
	v_mul_f32_e32 v64, v48, v53
	v_add_f32_e32 v76, v65, v45
	s_delay_alu instid0(VALU_DEP_3)
	v_fma_f32 v48, v48, v52, -v44
	ds_load_b128 v[44:47], v39 offset:4304
	v_add_f32_e32 v69, v56, v59
	ds_load_b128 v[56:59], v39 offset:4288
	v_fmac_f32_e32 v67, v49, v0
	v_fmac_f32_e32 v64, v49, v52
	s_delay_alu instid0(VALU_DEP_2) | instskip(SKIP_1) | instid1(VALU_DEP_2)
	v_dual_add_f32 v48, v74, v48 :: v_dual_add_f32 v77, v69, v67
	s_waitcnt lgkmcnt(0)
	v_dual_add_f32 v74, v68, v64 :: v_dual_mul_f32 v65, v57, v1
	v_mul_f32_e32 v1, v56, v1
	s_delay_alu instid0(VALU_DEP_2) | instskip(SKIP_1) | instid1(VALU_DEP_3)
	v_fma_f32 v49, v56, v0, -v65
	v_mul_f32_e32 v65, v57, v53
	v_dual_fmac_f32 v1, v57, v0 :: v_dual_mul_f32 v0, v56, v53
	s_delay_alu instid0(VALU_DEP_3) | instskip(NEXT) | instid1(VALU_DEP_3)
	v_add_f32_e32 v49, v75, v49
	v_fma_f32 v53, v56, v52, -v65
	v_mul_f32_e32 v56, v51, v3
	s_delay_alu instid0(VALU_DEP_4)
	v_dual_fmac_f32 v0, v57, v52 :: v_dual_add_f32 v1, v66, v1
	ds_load_2addr_b64 v[64:67], v72 offset0:64 offset1:96
	v_add_f32_e32 v53, v70, v53
	v_fma_f32 v56, v50, v2, -v56
	v_add_f32_e32 v0, v71, v0
	v_mul_f32_e32 v57, v51, v55
	ds_load_2addr_b64 v[68:71], v73 offset0:64 offset1:96
	v_mul_f32_e32 v52, v50, v3
	v_dual_add_f32 v56, v76, v56 :: v_dual_mul_f32 v75, v50, v55
	v_mul_f32_e32 v76, v59, v3
	v_fma_f32 v50, v50, v54, -v57
	s_delay_alu instid0(VALU_DEP_4) | instskip(NEXT) | instid1(VALU_DEP_4)
	v_dual_fmac_f32 v52, v51, v2 :: v_dual_mul_f32 v3, v58, v3
	v_fmac_f32_e32 v75, v51, v54
	s_delay_alu instid0(VALU_DEP_4) | instskip(NEXT) | instid1(VALU_DEP_4)
	v_fma_f32 v51, v58, v2, -v76
	v_add_f32_e32 v48, v48, v50
	v_mul_f32_e32 v50, v59, v55
	v_dual_fmac_f32 v3, v59, v2 :: v_dual_add_f32 v52, v77, v52
	s_delay_alu instid0(VALU_DEP_4) | instskip(SKIP_1) | instid1(VALU_DEP_4)
	v_add_f32_e32 v2, v49, v51
	v_mul_f32_e32 v49, v58, v55
	v_fma_f32 v50, v58, v54, -v50
	s_delay_alu instid0(VALU_DEP_4)
	v_add_f32_e32 v1, v1, v3
	s_waitcnt lgkmcnt(1)
	v_mul_f32_e32 v3, v60, v65
	v_mul_f32_e32 v51, v61, v65
	v_fmac_f32_e32 v49, v59, v54
	v_add_f32_e32 v50, v53, v50
	s_waitcnt lgkmcnt(0)
	v_mul_f32_e32 v53, v61, v69
	v_fmac_f32_e32 v3, v61, v64
	v_fma_f32 v51, v60, v64, -v51
	v_add_f32_e32 v55, v0, v49
	v_mul_f32_e32 v54, v60, v69
	v_fma_f32 v0, v60, v68, -v53
	v_dual_add_f32 v58, v52, v3 :: v_dual_mul_f32 v3, v45, v65
	v_mul_f32_e32 v49, v44, v65
	v_mul_f32_e32 v52, v44, v69
	s_delay_alu instid0(VALU_DEP_4) | instskip(NEXT) | instid1(VALU_DEP_4)
	v_dual_add_f32 v59, v48, v0 :: v_dual_mul_f32 v0, v45, v69
	v_fma_f32 v3, v44, v64, -v3
	v_add_f32_e32 v56, v56, v51
	v_dual_fmac_f32 v54, v61, v68 :: v_dual_mul_f32 v61, v62, v67
	s_delay_alu instid0(VALU_DEP_4) | instskip(SKIP_4) | instid1(VALU_DEP_4)
	v_fma_f32 v0, v44, v68, -v0
	v_mul_f32_e32 v44, v63, v67
	v_mul_f32_e32 v53, v63, v71
	;; [unrolled: 1-line block ×3, first 2 shown]
	v_dual_fmac_f32 v61, v63, v66 :: v_dual_fmac_f32 v52, v45, v68
	v_fma_f32 v44, v62, v66, -v44
	v_dual_fmac_f32 v49, v45, v64 :: v_dual_add_f32 v60, v2, v3
	s_delay_alu instid0(VALU_DEP_3) | instskip(NEXT) | instid1(VALU_DEP_3)
	v_dual_add_f32 v69, v58, v61 :: v_dual_add_f32 v68, v55, v52
	v_add_f32_e32 v44, v56, v44
	v_fma_f32 v56, v62, v70, -v53
	v_mul_f32_e32 v62, v47, v67
	v_dual_mul_f32 v67, v46, v67 :: v_dual_add_f32 v64, v1, v49
	v_add_f32_e32 v45, v50, v0
	ds_load_2addr_b64 v[0:3], v72 offset0:128 offset1:160
	ds_load_b128 v[48:51], v39 offset:224
	v_fma_f32 v61, v46, v66, -v62
	v_fmac_f32_e32 v67, v47, v66
	v_mul_f32_e32 v66, v47, v71
	v_mul_f32_e32 v71, v46, v71
	s_delay_alu instid0(VALU_DEP_3) | instskip(NEXT) | instid1(VALU_DEP_3)
	v_dual_fmac_f32 v65, v63, v70 :: v_dual_add_f32 v64, v64, v67
	v_fma_f32 v46, v46, v70, -v66
	s_delay_alu instid0(VALU_DEP_3) | instskip(NEXT) | instid1(VALU_DEP_1)
	v_fmac_f32_e32 v71, v47, v70
	v_dual_add_f32 v67, v45, v46 :: v_dual_add_f32 v68, v68, v71
	v_dual_add_f32 v57, v74, v75 :: v_dual_add_f32 v74, v59, v56
	s_delay_alu instid0(VALU_DEP_1) | instskip(SKIP_4) | instid1(VALU_DEP_2)
	v_add_f32_e32 v57, v57, v54
	ds_load_2addr_b64 v[52:55], v73 offset0:128 offset1:160
	s_waitcnt lgkmcnt(1)
	v_mul_f32_e32 v76, v49, v1
	v_mul_f32_e32 v66, v48, v1
	v_fma_f32 v47, v48, v0, -v76
	s_delay_alu instid0(VALU_DEP_2) | instskip(NEXT) | instid1(VALU_DEP_2)
	v_fmac_f32_e32 v66, v49, v0
	v_add_f32_e32 v70, v44, v47
	s_delay_alu instid0(VALU_DEP_2) | instskip(SKIP_3) | instid1(VALU_DEP_2)
	v_add_f32_e32 v76, v69, v66
	s_waitcnt lgkmcnt(0)
	v_mul_f32_e32 v45, v49, v53
	v_mul_f32_e32 v71, v48, v53
	v_fma_f32 v48, v48, v52, -v45
	ds_load_b128 v[44:47], v39 offset:4336
	v_add_f32_e32 v65, v57, v65
	ds_load_b128 v[56:59], v39 offset:4320
	v_add_f32_e32 v75, v60, v61
	ds_load_b128 v[60:63], v39 offset:240
	v_fmac_f32_e32 v71, v49, v52
	v_add_f32_e32 v48, v74, v48
	s_delay_alu instid0(VALU_DEP_2) | instskip(SKIP_4) | instid1(VALU_DEP_3)
	v_add_f32_e32 v74, v65, v71
	s_waitcnt lgkmcnt(1)
	v_mul_f32_e32 v66, v57, v1
	v_mul_f32_e32 v1, v56, v1
	;; [unrolled: 1-line block ×3, first 2 shown]
	v_fma_f32 v66, v56, v0, -v66
	s_delay_alu instid0(VALU_DEP_3) | instskip(NEXT) | instid1(VALU_DEP_3)
	v_dual_fmac_f32 v1, v57, v0 :: v_dual_mul_f32 v0, v56, v53
	v_fma_f32 v49, v56, v52, -v49
	v_mul_f32_e32 v56, v51, v3
	s_delay_alu instid0(VALU_DEP_4) | instskip(NEXT) | instid1(VALU_DEP_4)
	v_add_f32_e32 v53, v75, v66
	v_dual_add_f32 v1, v64, v1 :: v_dual_fmac_f32 v0, v57, v52
	s_delay_alu instid0(VALU_DEP_4) | instskip(NEXT) | instid1(VALU_DEP_4)
	v_add_f32_e32 v49, v67, v49
	v_fma_f32 v56, v50, v2, -v56
	ds_load_2addr_b64 v[64:67], v72 offset0:192 offset1:224
	v_dual_mul_f32 v57, v51, v55 :: v_dual_add_f32 v0, v68, v0
	v_mul_f32_e32 v52, v50, v3
	v_add_f32_e32 v56, v70, v56
	ds_load_2addr_b64 v[68:71], v73 offset0:192 offset1:224
	v_mul_f32_e32 v72, v50, v55
	v_fma_f32 v50, v50, v54, -v57
	v_mul_f32_e32 v57, v59, v3
	v_dual_fmac_f32 v52, v51, v2 :: v_dual_mul_f32 v3, v58, v3
	s_delay_alu instid0(VALU_DEP_4) | instskip(NEXT) | instid1(VALU_DEP_4)
	v_fmac_f32_e32 v72, v51, v54
	v_add_f32_e32 v48, v48, v50
	s_delay_alu instid0(VALU_DEP_4) | instskip(SKIP_3) | instid1(VALU_DEP_4)
	v_fma_f32 v50, v58, v2, -v57
	v_mul_f32_e32 v51, v59, v55
	v_fmac_f32_e32 v3, v59, v2
	v_dual_mul_f32 v55, v58, v55 :: v_dual_add_f32 v52, v76, v52
	v_add_f32_e32 v2, v53, v50
	s_delay_alu instid0(VALU_DEP_4)
	v_fma_f32 v50, v58, v54, -v51
	s_waitcnt lgkmcnt(1)
	v_mul_f32_e32 v51, v61, v65
	v_fmac_f32_e32 v55, v59, v54
	v_add_f32_e32 v1, v1, v3
	v_mul_f32_e32 v3, v60, v65
	v_add_f32_e32 v49, v49, v50
	v_fma_f32 v50, v60, v64, -v51
	s_waitcnt lgkmcnt(0)
	v_mul_f32_e32 v51, v61, v69
	v_mul_f32_e32 v54, v45, v65
	v_dual_fmac_f32 v3, v61, v64 :: v_dual_add_f32 v0, v0, v55
	v_mul_f32_e32 v55, v62, v67
	s_delay_alu instid0(VALU_DEP_4) | instskip(NEXT) | instid1(VALU_DEP_4)
	v_fma_f32 v51, v60, v68, -v51
	v_fma_f32 v54, v44, v64, -v54
	s_delay_alu instid0(VALU_DEP_4)
	v_add_f32_e32 v3, v52, v3
	v_mul_f32_e32 v52, v44, v65
	v_mul_f32_e32 v53, v60, v69
	v_dual_add_f32 v48, v48, v51 :: v_dual_mul_f32 v51, v45, v69
	v_add_f32_e32 v2, v2, v54
	v_mul_f32_e32 v54, v44, v69
	v_add_f32_e32 v50, v56, v50
	v_fmac_f32_e32 v52, v45, v64
	v_fma_f32 v44, v44, v68, -v51
	s_delay_alu instid0(VALU_DEP_4) | instskip(SKIP_2) | instid1(VALU_DEP_4)
	v_dual_mul_f32 v51, v63, v67 :: v_dual_fmac_f32 v54, v45, v68
	v_fmac_f32_e32 v55, v63, v66
	v_add_f32_e32 v57, v74, v72
	v_add_f32_e32 v44, v49, v44
	s_delay_alu instid0(VALU_DEP_4)
	v_fma_f32 v45, v62, v66, -v51
	v_mul_f32_e32 v49, v63, v71
	v_fmac_f32_e32 v53, v61, v68
	v_dual_add_f32 v1, v1, v52 :: v_dual_mul_f32 v52, v62, v71
	v_add_f32_e32 v0, v0, v54
	v_dual_add_f32 v50, v50, v45 :: v_dual_add_f32 v51, v3, v55
	v_fma_f32 v3, v62, v70, -v49
	v_mul_f32_e32 v45, v47, v67
	v_mul_f32_e32 v54, v46, v67
	v_mul_f32_e32 v49, v47, v71
	v_mul_f32_e32 v55, v46, v71
	v_dual_add_f32 v53, v57, v53 :: v_dual_fmac_f32 v52, v63, v70
	s_delay_alu instid0(VALU_DEP_4)
	v_fmac_f32_e32 v54, v47, v66
	v_add_f32_e32 v48, v48, v3
	v_fma_f32 v3, v46, v66, -v45
	v_fma_f32 v45, v46, v70, -v49
	v_fmac_f32_e32 v55, v47, v70
	v_add_f32_e32 v49, v53, v52
	s_delay_alu instid0(VALU_DEP_4) | instskip(NEXT) | instid1(VALU_DEP_4)
	v_dual_add_f32 v47, v1, v54 :: v_dual_add_f32 v46, v2, v3
	v_add_f32_e32 v45, v44, v45
	s_delay_alu instid0(VALU_DEP_4)
	v_add_f32_e32 v44, v0, v55
	s_barrier
	buffer_gl0_inv
	s_cbranch_scc1 .LBB84_55
.LBB84_7:                               ;   Parent Loop BB84_4 Depth=1
                                        ; =>  This Inner Loop Header: Depth=2
	v_add_co_u32 v0, s5, v10, s28
	s_delay_alu instid0(VALU_DEP_1) | instskip(SKIP_1) | instid1(VALU_DEP_2)
	v_add_co_ci_u32_e64 v1, s5, s29, v11, s5
	v_cmp_eq_u64_e64 s7, s[28:29], v[20:21]
	v_cmp_lt_i64_e64 s5, v[0:1], v[16:17]
	v_cmp_le_i64_e64 s6, s[10:11], v[0:1]
	s_delay_alu instid0(VALU_DEP_3) | instskip(SKIP_1) | instid1(VALU_DEP_3)
	s_and_b32 s41, s38, s7
	v_add_co_u32 v2, s7, v22, v28
	s_or_b32 s8, s3, s5
	v_add_co_ci_u32_e64 v3, s7, v23, v29, s7
	s_delay_alu instid0(VALU_DEP_3) | instskip(NEXT) | instid1(SALU_CYCLE_1)
	s_or_b32 s8, s6, s8
	s_or_b32 s7, s8, s41
	s_delay_alu instid0(SALU_CYCLE_1) | instskip(NEXT) | instid1(SALU_CYCLE_1)
	s_xor_b32 s7, s7, -1
	s_and_saveexec_b32 s8, s7
	s_delay_alu instid0(SALU_CYCLE_1)
	s_xor_b32 s7, exec_lo, s8
	s_cbranch_execz .LBB84_9
; %bb.8:                                ;   in Loop: Header=BB84_7 Depth=2
	global_load_b64 v[52:53], v[2:3], off
	s_waitcnt vmcnt(0)
	ds_store_b64 v40, v[52:53]
.LBB84_9:                               ;   in Loop: Header=BB84_7 Depth=2
	s_or_saveexec_b32 s7, s7
	s_xor_b32 s40, s41, -1
	s_xor_b32 exec_lo, exec_lo, s7
	s_cbranch_execz .LBB84_15
; %bb.10:                               ;   in Loop: Header=BB84_7 Depth=2
	s_and_saveexec_b32 s8, s40
	s_delay_alu instid0(SALU_CYCLE_1)
	s_xor_b32 s8, exec_lo, s8
	s_cbranch_execz .LBB84_12
; %bb.11:                               ;   in Loop: Header=BB84_7 Depth=2
	v_mov_b32_e32 v52, v15
	v_mov_b32_e32 v53, v15
	ds_store_b64 v40, v[52:53]
.LBB84_12:                              ;   in Loop: Header=BB84_7 Depth=2
	s_and_not1_saveexec_b32 s8, s8
	s_cbranch_execz .LBB84_14
; %bb.13:                               ;   in Loop: Header=BB84_7 Depth=2
	ds_store_b64 v40, v[14:15]
.LBB84_14:                              ;   in Loop: Header=BB84_7 Depth=2
	s_or_b32 exec_lo, exec_lo, s8
.LBB84_15:                              ;   in Loop: Header=BB84_7 Depth=2
	s_delay_alu instid0(SALU_CYCLE_1) | instskip(SKIP_1) | instid1(VALU_DEP_1)
	s_or_b32 exec_lo, exec_lo, s7
	v_add_co_u32 v52, s7, v0, 16
	v_add_co_ci_u32_e64 v53, s7, 0, v1, s7
	v_cmp_eq_u64_e64 s9, s[28:29], v[34:35]
	s_delay_alu instid0(VALU_DEP_2) | instskip(SKIP_1) | instid1(VALU_DEP_3)
	v_cmp_lt_i64_e64 s8, v[52:53], v[16:17]
	v_cmp_le_i64_e64 s7, s[10:11], v[52:53]
	s_and_b32 s9, s38, s9
	s_delay_alu instid0(VALU_DEP_2)
	s_or_b32 s8, s3, s8
	s_delay_alu instid0(VALU_DEP_1) | instid1(SALU_CYCLE_1)
	s_or_b32 s8, s7, s8
	s_delay_alu instid0(SALU_CYCLE_1) | instskip(NEXT) | instid1(SALU_CYCLE_1)
	s_or_b32 s8, s8, s9
	s_xor_b32 s8, s8, -1
	s_delay_alu instid0(SALU_CYCLE_1) | instskip(NEXT) | instid1(SALU_CYCLE_1)
	s_and_saveexec_b32 s42, s8
	s_xor_b32 s8, exec_lo, s42
	s_cbranch_execz .LBB84_17
; %bb.16:                               ;   in Loop: Header=BB84_7 Depth=2
	global_load_b64 v[2:3], v[2:3], off offset:128
	s_waitcnt vmcnt(0)
	ds_store_b64 v40, v[2:3] offset:128
.LBB84_17:                              ;   in Loop: Header=BB84_7 Depth=2
	s_and_not1_saveexec_b32 s8, s8
	s_cbranch_execz .LBB84_23
; %bb.18:                               ;   in Loop: Header=BB84_7 Depth=2
	s_xor_b32 s9, s9, -1
	s_delay_alu instid0(SALU_CYCLE_1) | instskip(NEXT) | instid1(SALU_CYCLE_1)
	s_and_saveexec_b32 s42, s9
	s_xor_b32 s9, exec_lo, s42
	s_cbranch_execz .LBB84_20
; %bb.19:                               ;   in Loop: Header=BB84_7 Depth=2
	v_mov_b32_e32 v2, v15
	v_mov_b32_e32 v3, v15
	ds_store_b64 v40, v[2:3] offset:128
.LBB84_20:                              ;   in Loop: Header=BB84_7 Depth=2
	s_and_not1_saveexec_b32 s9, s9
	s_cbranch_execz .LBB84_22
; %bb.21:                               ;   in Loop: Header=BB84_7 Depth=2
	ds_store_b64 v40, v[14:15] offset:128
.LBB84_22:                              ;   in Loop: Header=BB84_7 Depth=2
	s_or_b32 exec_lo, exec_lo, s9
.LBB84_23:                              ;   in Loop: Header=BB84_7 Depth=2
	s_delay_alu instid0(SALU_CYCLE_1) | instskip(SKIP_2) | instid1(VALU_DEP_2)
	s_or_b32 exec_lo, exec_lo, s8
	v_cmp_eq_u64_e64 s8, s[28:29], v[32:33]
	v_cmp_lt_i64_e64 s9, v[0:1], v[30:31]
	s_and_b32 s8, s38, s8
	s_delay_alu instid0(VALU_DEP_1) | instskip(NEXT) | instid1(SALU_CYCLE_1)
	s_or_b32 s9, s4, s9
	s_or_b32 s9, s9, s8
	s_delay_alu instid0(SALU_CYCLE_1) | instskip(NEXT) | instid1(SALU_CYCLE_1)
	s_or_b32 s6, s6, s9
	s_xor_b32 s6, s6, -1
	s_delay_alu instid0(SALU_CYCLE_1) | instskip(NEXT) | instid1(SALU_CYCLE_1)
	s_and_saveexec_b32 s9, s6
	s_xor_b32 s9, exec_lo, s9
	s_cbranch_execz .LBB84_25
; %bb.24:                               ;   in Loop: Header=BB84_7 Depth=2
	v_add_co_u32 v0, s6, v24, v28
	s_delay_alu instid0(VALU_DEP_1)
	v_add_co_ci_u32_e64 v1, s6, v25, v29, s6
	global_load_b64 v[0:1], v[0:1], off
	s_waitcnt vmcnt(0)
	ds_store_b64 v40, v[0:1] offset:4096
.LBB84_25:                              ;   in Loop: Header=BB84_7 Depth=2
	s_and_not1_saveexec_b32 s6, s9
	s_cbranch_execz .LBB84_31
; %bb.26:                               ;   in Loop: Header=BB84_7 Depth=2
	s_xor_b32 s8, s8, -1
	s_delay_alu instid0(SALU_CYCLE_1) | instskip(NEXT) | instid1(SALU_CYCLE_1)
	s_and_saveexec_b32 s9, s8
	s_xor_b32 s8, exec_lo, s9
	s_cbranch_execz .LBB84_28
; %bb.27:                               ;   in Loop: Header=BB84_7 Depth=2
	v_mov_b32_e32 v0, v15
	v_mov_b32_e32 v1, v15
	ds_store_b64 v40, v[0:1] offset:4096
.LBB84_28:                              ;   in Loop: Header=BB84_7 Depth=2
	s_and_not1_saveexec_b32 s8, s8
	s_cbranch_execz .LBB84_30
; %bb.29:                               ;   in Loop: Header=BB84_7 Depth=2
	ds_store_b64 v40, v[14:15] offset:4096
.LBB84_30:                              ;   in Loop: Header=BB84_7 Depth=2
	s_or_b32 exec_lo, exec_lo, s8
.LBB84_31:                              ;   in Loop: Header=BB84_7 Depth=2
	s_delay_alu instid0(SALU_CYCLE_1) | instskip(SKIP_1) | instid1(SALU_CYCLE_1)
	s_or_b32 exec_lo, exec_lo, s6
	s_or_b32 s5, s4, s5
	s_or_b32 s5, s7, s5
	s_delay_alu instid0(SALU_CYCLE_1) | instskip(NEXT) | instid1(SALU_CYCLE_1)
	s_or_b32 s5, s5, s41
	s_xor_b32 s5, s5, -1
	s_delay_alu instid0(SALU_CYCLE_1) | instskip(NEXT) | instid1(SALU_CYCLE_1)
	s_and_saveexec_b32 s6, s5
	s_xor_b32 s6, exec_lo, s6
	s_cbranch_execz .LBB84_33
; %bb.32:                               ;   in Loop: Header=BB84_7 Depth=2
	v_add_co_u32 v0, s5, v24, v28
	s_delay_alu instid0(VALU_DEP_1)
	v_add_co_ci_u32_e64 v1, s5, v25, v29, s5
	global_load_b64 v[0:1], v[0:1], off offset:128
	s_waitcnt vmcnt(0)
	ds_store_b64 v40, v[0:1] offset:4224
.LBB84_33:                              ;   in Loop: Header=BB84_7 Depth=2
	s_and_not1_saveexec_b32 s5, s6
	s_cbranch_execz .LBB84_39
; %bb.34:                               ;   in Loop: Header=BB84_7 Depth=2
	s_and_saveexec_b32 s6, s40
	s_delay_alu instid0(SALU_CYCLE_1)
	s_xor_b32 s6, exec_lo, s6
	s_cbranch_execz .LBB84_36
; %bb.35:                               ;   in Loop: Header=BB84_7 Depth=2
	v_mov_b32_e32 v0, v15
	v_mov_b32_e32 v1, v15
	ds_store_b64 v40, v[0:1] offset:4224
.LBB84_36:                              ;   in Loop: Header=BB84_7 Depth=2
	s_and_not1_saveexec_b32 s6, s6
	s_cbranch_execz .LBB84_38
; %bb.37:                               ;   in Loop: Header=BB84_7 Depth=2
	ds_store_b64 v40, v[14:15] offset:4224
.LBB84_38:                              ;   in Loop: Header=BB84_7 Depth=2
	s_or_b32 exec_lo, exec_lo, s6
.LBB84_39:                              ;   in Loop: Header=BB84_7 Depth=2
	s_delay_alu instid0(SALU_CYCLE_1) | instskip(SKIP_1) | instid1(VALU_DEP_1)
	s_or_b32 exec_lo, exec_lo, s5
	v_add_co_u32 v0, s5, v12, s28
	v_add_co_ci_u32_e64 v1, s5, s29, v13, s5
	v_add_co_u32 v2, s6, v36, v18
	s_delay_alu instid0(VALU_DEP_1) | instskip(NEXT) | instid1(VALU_DEP_3)
	v_add_co_ci_u32_e64 v3, s6, v37, v19, s6
	v_cmp_le_i64_e64 s5, s[10:11], v[0:1]
	s_delay_alu instid0(VALU_DEP_1) | instskip(NEXT) | instid1(SALU_CYCLE_1)
	s_or_b32 s6, s5, vcc_lo
	s_xor_b32 s6, s6, -1
	s_delay_alu instid0(SALU_CYCLE_1) | instskip(NEXT) | instid1(SALU_CYCLE_1)
	s_and_saveexec_b32 s7, s6
	s_xor_b32 s6, exec_lo, s7
	s_cbranch_execz .LBB84_41
; %bb.40:                               ;   in Loop: Header=BB84_7 Depth=2
	global_load_b64 v[52:53], v[2:3], off offset:-128
	s_waitcnt vmcnt(0)
	ds_store_b64 v42, v[52:53]
.LBB84_41:                              ;   in Loop: Header=BB84_7 Depth=2
	s_and_not1_saveexec_b32 s6, s6
	s_cbranch_execz .LBB84_43
; %bb.42:                               ;   in Loop: Header=BB84_7 Depth=2
	v_mov_b32_e32 v52, v15
	v_mov_b32_e32 v53, v15
	ds_store_b64 v42, v[52:53]
.LBB84_43:                              ;   in Loop: Header=BB84_7 Depth=2
	s_or_b32 exec_lo, exec_lo, s6
	s_or_b32 s5, s5, s0
	s_delay_alu instid0(SALU_CYCLE_1) | instskip(NEXT) | instid1(SALU_CYCLE_1)
	s_xor_b32 s5, s5, -1
	s_and_saveexec_b32 s6, s5
	s_delay_alu instid0(SALU_CYCLE_1)
	s_xor_b32 s5, exec_lo, s6
	s_cbranch_execz .LBB84_45
; %bb.44:                               ;   in Loop: Header=BB84_7 Depth=2
	global_load_b64 v[2:3], v[2:3], off
	s_waitcnt vmcnt(0)
	ds_store_b64 v42, v[2:3] offset:128
.LBB84_45:                              ;   in Loop: Header=BB84_7 Depth=2
	s_and_not1_saveexec_b32 s5, s5
	s_cbranch_execz .LBB84_47
; %bb.46:                               ;   in Loop: Header=BB84_7 Depth=2
	v_mov_b32_e32 v2, v15
	v_mov_b32_e32 v3, v15
	ds_store_b64 v42, v[2:3] offset:128
.LBB84_47:                              ;   in Loop: Header=BB84_7 Depth=2
	s_or_b32 exec_lo, exec_lo, s5
	v_cmp_le_i64_e64 s5, s[18:19], v[0:1]
	s_delay_alu instid0(VALU_DEP_1) | instskip(NEXT) | instid1(SALU_CYCLE_1)
	s_or_b32 s6, s5, vcc_lo
	s_xor_b32 s6, s6, -1
	s_delay_alu instid0(SALU_CYCLE_1) | instskip(NEXT) | instid1(SALU_CYCLE_1)
	s_and_saveexec_b32 s7, s6
	s_xor_b32 s7, exec_lo, s7
	s_cbranch_execz .LBB84_49
; %bb.48:                               ;   in Loop: Header=BB84_7 Depth=2
	v_add_co_u32 v0, s6, v36, v26
	s_delay_alu instid0(VALU_DEP_1)
	v_add_co_ci_u32_e64 v1, s6, v37, v27, s6
	global_load_b64 v[0:1], v[0:1], off offset:-128
	s_waitcnt vmcnt(0)
	ds_store_b64 v42, v[0:1] offset:4096
.LBB84_49:                              ;   in Loop: Header=BB84_7 Depth=2
	s_and_not1_saveexec_b32 s6, s7
	s_cbranch_execz .LBB84_51
; %bb.50:                               ;   in Loop: Header=BB84_7 Depth=2
	v_mov_b32_e32 v0, v15
	v_mov_b32_e32 v1, v15
	ds_store_b64 v42, v[0:1] offset:4096
.LBB84_51:                              ;   in Loop: Header=BB84_7 Depth=2
	s_or_b32 exec_lo, exec_lo, s6
	s_or_b32 s5, s5, s0
	s_delay_alu instid0(SALU_CYCLE_1) | instskip(NEXT) | instid1(SALU_CYCLE_1)
	s_xor_b32 s5, s5, -1
	s_and_saveexec_b32 s6, s5
	s_delay_alu instid0(SALU_CYCLE_1)
	s_xor_b32 s6, exec_lo, s6
	s_cbranch_execz .LBB84_53
; %bb.52:                               ;   in Loop: Header=BB84_7 Depth=2
	v_add_co_u32 v0, s5, v36, v26
	s_delay_alu instid0(VALU_DEP_1)
	v_add_co_ci_u32_e64 v1, s5, v37, v27, s5
	global_load_b64 v[0:1], v[0:1], off
	s_waitcnt vmcnt(0)
	ds_store_b64 v42, v[0:1] offset:4224
.LBB84_53:                              ;   in Loop: Header=BB84_7 Depth=2
	s_and_not1_saveexec_b32 s5, s6
	s_cbranch_execz .LBB84_6
; %bb.54:                               ;   in Loop: Header=BB84_7 Depth=2
	v_mov_b32_e32 v0, v15
	v_mov_b32_e32 v1, v15
	ds_store_b64 v42, v[0:1] offset:4224
	s_branch .LBB84_6
.LBB84_55:                              ;   in Loop: Header=BB84_4 Depth=1
	v_mul_lo_u32 v2, v17, s16
	v_mul_lo_u32 v3, v16, s17
	v_mad_u64_u32 v[0:1], null, v16, s16, 0
	v_cmp_gt_i32_e64 s3, s10, v16
	s_delay_alu instid0(VALU_DEP_2) | instskip(NEXT) | instid1(VALU_DEP_1)
	v_add3_u32 v1, v1, v3, v2
	v_lshlrev_b64 v[0:1], 3, v[0:1]
	s_delay_alu instid0(VALU_DEP_1) | instskip(NEXT) | instid1(VALU_DEP_1)
	v_add_co_u32 v0, s4, s30, v0
	v_add_co_ci_u32_e64 v1, s4, s31, v1, s4
	s_and_b32 s4, s1, s3
	s_delay_alu instid0(SALU_CYCLE_1)
	s_and_saveexec_b32 s5, s4
	s_cbranch_execz .LBB84_57
; %bb.56:                               ;   in Loop: Header=BB84_4 Depth=1
	v_add_co_u32 v2, s4, v0, v6
	s_delay_alu instid0(VALU_DEP_1) | instskip(SKIP_4) | instid1(VALU_DEP_1)
	v_add_co_ci_u32_e64 v3, s4, v1, v7, s4
	v_mul_f32_e32 v13, s34, v51
	global_load_b64 v[17:18], v[2:3], off
	v_fmac_f32_e32 v13, s35, v50
	s_waitcnt vmcnt(0)
	v_dual_mul_f32 v11, s35, v51 :: v_dual_add_f32 v18, v18, v13
	s_delay_alu instid0(VALU_DEP_1) | instskip(NEXT) | instid1(VALU_DEP_1)
	v_fma_f32 v11, v50, s34, -v11
	v_add_f32_e32 v17, v17, v11
	global_store_b64 v[2:3], v[17:18], off
.LBB84_57:                              ;   in Loop: Header=BB84_4 Depth=1
	s_or_b32 exec_lo, exec_lo, s5
	s_and_b32 s3, s2, s3
	s_delay_alu instid0(SALU_CYCLE_1)
	s_and_saveexec_b32 s4, s3
	s_cbranch_execz .LBB84_59
; %bb.58:                               ;   in Loop: Header=BB84_4 Depth=1
	v_lshlrev_b64 v[2:3], 3, v[4:5]
	v_mul_f32_e32 v11, s35, v49
	s_delay_alu instid0(VALU_DEP_1) | instskip(NEXT) | instid1(VALU_DEP_3)
	v_fma_f32 v11, v48, s34, -v11
	v_add_co_u32 v0, s3, v0, v2
	s_delay_alu instid0(VALU_DEP_1) | instskip(SKIP_3) | instid1(VALU_DEP_1)
	v_add_co_ci_u32_e64 v1, s3, v1, v3, s3
	global_load_b64 v[2:3], v[0:1], off
	s_waitcnt vmcnt(0)
	v_dual_mul_f32 v13, s34, v49 :: v_dual_add_f32 v2, v2, v11
	v_fmac_f32_e32 v13, s35, v48
	s_delay_alu instid0(VALU_DEP_1)
	v_add_f32_e32 v3, v3, v13
	global_store_b64 v[0:1], v[2:3], off
.LBB84_59:                              ;   in Loop: Header=BB84_4 Depth=1
	s_or_b32 exec_lo, exec_lo, s4
	v_add_nc_u32_e32 v2, 16, v16
	s_delay_alu instid0(VALU_DEP_1) | instskip(SKIP_3) | instid1(VALU_DEP_4)
	v_ashrrev_i32_e32 v3, 31, v2
	v_mul_lo_u32 v11, v2, s17
	v_mad_u64_u32 v[0:1], null, v2, s16, 0
	v_cmp_gt_i32_e64 s3, s10, v2
	v_mul_lo_u32 v3, v3, s16
	s_delay_alu instid0(VALU_DEP_1) | instskip(NEXT) | instid1(VALU_DEP_1)
	v_add3_u32 v1, v1, v11, v3
	v_lshlrev_b64 v[0:1], 3, v[0:1]
	s_delay_alu instid0(VALU_DEP_1) | instskip(NEXT) | instid1(VALU_DEP_1)
	v_add_co_u32 v0, s4, s30, v0
	v_add_co_ci_u32_e64 v1, s4, s31, v1, s4
	s_and_b32 s4, s1, s3
	s_delay_alu instid0(SALU_CYCLE_1)
	s_and_saveexec_b32 s5, s4
	s_cbranch_execz .LBB84_61
; %bb.60:                               ;   in Loop: Header=BB84_4 Depth=1
	v_add_co_u32 v2, s4, v0, v6
	s_delay_alu instid0(VALU_DEP_1)
	v_add_co_ci_u32_e64 v3, s4, v1, v7, s4
	v_mul_f32_e32 v11, s35, v47
	v_mul_f32_e32 v13, s34, v47
	global_load_b64 v[16:17], v[2:3], off
	v_fma_f32 v11, v46, s34, -v11
	s_waitcnt vmcnt(0)
	s_delay_alu instid0(VALU_DEP_1) | instskip(NEXT) | instid1(VALU_DEP_1)
	v_dual_fmac_f32 v13, s35, v46 :: v_dual_add_f32 v16, v16, v11
	v_add_f32_e32 v17, v17, v13
	global_store_b64 v[2:3], v[16:17], off
.LBB84_61:                              ;   in Loop: Header=BB84_4 Depth=1
	s_or_b32 exec_lo, exec_lo, s5
	s_and_b32 s3, s2, s3
	s_delay_alu instid0(SALU_CYCLE_1)
	s_and_saveexec_b32 s4, s3
	s_cbranch_execz .LBB84_3
; %bb.62:                               ;   in Loop: Header=BB84_4 Depth=1
	v_lshlrev_b64 v[2:3], 3, v[4:5]
	v_mul_f32_e32 v11, s35, v44
	s_delay_alu instid0(VALU_DEP_1) | instskip(NEXT) | instid1(VALU_DEP_3)
	v_fma_f32 v11, v45, s34, -v11
	v_add_co_u32 v0, s3, v0, v2
	s_delay_alu instid0(VALU_DEP_1) | instskip(SKIP_3) | instid1(VALU_DEP_1)
	v_add_co_ci_u32_e64 v1, s3, v1, v3, s3
	global_load_b64 v[2:3], v[0:1], off
	s_waitcnt vmcnt(0)
	v_dual_mul_f32 v13, s34, v44 :: v_dual_add_f32 v2, v2, v11
	v_fmac_f32_e32 v13, s35, v45
	s_delay_alu instid0(VALU_DEP_1)
	v_add_f32_e32 v3, v3, v13
	global_store_b64 v[0:1], v[2:3], off
	s_branch .LBB84_3
.LBB84_63:
	s_nop 0
	s_sendmsg sendmsg(MSG_DEALLOC_VGPRS)
	s_endpgm
	.section	.rodata,"a",@progbits
	.p2align	6, 0x0
	.amdhsa_kernel _ZL30rocblas_trmm_outofplace_kernelI19rocblas_complex_numIfELi32ELi2ELb0ELb0ELb0ELb0EPKS1_S2_S1_Ev17rocblas_diagonal_iiT6_lPT7_lllS7_lllPT8_llli
		.amdhsa_group_segment_fixed_size 16384
		.amdhsa_private_segment_fixed_size 0
		.amdhsa_kernarg_size 392
		.amdhsa_user_sgpr_count 13
		.amdhsa_user_sgpr_dispatch_ptr 0
		.amdhsa_user_sgpr_queue_ptr 0
		.amdhsa_user_sgpr_kernarg_segment_ptr 1
		.amdhsa_user_sgpr_dispatch_id 0
		.amdhsa_user_sgpr_private_segment_size 0
		.amdhsa_wavefront_size32 1
		.amdhsa_uses_dynamic_stack 0
		.amdhsa_enable_private_segment 0
		.amdhsa_system_sgpr_workgroup_id_x 1
		.amdhsa_system_sgpr_workgroup_id_y 1
		.amdhsa_system_sgpr_workgroup_id_z 1
		.amdhsa_system_sgpr_workgroup_info 0
		.amdhsa_system_vgpr_workitem_id 1
		.amdhsa_next_free_vgpr 86
		.amdhsa_next_free_sgpr 45
		.amdhsa_reserve_vcc 1
		.amdhsa_float_round_mode_32 0
		.amdhsa_float_round_mode_16_64 0
		.amdhsa_float_denorm_mode_32 3
		.amdhsa_float_denorm_mode_16_64 3
		.amdhsa_dx10_clamp 1
		.amdhsa_ieee_mode 1
		.amdhsa_fp16_overflow 0
		.amdhsa_workgroup_processor_mode 1
		.amdhsa_memory_ordered 1
		.amdhsa_forward_progress 0
		.amdhsa_shared_vgpr_count 0
		.amdhsa_exception_fp_ieee_invalid_op 0
		.amdhsa_exception_fp_denorm_src 0
		.amdhsa_exception_fp_ieee_div_zero 0
		.amdhsa_exception_fp_ieee_overflow 0
		.amdhsa_exception_fp_ieee_underflow 0
		.amdhsa_exception_fp_ieee_inexact 0
		.amdhsa_exception_int_div_zero 0
	.end_amdhsa_kernel
	.section	.text._ZL30rocblas_trmm_outofplace_kernelI19rocblas_complex_numIfELi32ELi2ELb0ELb0ELb0ELb0EPKS1_S2_S1_Ev17rocblas_diagonal_iiT6_lPT7_lllS7_lllPT8_llli,"axG",@progbits,_ZL30rocblas_trmm_outofplace_kernelI19rocblas_complex_numIfELi32ELi2ELb0ELb0ELb0ELb0EPKS1_S2_S1_Ev17rocblas_diagonal_iiT6_lPT7_lllS7_lllPT8_llli,comdat
.Lfunc_end84:
	.size	_ZL30rocblas_trmm_outofplace_kernelI19rocblas_complex_numIfELi32ELi2ELb0ELb0ELb0ELb0EPKS1_S2_S1_Ev17rocblas_diagonal_iiT6_lPT7_lllS7_lllPT8_llli, .Lfunc_end84-_ZL30rocblas_trmm_outofplace_kernelI19rocblas_complex_numIfELi32ELi2ELb0ELb0ELb0ELb0EPKS1_S2_S1_Ev17rocblas_diagonal_iiT6_lPT7_lllS7_lllPT8_llli
                                        ; -- End function
	.section	.AMDGPU.csdata,"",@progbits
; Kernel info:
; codeLenInByte = 7448
; NumSgprs: 47
; NumVgprs: 86
; ScratchSize: 0
; MemoryBound: 1
; FloatMode: 240
; IeeeMode: 1
; LDSByteSize: 16384 bytes/workgroup (compile time only)
; SGPRBlocks: 5
; VGPRBlocks: 10
; NumSGPRsForWavesPerEU: 47
; NumVGPRsForWavesPerEU: 86
; Occupancy: 16
; WaveLimiterHint : 0
; COMPUTE_PGM_RSRC2:SCRATCH_EN: 0
; COMPUTE_PGM_RSRC2:USER_SGPR: 13
; COMPUTE_PGM_RSRC2:TRAP_HANDLER: 0
; COMPUTE_PGM_RSRC2:TGID_X_EN: 1
; COMPUTE_PGM_RSRC2:TGID_Y_EN: 1
; COMPUTE_PGM_RSRC2:TGID_Z_EN: 1
; COMPUTE_PGM_RSRC2:TIDIG_COMP_CNT: 1
	.section	.text._ZL30rocblas_trmm_outofplace_kernelI19rocblas_complex_numIfELi32ELi2ELb0ELb0ELb0ELb0ES1_KS1_S1_Ev17rocblas_diagonal_iiT6_lPT7_lllS6_lllPT8_llli,"axG",@progbits,_ZL30rocblas_trmm_outofplace_kernelI19rocblas_complex_numIfELi32ELi2ELb0ELb0ELb0ELb0ES1_KS1_S1_Ev17rocblas_diagonal_iiT6_lPT7_lllS6_lllPT8_llli,comdat
	.globl	_ZL30rocblas_trmm_outofplace_kernelI19rocblas_complex_numIfELi32ELi2ELb0ELb0ELb0ELb0ES1_KS1_S1_Ev17rocblas_diagonal_iiT6_lPT7_lllS6_lllPT8_llli ; -- Begin function _ZL30rocblas_trmm_outofplace_kernelI19rocblas_complex_numIfELi32ELi2ELb0ELb0ELb0ELb0ES1_KS1_S1_Ev17rocblas_diagonal_iiT6_lPT7_lllS6_lllPT8_llli
	.p2align	8
	.type	_ZL30rocblas_trmm_outofplace_kernelI19rocblas_complex_numIfELi32ELi2ELb0ELb0ELb0ELb0ES1_KS1_S1_Ev17rocblas_diagonal_iiT6_lPT7_lllS6_lllPT8_llli,@function
_ZL30rocblas_trmm_outofplace_kernelI19rocblas_complex_numIfELi32ELi2ELb0ELb0ELb0ELb0ES1_KS1_S1_Ev17rocblas_diagonal_iiT6_lPT7_lllS6_lllPT8_llli: ; @_ZL30rocblas_trmm_outofplace_kernelI19rocblas_complex_numIfELi32ELi2ELb0ELb0ELb0ELb0ES1_KS1_S1_Ev17rocblas_diagonal_iiT6_lPT7_lllS6_lllPT8_llli
; %bb.0:
	s_clause 0x1
	s_load_b128 s[8:11], s[0:1], 0x0
	s_load_b32 s33, s[0:1], 0x10
	s_waitcnt lgkmcnt(0)
	s_or_b32 s2, s11, s33
	s_delay_alu instid0(SALU_CYCLE_1) | instskip(NEXT) | instid1(SALU_CYCLE_1)
	s_bitset0_b32 s2, 31
	s_cmp_eq_u32 s2, 0
	s_cbranch_scc1 .LBB85_63
; %bb.1:
	s_add_i32 s2, s10, -1
	s_delay_alu instid0(SALU_CYCLE_1) | instskip(NEXT) | instid1(SALU_CYCLE_1)
	s_ashr_i32 s3, s2, 31
	s_lshr_b32 s3, s3, 27
	s_delay_alu instid0(SALU_CYCLE_1) | instskip(NEXT) | instid1(SALU_CYCLE_1)
	s_add_i32 s2, s2, s3
	s_ashr_i32 s34, s2, 5
	s_delay_alu instid0(SALU_CYCLE_1)
	s_cmp_gt_i32 s14, s34
	s_cbranch_scc1 .LBB85_63
; %bb.2:
	s_clause 0x2
	s_load_b512 s[16:31], s[0:1], 0x20
	s_load_b256 s[36:43], s[0:1], 0x60
	s_load_b32 s35, s[0:1], 0x8c
	v_dual_mov_b32 v15, 0 :: v_dual_and_b32 v10, 0x3ff, v0
	v_bfe_u32 v38, v0, 10, 10
	v_mov_b32_e32 v14, 1.0
	s_mov_b32 s12, s10
	s_delay_alu instid0(VALU_DEP_3) | instskip(SKIP_2) | instid1(VALU_DEP_3)
	v_lshl_add_u32 v0, s13, 5, v10
	v_lshlrev_b32_e32 v11, 3, v10
	v_lshlrev_b32_e32 v39, 8, v38
	v_ashrrev_i32_e32 v1, 31, v0
	v_sub_co_u32 v2, vcc_lo, s9, v0
	s_delay_alu instid0(VALU_DEP_4) | instskip(SKIP_1) | instid1(VALU_DEP_4)
	v_or_b32_e32 v41, 0x2000, v11
	v_add_nc_u32_e32 v4, 16, v0
	v_lshlrev_b64 v[6:7], 3, v[0:1]
	v_add_nc_u32_e32 v40, v39, v11
	s_waitcnt lgkmcnt(0)
	s_mul_i32 s1, s15, s31
	s_mul_hi_u32 s2, s15, s30
	s_mul_i32 s0, s15, s30
	s_add_i32 s1, s2, s1
	s_mul_i32 s3, s15, s43
	s_lshl_b64 s[0:1], s[0:1], 3
	s_mul_hi_u32 s4, s15, s42
	s_add_u32 s5, s24, s0
	s_addc_u32 s6, s25, s1
	s_lshl_b64 s[0:1], s[26:27], 3
	s_mul_i32 s2, s15, s42
	s_add_u32 s5, s5, s0
	s_addc_u32 s6, s6, s1
	s_add_i32 s3, s4, s3
	s_mul_i32 s4, s23, s15
	s_lshl_b64 s[0:1], s[2:3], 3
	v_add_nc_u32_e32 v42, v41, v39
	s_add_u32 s2, s36, s0
	s_addc_u32 s3, s37, s1
	s_lshl_b64 s[0:1], s[38:39], 3
	v_ashrrev_i32_e32 v5, 31, v4
	s_add_u32 s36, s2, s0
	s_addc_u32 s37, s3, s1
	s_cmpk_eq_i32 s8, 0x84
	v_cmp_gt_i32_e64 s1, s9, v0
	s_cselect_b32 s38, -1, 0
	s_ashr_i32 s0, s9, 31
	s_ashr_i32 s13, s10, 31
	v_sub_co_ci_u32_e32 v3, vcc_lo, s0, v1, vcc_lo
	v_add_co_u32 v8, vcc_lo, s5, v6
	s_lshl_b64 s[24:25], s[28:29], 8
	s_mul_hi_u32 s5, s22, s15
	s_add_u32 s26, s10, -16
	s_addc_u32 s27, s13, -1
	s_add_i32 s5, s5, s4
	s_mul_i32 s4, s22, s15
	v_add_co_ci_u32_e32 v9, vcc_lo, s6, v7, vcc_lo
	s_lshl_b32 s3, s14, 5
	s_lshl_b64 s[4:5], s[4:5], 3
	s_lshl_b64 s[6:7], s[18:19], 3
	v_cmp_gt_i64_e32 vcc_lo, 1, v[2:3]
	v_cmp_gt_i64_e64 s0, 17, v[2:3]
	s_lshl_b32 s39, s35, 5
	s_lshl_b64 s[18:19], s[28:29], 3
	v_cmp_gt_i32_e64 s2, s9, v4
	v_add_nc_u32_e32 v43, 0x2080, v11
	v_add_nc_u32_e32 v10, s3, v10
	;; [unrolled: 1-line block ×3, first 2 shown]
	s_add_u32 s3, s4, s6
	s_addc_u32 s4, s5, s7
	s_add_u32 s16, s16, s3
	s_addc_u32 s17, s17, s4
	s_lshl_b64 s[22:23], s[20:21], 3
	s_branch .LBB85_4
.LBB85_3:                               ;   in Loop: Header=BB85_4 Depth=1
	s_or_b32 exec_lo, exec_lo, s4
	v_add_nc_u32_e32 v10, s39, v10
	v_add_nc_u32_e32 v12, s39, v12
	s_add_i32 s14, s35, s14
	s_delay_alu instid0(SALU_CYCLE_1)
	s_cmp_le_i32 s14, s34
	s_cbranch_scc0 .LBB85_63
.LBB85_4:                               ; =>This Loop Header: Depth=1
                                        ;     Child Loop BB85_7 Depth 2
	s_lshl_b32 s3, s14, 5
	v_ashrrev_i32_e32 v11, 31, v10
	v_dual_mov_b32 v51, v15 :: v_dual_add_nc_u32 v16, s3, v38
	v_ashrrev_i32_e32 v13, 31, v12
	v_mov_b32_e32 v50, v15
	v_mov_b32_e32 v48, v15
	s_delay_alu instid0(VALU_DEP_4)
	v_ashrrev_i32_e32 v17, 31, v16
	v_mov_b32_e32 v49, v15
	v_mov_b32_e32 v46, v15
	;; [unrolled: 1-line block ×5, first 2 shown]
	s_sub_i32 s15, s10, s3
	s_delay_alu instid0(SALU_CYCLE_1)
	s_cmp_lt_i32 s15, 1
	s_cbranch_scc1 .LBB85_55
; %bb.5:                                ;   in Loop: Header=BB85_4 Depth=1
	v_lshlrev_b64 v[0:1], 3, v[12:13]
	v_sub_co_u32 v20, s3, v12, v10
	s_delay_alu instid0(VALU_DEP_1) | instskip(SKIP_1) | instid1(VALU_DEP_4)
	v_sub_co_ci_u32_e64 v21, s3, v13, v11, s3
	v_mad_u64_u32 v[18:19], null, s18, v12, 0x80
	v_add_co_u32 v0, s3, 0x80, v0
	s_delay_alu instid0(VALU_DEP_1) | instskip(SKIP_2) | instid1(VALU_DEP_4)
	v_add_co_ci_u32_e64 v1, s3, 0, v1, s3
	v_mul_lo_u32 v2, s18, v13
	v_mul_lo_u32 v3, s19, v12
	;; [unrolled: 1-line block ×3, first 2 shown]
	s_delay_alu instid0(VALU_DEP_4)
	v_mul_lo_u32 v32, s20, v1
	v_mad_u64_u32 v[24:25], null, s20, v0, s[16:17]
	v_mul_lo_u32 v1, s28, v1
	v_mul_lo_u32 v34, s29, v0
	v_mad_u64_u32 v[26:27], null, s28, v0, 0x80
	v_add3_u32 v19, v3, v19, v2
	v_mad_u64_u32 v[22:23], null, s22, v12, s[16:17]
	v_mul_lo_u32 v2, s22, v13
	v_mul_lo_u32 v3, s23, v12
	v_add_co_u32 v30, s3, v16, 16
	s_delay_alu instid0(VALU_DEP_1) | instskip(SKIP_2) | instid1(VALU_DEP_1)
	v_add_co_ci_u32_e64 v31, s3, 0, v17, s3
	v_add3_u32 v25, v33, v25, v32
	v_add_co_u32 v32, s5, v20, 16
	v_add_co_ci_u32_e64 v33, s5, 0, v21, s5
	v_add3_u32 v27, v34, v27, v1
	v_add_co_u32 v34, s5, v20, -16
	v_lshlrev_b64 v[28:29], 3, v[10:11]
	v_cmp_le_i64_e64 s4, s[12:13], v[30:31]
	v_dual_mov_b32 v44, 0 :: v_dual_mov_b32 v37, v9
	v_add3_u32 v23, v3, v23, v2
	v_cmp_le_i32_e64 s3, s10, v16
	v_add_co_ci_u32_e64 v35, s5, -1, v21, s5
	v_dual_mov_b32 v36, v8 :: v_dual_mov_b32 v45, 0
	v_dual_mov_b32 v47, 0 :: v_dual_mov_b32 v46, 0
	;; [unrolled: 1-line block ×4, first 2 shown]
	s_mov_b64 s[30:31], 0
	s_branch .LBB85_7
.LBB85_6:                               ;   in Loop: Header=BB85_7 Depth=2
	s_or_b32 exec_lo, exec_lo, s5
	s_waitcnt lgkmcnt(0)
	s_waitcnt_vscnt null, 0x0
	s_barrier
	buffer_gl0_inv
	ds_load_2addr_b64 v[52:55], v41 offset1:32
	ds_load_b128 v[56:59], v39
	ds_load_2addr_b64 v[60:63], v43 offset1:32
	ds_load_b128 v[64:67], v39 offset:4096
	ds_load_b128 v[68:71], v39 offset:16
	;; [unrolled: 1-line block ×5, first 2 shown]
	v_add_co_u32 v36, s5, v36, s24
	s_delay_alu instid0(VALU_DEP_1) | instskip(SKIP_1) | instid1(VALU_DEP_1)
	v_add_co_ci_u32_e64 v37, s5, s25, v37, s5
	v_add_co_u32 v22, s5, 0x100, v22
	v_add_co_ci_u32_e64 v23, s5, 0, v23, s5
	v_add_co_u32 v24, s5, 0x100, v24
	s_delay_alu instid0(VALU_DEP_1)
	v_add_co_ci_u32_e64 v25, s5, 0, v25, s5
	s_add_u32 s30, s30, 32
	s_waitcnt lgkmcnt(6)
	v_mul_f32_e32 v80, v57, v53
	s_waitcnt lgkmcnt(5)
	v_mul_f32_e32 v82, v57, v61
	v_mul_f32_e32 v83, v56, v61
	s_waitcnt lgkmcnt(4)
	v_mul_f32_e32 v85, v65, v61
	v_mul_f32_e32 v61, v64, v61
	;; [unrolled: 1-line block ×3, first 2 shown]
	s_addc_u32 s31, s31, 0
	s_cmp_ge_i32 s30, s15
	s_delay_alu instid0(VALU_DEP_2) | instskip(NEXT) | instid1(VALU_DEP_1)
	v_fmac_f32_e32 v61, v65, v60
	v_dual_add_f32 v44, v44, v61 :: v_dual_mul_f32 v61, v59, v63
	v_fma_f32 v80, v56, v52, -v80
	s_delay_alu instid0(VALU_DEP_1) | instskip(NEXT) | instid1(VALU_DEP_1)
	v_dual_mul_f32 v81, v56, v53 :: v_dual_add_f32 v50, v50, v80
	v_fmac_f32_e32 v81, v57, v52
	v_fmac_f32_e32 v83, v57, v60
	v_mul_f32_e32 v53, v64, v53
	v_fma_f32 v57, v64, v52, -v84
	s_delay_alu instid0(VALU_DEP_3) | instskip(SKIP_3) | instid1(VALU_DEP_2)
	v_add_f32_e32 v80, v49, v83
	v_mul_f32_e32 v83, v67, v55
	v_fma_f32 v56, v56, v60, -v82
	v_dual_fmac_f32 v53, v65, v52 :: v_dual_mul_f32 v82, v58, v63
	v_add_f32_e32 v56, v48, v56
	v_fma_f32 v52, v64, v60, -v85
	v_mul_f32_e32 v60, v58, v55
	s_delay_alu instid0(VALU_DEP_2) | instskip(NEXT) | instid1(VALU_DEP_2)
	v_dual_fmac_f32 v82, v59, v62 :: v_dual_add_f32 v65, v45, v52
	v_fmac_f32_e32 v60, v59, v54
	v_add_f32_e32 v64, v51, v81
	v_dual_add_f32 v57, v46, v57 :: v_dual_mul_f32 v46, v59, v55
	v_mul_f32_e32 v55, v66, v55
	v_fma_f32 v59, v66, v54, -v83
	s_delay_alu instid0(VALU_DEP_4) | instskip(NEXT) | instid1(VALU_DEP_4)
	v_add_f32_e32 v60, v64, v60
	v_fma_f32 v49, v58, v54, -v46
	v_fma_f32 v58, v58, v62, -v61
	v_add_f32_e32 v53, v47, v53
	ds_load_2addr_b64 v[45:48], v41 offset0:64 offset1:96
	v_fmac_f32_e32 v55, v67, v54
	v_dual_add_f32 v81, v50, v49 :: v_dual_add_f32 v54, v57, v59
	ds_load_2addr_b64 v[49:52], v43 offset0:64 offset1:96
	v_dual_add_f32 v56, v56, v58 :: v_dual_add_f32 v53, v53, v55
	v_mul_f32_e32 v58, v67, v63
	s_delay_alu instid0(VALU_DEP_1) | instskip(NEXT) | instid1(VALU_DEP_1)
	v_fma_f32 v58, v66, v62, -v58
	v_dual_mul_f32 v57, v66, v63 :: v_dual_add_f32 v58, v65, v58
	s_waitcnt lgkmcnt(1)
	v_dual_mul_f32 v55, v68, v46 :: v_dual_mul_f32 v64, v79, v48
	s_delay_alu instid0(VALU_DEP_1) | instskip(NEXT) | instid1(VALU_DEP_1)
	v_fmac_f32_e32 v55, v69, v45
	v_add_f32_e32 v63, v60, v55
	v_mul_f32_e32 v55, v77, v46
	s_delay_alu instid0(VALU_DEP_1) | instskip(SKIP_3) | instid1(VALU_DEP_3)
	v_fma_f32 v55, v76, v45, -v55
	v_fmac_f32_e32 v57, v67, v62
	s_waitcnt lgkmcnt(0)
	v_mul_f32_e32 v67, v70, v52
	v_dual_add_f32 v66, v54, v55 :: v_dual_mul_f32 v59, v69, v46
	s_delay_alu instid0(VALU_DEP_3) | instskip(SKIP_4) | instid1(VALU_DEP_4)
	v_add_f32_e32 v44, v44, v57
	v_mul_f32_e32 v57, v68, v50
	v_mul_f32_e32 v46, v76, v46
	v_add_f32_e32 v61, v80, v82
	v_fma_f32 v59, v68, v45, -v59
	v_dual_mul_f32 v54, v71, v48 :: v_dual_fmac_f32 v57, v69, v49
	s_delay_alu instid0(VALU_DEP_4) | instskip(NEXT) | instid1(VALU_DEP_3)
	v_dual_fmac_f32 v46, v77, v45 :: v_dual_mul_f32 v45, v76, v50
	v_add_f32_e32 v59, v81, v59
	v_fmac_f32_e32 v67, v71, v51
	s_delay_alu instid0(VALU_DEP_4)
	v_add_f32_e32 v65, v61, v57
	v_fma_f32 v57, v70, v47, -v54
	v_mul_f32_e32 v62, v69, v50
	v_fmac_f32_e32 v45, v77, v49
	v_add_f32_e32 v46, v53, v46
	v_fma_f32 v69, v78, v47, -v64
	s_delay_alu instid0(VALU_DEP_3) | instskip(SKIP_2) | instid1(VALU_DEP_1)
	v_add_f32_e32 v44, v44, v45
	v_add_f32_e32 v45, v59, v57
	v_fma_f32 v62, v68, v49, -v62
	v_add_f32_e32 v62, v56, v62
	v_mul_f32_e32 v56, v77, v50
	s_delay_alu instid0(VALU_DEP_1)
	v_fma_f32 v50, v76, v49, -v56
	ds_load_2addr_b64 v[53:56], v41 offset0:128 offset1:160
	v_dual_add_f32 v49, v58, v50 :: v_dual_mul_f32 v58, v71, v52
	v_mul_f32_e32 v50, v70, v48
	v_dual_mul_f32 v48, v78, v48 :: v_dual_add_f32 v65, v65, v67
	v_mul_f32_e32 v67, v79, v52
	s_delay_alu instid0(VALU_DEP_4)
	v_fma_f32 v61, v70, v51, -v58
	ds_load_2addr_b64 v[57:60], v43 offset0:128 offset1:160
	v_fmac_f32_e32 v50, v71, v47
	v_dual_fmac_f32 v48, v79, v47 :: v_dual_mul_f32 v47, v78, v52
	v_add_f32_e32 v68, v62, v61
	v_add_f32_e32 v52, v66, v69
	s_delay_alu instid0(VALU_DEP_4)
	v_add_f32_e32 v50, v63, v50
	ds_load_b128 v[61:64], v39 offset:4128
	v_add_f32_e32 v48, v46, v48
	s_waitcnt lgkmcnt(2)
	v_mul_f32_e32 v66, v73, v54
	v_fma_f32 v67, v78, v51, -v67
	s_delay_alu instid0(VALU_DEP_2) | instskip(SKIP_1) | instid1(VALU_DEP_2)
	v_fma_f32 v46, v72, v53, -v66
	s_waitcnt lgkmcnt(1)
	v_dual_add_f32 v49, v49, v67 :: v_dual_mul_f32 v70, v72, v58
	v_dual_mul_f32 v66, v73, v58 :: v_dual_fmac_f32 v47, v79, v51
	s_delay_alu instid0(VALU_DEP_2) | instskip(NEXT) | instid1(VALU_DEP_2)
	v_dual_mul_f32 v51, v72, v54 :: v_dual_fmac_f32 v70, v73, v57
	v_fma_f32 v66, v72, v57, -v66
	s_delay_alu instid0(VALU_DEP_3) | instskip(NEXT) | instid1(VALU_DEP_3)
	v_add_f32_e32 v67, v44, v47
	v_fmac_f32_e32 v51, v73, v53
	v_add_f32_e32 v69, v45, v46
	ds_load_b128 v[44:47], v39 offset:4144
	s_waitcnt lgkmcnt(1)
	v_mul_f32_e32 v71, v62, v54
	v_add_f32_e32 v72, v50, v51
	v_mul_f32_e32 v50, v61, v54
	v_add_f32_e32 v54, v68, v66
	s_delay_alu instid0(VALU_DEP_4) | instskip(NEXT) | instid1(VALU_DEP_3)
	v_fma_f32 v51, v61, v53, -v71
	v_dual_mul_f32 v73, v64, v56 :: v_dual_fmac_f32 v50, v62, v53
	v_mul_f32_e32 v53, v61, v58
	v_add_f32_e32 v70, v65, v70
	s_delay_alu instid0(VALU_DEP_2) | instskip(SKIP_2) | instid1(VALU_DEP_3)
	v_dual_add_f32 v52, v52, v51 :: v_dual_fmac_f32 v53, v62, v57
	v_mul_f32_e32 v66, v62, v58
	v_mul_f32_e32 v58, v75, v56
	v_add_f32_e32 v53, v67, v53
	s_delay_alu instid0(VALU_DEP_3)
	v_fma_f32 v51, v61, v57, -v66
	v_add_f32_e32 v61, v48, v50
	v_mul_f32_e32 v57, v74, v56
	v_fma_f32 v58, v74, v55, -v58
	v_mul_f32_e32 v56, v63, v56
	v_add_f32_e32 v62, v49, v51
	ds_load_2addr_b64 v[48:51], v41 offset0:192 offset1:224
	v_dual_fmac_f32 v57, v75, v55 :: v_dual_add_f32 v58, v69, v58
	v_dual_mul_f32 v71, v75, v60 :: v_dual_fmac_f32 v56, v64, v55
	ds_load_2addr_b64 v[65:68], v43 offset0:192 offset1:224
	v_add_f32_e32 v57, v72, v57
	v_mul_f32_e32 v69, v74, v60
	v_fma_f32 v71, v74, v59, -v71
	v_add_f32_e32 v56, v61, v56
	s_delay_alu instid0(VALU_DEP_2) | instskip(SKIP_3) | instid1(VALU_DEP_3)
	v_add_f32_e32 v54, v54, v71
	v_fma_f32 v72, v63, v55, -v73
	v_fmac_f32_e32 v69, v75, v59
	v_mul_f32_e32 v55, v63, v60
	v_add_f32_e32 v52, v52, v72
	v_add_nc_u32_e32 v72, 0x800, v41
	s_delay_alu instid0(VALU_DEP_4) | instskip(SKIP_4) | instid1(VALU_DEP_2)
	v_add_f32_e32 v69, v70, v69
	s_waitcnt lgkmcnt(1)
	v_mul_f32_e32 v61, v0, v49
	s_waitcnt lgkmcnt(0)
	v_dual_fmac_f32 v55, v64, v59 :: v_dual_mul_f32 v74, v47, v68
	v_fmac_f32_e32 v61, v1, v48
	v_mul_f32_e32 v71, v64, v60
	s_delay_alu instid0(VALU_DEP_3) | instskip(NEXT) | instid1(VALU_DEP_3)
	v_add_f32_e32 v53, v53, v55
	v_dual_mul_f32 v55, v0, v66 :: v_dual_add_f32 v64, v57, v61
	s_delay_alu instid0(VALU_DEP_3) | instskip(SKIP_1) | instid1(VALU_DEP_3)
	v_fma_f32 v60, v63, v59, -v71
	v_mul_f32_e32 v63, v1, v49
	v_fmac_f32_e32 v55, v1, v65
	v_mul_f32_e32 v57, v45, v49
	v_mul_f32_e32 v61, v3, v68
	v_dual_add_f32 v59, v62, v60 :: v_dual_mul_f32 v62, v1, v66
	v_fma_f32 v60, v0, v48, -v63
	v_mul_f32_e32 v1, v44, v49
	s_delay_alu instid0(VALU_DEP_3) | instskip(NEXT) | instid1(VALU_DEP_3)
	v_fma_f32 v0, v0, v65, -v62
	v_dual_add_f32 v60, v58, v60 :: v_dual_mul_f32 v49, v45, v66
	s_delay_alu instid0(VALU_DEP_2) | instskip(SKIP_2) | instid1(VALU_DEP_1)
	v_add_f32_e32 v0, v54, v0
	v_fma_f32 v54, v44, v48, -v57
	v_dual_mul_f32 v57, v44, v66 :: v_dual_mul_f32 v66, v2, v51
	v_dual_fmac_f32 v57, v45, v65 :: v_dual_fmac_f32 v66, v3, v50
	s_delay_alu instid0(VALU_DEP_1) | instskip(SKIP_1) | instid1(VALU_DEP_1)
	v_add_f32_e32 v64, v64, v66
	v_mul_f32_e32 v66, v46, v51
	v_dual_fmac_f32 v66, v47, v50 :: v_dual_fmac_f32 v1, v45, v48
	v_dual_add_f32 v48, v69, v55 :: v_dual_mul_f32 v69, v2, v68
	v_mul_f32_e32 v68, v46, v68
	s_delay_alu instid0(VALU_DEP_1) | instskip(SKIP_1) | instid1(VALU_DEP_1)
	v_dual_fmac_f32 v68, v47, v67 :: v_dual_add_f32 v45, v56, v1
	v_mul_f32_e32 v1, v3, v51
	v_fma_f32 v1, v2, v50, -v1
	s_delay_alu instid0(VALU_DEP_1) | instskip(SKIP_3) | instid1(VALU_DEP_3)
	v_add_f32_e32 v70, v60, v1
	v_fma_f32 v44, v44, v65, -v49
	v_fma_f32 v1, v2, v67, -v61
	v_dual_mul_f32 v2, v47, v51 :: v_dual_add_f32 v49, v52, v54
	v_add_f32_e32 v44, v59, v44
	s_delay_alu instid0(VALU_DEP_2)
	v_fma_f32 v51, v46, v50, -v2
	v_fma_f32 v46, v46, v67, -v74
	v_add_f32_e32 v65, v53, v57
	ds_load_2addr_b64 v[52:55], v72 offset1:32
	ds_load_b128 v[56:59], v39 offset:64
	v_dual_add_f32 v74, v44, v46 :: v_dual_add_nc_u32 v73, 0x800, v43
	v_add_f32_e32 v68, v65, v68
	v_add_f32_e32 v66, v45, v66
	ds_load_2addr_b64 v[60:63], v73 offset1:32
	v_fmac_f32_e32 v69, v3, v67
	v_add_f32_e32 v71, v0, v1
	ds_load_b128 v[0:3], v39 offset:4160
	s_waitcnt lgkmcnt(2)
	v_mul_f32_e32 v76, v57, v53
	v_add_f32_e32 v75, v49, v51
	v_mul_f32_e32 v67, v56, v53
	s_delay_alu instid0(VALU_DEP_3) | instskip(SKIP_2) | instid1(VALU_DEP_2)
	v_fma_f32 v45, v56, v52, -v76
	s_waitcnt lgkmcnt(1)
	v_mul_f32_e32 v44, v57, v61
	v_dual_fmac_f32 v67, v57, v52 :: v_dual_add_f32 v70, v70, v45
	v_mul_f32_e32 v65, v56, v61
	s_delay_alu instid0(VALU_DEP_3)
	v_fma_f32 v56, v56, v60, -v44
	v_add_f32_e32 v69, v48, v69
	ds_load_b128 v[48:51], v39 offset:80
	s_waitcnt lgkmcnt(1)
	v_mul_f32_e32 v76, v1, v53
	v_mul_f32_e32 v53, v0, v53
	v_fmac_f32_e32 v65, v57, v60
	ds_load_b128 v[44:47], v39 offset:4176
	v_fma_f32 v57, v0, v52, -v76
	v_dual_fmac_f32 v53, v1, v52 :: v_dual_mul_f32 v52, v0, v61
	s_delay_alu instid0(VALU_DEP_1) | instskip(SKIP_2) | instid1(VALU_DEP_3)
	v_fmac_f32_e32 v52, v1, v60
	v_dual_add_f32 v56, v71, v56 :: v_dual_add_f32 v77, v64, v67
	v_dual_mul_f32 v64, v1, v61 :: v_dual_mul_f32 v61, v59, v55
	v_dual_add_f32 v57, v75, v57 :: v_dual_add_f32 v52, v68, v52
	s_delay_alu instid0(VALU_DEP_2) | instskip(NEXT) | instid1(VALU_DEP_3)
	v_fma_f32 v0, v0, v60, -v64
	v_fma_f32 v60, v58, v54, -v61
	s_delay_alu instid0(VALU_DEP_2) | instskip(SKIP_1) | instid1(VALU_DEP_3)
	v_add_f32_e32 v0, v74, v0
	v_mul_f32_e32 v74, v58, v63
	v_add_f32_e32 v60, v70, v60
	s_delay_alu instid0(VALU_DEP_2)
	v_dual_mul_f32 v1, v58, v55 :: v_dual_fmac_f32 v74, v59, v62
	v_add_f32_e32 v76, v69, v65
	ds_load_2addr_b64 v[68:71], v73 offset0:64 offset1:96
	v_mul_f32_e32 v61, v59, v63
	v_mul_f32_e32 v75, v3, v55
	v_fmac_f32_e32 v1, v59, v54
	s_delay_alu instid0(VALU_DEP_3) | instskip(NEXT) | instid1(VALU_DEP_3)
	v_fma_f32 v58, v58, v62, -v61
	v_fma_f32 v59, v2, v54, -v75
	v_add_f32_e32 v61, v76, v74
	s_delay_alu instid0(VALU_DEP_3)
	v_dual_mul_f32 v55, v2, v55 :: v_dual_add_f32 v56, v56, v58
	v_add_f32_e32 v53, v66, v53
	ds_load_2addr_b64 v[64:67], v72 offset0:64 offset1:96
	v_mul_f32_e32 v58, v3, v63
	v_dual_fmac_f32 v55, v3, v54 :: v_dual_add_f32 v54, v57, v59
	v_mul_f32_e32 v57, v2, v63
	s_delay_alu instid0(VALU_DEP_3) | instskip(SKIP_2) | instid1(VALU_DEP_3)
	v_fma_f32 v2, v2, v62, -v58
	s_waitcnt lgkmcnt(1)
	v_mul_f32_e32 v63, v50, v71
	v_fmac_f32_e32 v57, v3, v62
	s_delay_alu instid0(VALU_DEP_3) | instskip(SKIP_1) | instid1(VALU_DEP_3)
	v_dual_mul_f32 v3, v49, v69 :: v_dual_add_f32 v0, v0, v2
	s_waitcnt lgkmcnt(0)
	v_dual_fmac_f32 v63, v51, v70 :: v_dual_mul_f32 v58, v49, v65
	v_mul_f32_e32 v62, v50, v67
	v_add_f32_e32 v53, v53, v55
	s_delay_alu instid0(VALU_DEP_3) | instskip(NEXT) | instid1(VALU_DEP_3)
	v_fma_f32 v2, v48, v64, -v58
	v_fmac_f32_e32 v62, v51, v66
	v_mul_f32_e32 v58, v48, v69
	v_add_f32_e32 v1, v77, v1
	s_delay_alu instid0(VALU_DEP_4) | instskip(SKIP_1) | instid1(VALU_DEP_4)
	v_add_f32_e32 v59, v60, v2
	v_fma_f32 v2, v48, v68, -v3
	v_dual_mul_f32 v3, v44, v65 :: v_dual_fmac_f32 v58, v49, v68
	s_delay_alu instid0(VALU_DEP_1) | instskip(SKIP_1) | instid1(VALU_DEP_1)
	v_fmac_f32_e32 v3, v45, v64
	v_mul_f32_e32 v55, v48, v65
	v_fmac_f32_e32 v55, v49, v64
	v_dual_add_f32 v49, v56, v2 :: v_dual_mul_f32 v2, v45, v69
	v_mul_f32_e32 v56, v44, v69
	s_delay_alu instid0(VALU_DEP_2) | instskip(NEXT) | instid1(VALU_DEP_2)
	v_fma_f32 v2, v44, v68, -v2
	v_fmac_f32_e32 v56, v45, v68
	v_mul_f32_e32 v68, v47, v67
	v_add_f32_e32 v48, v1, v55
	v_add_f32_e32 v60, v61, v58
	v_dual_mul_f32 v1, v45, v65 :: v_dual_mul_f32 v58, v51, v71
	v_add_f32_e32 v45, v0, v2
	s_delay_alu instid0(VALU_DEP_4)
	v_add_f32_e32 v69, v48, v62
	v_fma_f32 v62, v46, v66, -v68
	v_add_f32_e32 v68, v60, v63
	v_fma_f32 v1, v44, v64, -v1
	v_mul_f32_e32 v44, v51, v67
	v_mul_f32_e32 v67, v46, v67
	v_add_f32_e32 v64, v53, v3
	s_delay_alu instid0(VALU_DEP_3) | instskip(NEXT) | instid1(VALU_DEP_3)
	v_fma_f32 v44, v50, v66, -v44
	v_fmac_f32_e32 v67, v47, v66
	v_dual_mul_f32 v66, v47, v71 :: v_dual_add_f32 v57, v52, v57
	s_delay_alu instid0(VALU_DEP_3) | instskip(SKIP_1) | instid1(VALU_DEP_3)
	v_dual_mul_f32 v71, v46, v71 :: v_dual_add_f32 v44, v59, v44
	v_fma_f32 v50, v50, v70, -v58
	v_fma_f32 v46, v46, v70, -v66
	s_delay_alu instid0(VALU_DEP_4) | instskip(NEXT) | instid1(VALU_DEP_4)
	v_add_f32_e32 v65, v57, v56
	v_fmac_f32_e32 v71, v47, v70
	v_add_f32_e32 v61, v54, v1
	ds_load_2addr_b64 v[0:3], v72 offset0:128 offset1:160
	ds_load_b128 v[52:55], v39 offset:96
	ds_load_2addr_b64 v[56:59], v73 offset0:128 offset1:160
	v_add_f32_e32 v64, v64, v67
	s_waitcnt lgkmcnt(1)
	v_mul_f32_e32 v76, v53, v1
	v_add_f32_e32 v74, v49, v50
	ds_load_b128 v[48:51], v39 offset:4192
	v_mul_f32_e32 v66, v52, v1
	v_add_f32_e32 v70, v65, v71
	v_fma_f32 v47, v52, v0, -v76
	s_delay_alu instid0(VALU_DEP_1)
	v_dual_fmac_f32 v66, v53, v0 :: v_dual_add_f32 v71, v44, v47
	v_add_f32_e32 v67, v45, v46
	s_waitcnt lgkmcnt(1)
	v_mul_f32_e32 v45, v53, v57
	v_add_f32_e32 v75, v61, v62
	ds_load_b128 v[60:63], v39 offset:112
	v_mul_f32_e32 v65, v52, v57
	v_fma_f32 v52, v52, v56, -v45
	ds_load_b128 v[44:47], v39 offset:4208
	s_waitcnt lgkmcnt(2)
	v_mul_f32_e32 v76, v49, v1
	v_dual_mul_f32 v1, v48, v1 :: v_dual_add_f32 v52, v74, v52
	v_fmac_f32_e32 v65, v53, v56
	s_delay_alu instid0(VALU_DEP_3) | instskip(NEXT) | instid1(VALU_DEP_3)
	v_fma_f32 v53, v48, v0, -v76
	v_dual_fmac_f32 v1, v49, v0 :: v_dual_mul_f32 v0, v48, v57
	s_delay_alu instid0(VALU_DEP_3) | instskip(NEXT) | instid1(VALU_DEP_2)
	v_add_f32_e32 v74, v68, v65
	v_dual_add_f32 v1, v64, v1 :: v_dual_fmac_f32 v0, v49, v56
	s_delay_alu instid0(VALU_DEP_1) | instskip(SKIP_2) | instid1(VALU_DEP_2)
	v_dual_add_f32 v0, v70, v0 :: v_dual_add_f32 v77, v69, v66
	v_dual_mul_f32 v66, v49, v57 :: v_dual_mul_f32 v57, v55, v3
	v_mul_f32_e32 v49, v54, v3
	v_fma_f32 v48, v48, v56, -v66
	s_delay_alu instid0(VALU_DEP_3) | instskip(SKIP_1) | instid1(VALU_DEP_2)
	v_fma_f32 v56, v54, v2, -v57
	v_mul_f32_e32 v57, v55, v59
	v_add_f32_e32 v56, v71, v56
	s_delay_alu instid0(VALU_DEP_4)
	v_add_f32_e32 v48, v67, v48
	ds_load_2addr_b64 v[64:67], v72 offset0:192 offset1:224
	v_mul_f32_e32 v72, v54, v59
	ds_load_2addr_b64 v[68:71], v73 offset0:192 offset1:224
	v_mul_f32_e32 v73, v51, v3
	v_fma_f32 v54, v54, v58, -v57
	v_add_f32_e32 v53, v75, v53
	v_fmac_f32_e32 v72, v55, v58
	v_fmac_f32_e32 v49, v55, v2
	s_delay_alu instid0(VALU_DEP_4) | instskip(NEXT) | instid1(VALU_DEP_3)
	v_dual_mul_f32 v3, v50, v3 :: v_dual_add_f32 v52, v52, v54
	v_dual_mul_f32 v54, v51, v59 :: v_dual_add_f32 v57, v74, v72
	v_add_nc_u32_e32 v72, 0x1000, v41
	v_fma_f32 v55, v50, v2, -v73
	s_delay_alu instid0(VALU_DEP_1) | instskip(SKIP_3) | instid1(VALU_DEP_2)
	v_dual_fmac_f32 v3, v51, v2 :: v_dual_add_f32 v2, v53, v55
	v_mul_f32_e32 v53, v50, v59
	v_fma_f32 v50, v50, v58, -v54
	s_waitcnt lgkmcnt(1)
	v_dual_mul_f32 v54, v61, v65 :: v_dual_fmac_f32 v53, v51, v58
	s_delay_alu instid0(VALU_DEP_2) | instskip(NEXT) | instid1(VALU_DEP_2)
	v_add_f32_e32 v48, v48, v50
	v_fma_f32 v50, v60, v64, -v54
	s_waitcnt lgkmcnt(0)
	v_mul_f32_e32 v51, v61, v69
	v_add_f32_e32 v0, v0, v53
	v_mul_f32_e32 v53, v60, v69
	v_add_f32_e32 v54, v56, v50
	s_delay_alu instid0(VALU_DEP_4) | instskip(SKIP_1) | instid1(VALU_DEP_2)
	v_fma_f32 v50, v60, v68, -v51
	v_mul_f32_e32 v51, v44, v69
	v_dual_add_f32 v58, v52, v50 :: v_dual_add_f32 v1, v1, v3
	v_mul_f32_e32 v3, v60, v65
	v_mul_f32_e32 v50, v45, v69
	v_add_f32_e32 v49, v77, v49
	v_fmac_f32_e32 v51, v45, v68
	s_delay_alu instid0(VALU_DEP_4) | instskip(NEXT) | instid1(VALU_DEP_1)
	v_fmac_f32_e32 v3, v61, v64
	v_dual_add_f32 v56, v49, v3 :: v_dual_mul_f32 v49, v44, v65
	v_mul_f32_e32 v3, v45, v65
	s_delay_alu instid0(VALU_DEP_2) | instskip(NEXT) | instid1(VALU_DEP_2)
	v_fmac_f32_e32 v49, v45, v64
	v_fma_f32 v3, v44, v64, -v3
	v_fma_f32 v44, v44, v68, -v50
	s_delay_alu instid0(VALU_DEP_3) | instskip(SKIP_1) | instid1(VALU_DEP_4)
	v_dual_add_f32 v64, v0, v51 :: v_dual_add_f32 v45, v1, v49
	v_mul_f32_e32 v1, v63, v67
	v_add_f32_e32 v60, v2, v3
	s_delay_alu instid0(VALU_DEP_4) | instskip(NEXT) | instid1(VALU_DEP_3)
	v_add_f32_e32 v44, v48, v44
	v_fma_f32 v52, v62, v66, -v1
	ds_load_2addr_b64 v[0:3], v72 offset1:32
	ds_load_b128 v[48:51], v39 offset:128
	v_fmac_f32_e32 v53, v61, v68
	v_add_nc_u32_e32 v73, 0x1000, v43
	v_mul_f32_e32 v61, v62, v71
	v_add_f32_e32 v65, v54, v52
	v_mul_f32_e32 v59, v62, v67
	v_add_f32_e32 v57, v57, v53
	v_mul_f32_e32 v53, v63, v71
	v_mul_f32_e32 v68, v47, v67
	v_fmac_f32_e32 v61, v63, v70
	v_fmac_f32_e32 v59, v63, v66
	s_delay_alu instid0(VALU_DEP_4)
	v_fma_f32 v62, v62, v70, -v53
	ds_load_2addr_b64 v[52:55], v73 offset1:32
	v_dual_add_f32 v69, v56, v59 :: v_dual_add_f32 v74, v58, v62
	v_fma_f32 v62, v46, v66, -v68
	v_add_f32_e32 v68, v57, v61
	ds_load_b128 v[56:59], v39 offset:4224
	s_waitcnt lgkmcnt(2)
	v_dual_mul_f32 v76, v49, v1 :: v_dual_add_f32 v75, v60, v62
	ds_load_b128 v[60:63], v39 offset:144
	v_mul_f32_e32 v67, v46, v67
	s_delay_alu instid0(VALU_DEP_1) | instskip(SKIP_2) | instid1(VALU_DEP_2)
	v_fmac_f32_e32 v67, v47, v66
	v_mul_f32_e32 v66, v47, v71
	v_mul_f32_e32 v71, v46, v71
	v_fma_f32 v46, v46, v70, -v66
	s_delay_alu instid0(VALU_DEP_2) | instskip(SKIP_2) | instid1(VALU_DEP_4)
	v_dual_add_f32 v66, v45, v67 :: v_dual_fmac_f32 v71, v47, v70
	v_fma_f32 v45, v48, v0, -v76
	v_mul_f32_e32 v67, v48, v1
	v_add_f32_e32 v70, v44, v46
	s_waitcnt lgkmcnt(2)
	v_dual_mul_f32 v44, v49, v53 :: v_dual_add_f32 v71, v64, v71
	v_add_f32_e32 v76, v65, v45
	v_mul_f32_e32 v64, v48, v53
	s_waitcnt lgkmcnt(1)
	v_mul_f32_e32 v65, v57, v1
	v_fma_f32 v48, v48, v52, -v44
	ds_load_b128 v[44:47], v39 offset:4240
	v_mul_f32_e32 v1, v56, v1
	v_fmac_f32_e32 v67, v49, v0
	v_fmac_f32_e32 v64, v49, v52
	v_fma_f32 v49, v56, v0, -v65
	v_mul_f32_e32 v65, v57, v53
	v_dual_fmac_f32 v1, v57, v0 :: v_dual_mul_f32 v0, v56, v53
	s_delay_alu instid0(VALU_DEP_3) | instskip(NEXT) | instid1(VALU_DEP_3)
	v_dual_add_f32 v48, v74, v48 :: v_dual_add_f32 v49, v75, v49
	v_fma_f32 v53, v56, v52, -v65
	v_mul_f32_e32 v56, v51, v3
	s_delay_alu instid0(VALU_DEP_4) | instskip(SKIP_2) | instid1(VALU_DEP_4)
	v_dual_fmac_f32 v0, v57, v52 :: v_dual_mul_f32 v57, v51, v55
	v_mul_f32_e32 v52, v50, v3
	v_mul_f32_e32 v75, v50, v55
	v_fma_f32 v56, v50, v2, -v56
	v_add_f32_e32 v53, v70, v53
	v_fma_f32 v50, v50, v54, -v57
	v_add_f32_e32 v74, v68, v64
	v_add_f32_e32 v0, v71, v0
	v_fmac_f32_e32 v52, v51, v2
	v_add_f32_e32 v56, v76, v56
	v_add_f32_e32 v48, v48, v50
	v_mul_f32_e32 v50, v59, v55
	v_mul_f32_e32 v76, v59, v3
	v_fmac_f32_e32 v75, v51, v54
	v_mul_f32_e32 v3, v58, v3
	s_delay_alu instid0(VALU_DEP_4) | instskip(NEXT) | instid1(VALU_DEP_4)
	v_fma_f32 v50, v58, v54, -v50
	v_fma_f32 v51, v58, v2, -v76
	s_delay_alu instid0(VALU_DEP_3) | instskip(NEXT) | instid1(VALU_DEP_3)
	v_fmac_f32_e32 v3, v59, v2
	v_add_f32_e32 v50, v53, v50
	v_add_f32_e32 v77, v69, v67
	ds_load_2addr_b64 v[68:71], v73 offset0:64 offset1:96
	v_add_f32_e32 v1, v66, v1
	ds_load_2addr_b64 v[64:67], v72 offset0:64 offset1:96
	v_add_f32_e32 v2, v49, v51
	v_dual_mul_f32 v49, v58, v55 :: v_dual_add_f32 v52, v77, v52
	v_add_f32_e32 v1, v1, v3
	s_delay_alu instid0(VALU_DEP_2) | instskip(NEXT) | instid1(VALU_DEP_1)
	v_fmac_f32_e32 v49, v59, v54
	v_add_f32_e32 v55, v0, v49
	s_waitcnt lgkmcnt(1)
	v_mul_f32_e32 v53, v61, v69
	v_mul_f32_e32 v54, v60, v69
	s_waitcnt lgkmcnt(0)
	v_mul_f32_e32 v3, v60, v65
	v_mul_f32_e32 v51, v61, v65
	;; [unrolled: 1-line block ×3, first 2 shown]
	v_fma_f32 v0, v60, v68, -v53
	v_fmac_f32_e32 v54, v61, v68
	v_fmac_f32_e32 v3, v61, v64
	v_fma_f32 v51, v60, v64, -v51
	v_fmac_f32_e32 v49, v45, v64
	v_dual_add_f32 v59, v48, v0 :: v_dual_mul_f32 v0, v45, v69
	s_delay_alu instid0(VALU_DEP_4) | instskip(SKIP_2) | instid1(VALU_DEP_4)
	v_dual_add_f32 v58, v52, v3 :: v_dual_mul_f32 v3, v45, v65
	v_mul_f32_e32 v52, v44, v69
	v_add_f32_e32 v56, v56, v51
	v_fma_f32 v0, v44, v68, -v0
	v_mul_f32_e32 v61, v62, v67
	v_fma_f32 v3, v44, v64, -v3
	v_add_f32_e32 v64, v1, v49
	v_fmac_f32_e32 v52, v45, v68
	v_dual_add_f32 v45, v50, v0 :: v_dual_mul_f32 v44, v63, v67
	s_delay_alu instid0(VALU_DEP_4)
	v_add_f32_e32 v60, v2, v3
	ds_load_2addr_b64 v[0:3], v72 offset0:128 offset1:160
	ds_load_b128 v[48:51], v39 offset:160
	v_mul_f32_e32 v53, v63, v71
	v_fmac_f32_e32 v61, v63, v66
	v_fma_f32 v44, v62, v66, -v44
	v_dual_mul_f32 v68, v62, v71 :: v_dual_add_f32 v65, v55, v52
	s_delay_alu instid0(VALU_DEP_2) | instskip(SKIP_2) | instid1(VALU_DEP_4)
	v_dual_add_f32 v69, v58, v61 :: v_dual_add_f32 v44, v56, v44
	v_fma_f32 v56, v62, v70, -v53
	v_mul_f32_e32 v62, v47, v67
	v_dual_mul_f32 v67, v46, v67 :: v_dual_fmac_f32 v68, v63, v70
	s_delay_alu instid0(VALU_DEP_2) | instskip(NEXT) | instid1(VALU_DEP_2)
	v_fma_f32 v61, v46, v66, -v62
	v_fmac_f32_e32 v67, v47, v66
	v_mul_f32_e32 v66, v47, v71
	s_waitcnt lgkmcnt(0)
	v_dual_mul_f32 v71, v46, v71 :: v_dual_mul_f32 v76, v49, v1
	s_delay_alu instid0(VALU_DEP_3) | instskip(SKIP_1) | instid1(VALU_DEP_3)
	v_add_f32_e32 v64, v64, v67
	v_add_f32_e32 v57, v74, v75
	v_fmac_f32_e32 v71, v47, v70
	v_fma_f32 v46, v46, v70, -v66
	v_fma_f32 v47, v48, v0, -v76
	v_add_f32_e32 v74, v59, v56
	v_mul_f32_e32 v66, v48, v1
	v_add_f32_e32 v70, v65, v71
	v_add_f32_e32 v67, v45, v46
	;; [unrolled: 1-line block ×4, first 2 shown]
	ds_load_2addr_b64 v[52:55], v73 offset0:128 offset1:160
	v_fmac_f32_e32 v66, v49, v0
	v_add_f32_e32 v68, v57, v68
	ds_load_b128 v[56:59], v39 offset:4256
	v_add_f32_e32 v77, v69, v66
	s_waitcnt lgkmcnt(1)
	v_mul_f32_e32 v45, v49, v53
	v_mul_f32_e32 v65, v48, v53
	s_delay_alu instid0(VALU_DEP_2)
	v_fma_f32 v48, v48, v52, -v45
	ds_load_b128 v[44:47], v39 offset:4272
	v_add_f32_e32 v75, v60, v61
	ds_load_b128 v[60:63], v39 offset:176
	s_waitcnt lgkmcnt(2)
	v_mul_f32_e32 v76, v57, v1
	v_mul_f32_e32 v1, v56, v1
	;; [unrolled: 1-line block ×3, first 2 shown]
	v_fmac_f32_e32 v65, v49, v52
	v_add_f32_e32 v48, v74, v48
	v_fma_f32 v49, v56, v0, -v76
	v_dual_fmac_f32 v1, v57, v0 :: v_dual_mul_f32 v0, v56, v53
	v_fma_f32 v53, v56, v52, -v66
	v_mul_f32_e32 v56, v51, v3
	v_add_f32_e32 v74, v68, v65
	s_delay_alu instid0(VALU_DEP_4) | instskip(NEXT) | instid1(VALU_DEP_4)
	v_dual_add_f32 v1, v64, v1 :: v_dual_fmac_f32 v0, v57, v52
	v_add_f32_e32 v53, v67, v53
	s_delay_alu instid0(VALU_DEP_4)
	v_fma_f32 v56, v50, v2, -v56
	ds_load_2addr_b64 v[64:67], v72 offset0:192 offset1:224
	v_dual_mul_f32 v57, v51, v55 :: v_dual_add_f32 v0, v70, v0
	v_mul_f32_e32 v52, v50, v3
	v_add_f32_e32 v56, v71, v56
	ds_load_2addr_b64 v[68:71], v73 offset0:192 offset1:224
	v_mul_f32_e32 v72, v50, v55
	v_mul_f32_e32 v73, v59, v3
	v_fma_f32 v50, v50, v54, -v57
	v_mul_f32_e32 v3, v58, v3
	v_add_f32_e32 v49, v75, v49
	v_fmac_f32_e32 v52, v51, v2
	v_fmac_f32_e32 v72, v51, v54
	v_fma_f32 v51, v58, v2, -v73
	v_add_f32_e32 v48, v48, v50
	v_mul_f32_e32 v50, v59, v55
	v_fmac_f32_e32 v3, v59, v2
	s_delay_alu instid0(VALU_DEP_4) | instskip(SKIP_1) | instid1(VALU_DEP_4)
	v_dual_add_f32 v57, v74, v72 :: v_dual_add_f32 v2, v49, v51
	v_mul_f32_e32 v49, v58, v55
	v_fma_f32 v50, v58, v54, -v50
	s_waitcnt lgkmcnt(1)
	v_mul_f32_e32 v51, v61, v65
	v_add_f32_e32 v1, v1, v3
	v_mul_f32_e32 v3, v60, v65
	v_add_nc_u32_e32 v72, 0x1800, v41
	v_add_f32_e32 v52, v77, v52
	v_add_f32_e32 v50, v53, v50
	v_fma_f32 v51, v60, v64, -v51
	s_waitcnt lgkmcnt(0)
	v_mul_f32_e32 v53, v61, v69
	v_fmac_f32_e32 v3, v61, v64
	v_fmac_f32_e32 v49, v59, v54
	v_add_nc_u32_e32 v73, 0x1800, v43
	v_add_f32_e32 v54, v56, v51
	v_fma_f32 v51, v60, v68, -v53
	v_add_f32_e32 v56, v52, v3
	v_mul_f32_e32 v52, v44, v65
	v_add_f32_e32 v0, v0, v49
	v_mul_f32_e32 v49, v60, v69
	v_dual_mul_f32 v3, v45, v65 :: v_dual_add_f32 v58, v48, v51
	v_mul_f32_e32 v48, v45, v69
	v_dual_mul_f32 v51, v44, v69 :: v_dual_fmac_f32 v52, v45, v64
	s_delay_alu instid0(VALU_DEP_4) | instskip(NEXT) | instid1(VALU_DEP_4)
	v_fmac_f32_e32 v49, v61, v68
	v_fma_f32 v3, v44, v64, -v3
	s_delay_alu instid0(VALU_DEP_4) | instskip(NEXT) | instid1(VALU_DEP_4)
	v_fma_f32 v44, v44, v68, -v48
	v_fmac_f32_e32 v51, v45, v68
	v_add_f32_e32 v45, v1, v52
	v_mul_f32_e32 v1, v63, v67
	v_dual_add_f32 v57, v57, v49 :: v_dual_add_f32 v60, v2, v3
	v_add_f32_e32 v44, v50, v44
	v_add_f32_e32 v64, v0, v51
	s_delay_alu instid0(VALU_DEP_4)
	v_fma_f32 v52, v62, v66, -v1
	v_mul_f32_e32 v53, v63, v71
	ds_load_2addr_b64 v[0:3], v72 offset1:32
	ds_load_b128 v[48:51], v39 offset:192
	v_mul_f32_e32 v59, v62, v67
	v_mul_f32_e32 v61, v62, v71
	v_add_f32_e32 v65, v54, v52
	v_fma_f32 v62, v62, v70, -v53
	ds_load_2addr_b64 v[52:55], v73 offset1:32
	v_mul_f32_e32 v68, v47, v67
	v_mul_f32_e32 v67, v46, v67
	v_fmac_f32_e32 v59, v63, v66
	v_add_f32_e32 v74, v58, v62
	v_fmac_f32_e32 v61, v63, v70
	v_fma_f32 v62, v46, v66, -v68
	v_fmac_f32_e32 v67, v47, v66
	v_mul_f32_e32 v66, v47, v71
	s_delay_alu instid0(VALU_DEP_4) | instskip(NEXT) | instid1(VALU_DEP_4)
	v_dual_mul_f32 v71, v46, v71 :: v_dual_add_f32 v68, v57, v61
	v_add_f32_e32 v75, v60, v62
	ds_load_b128 v[60:63], v39 offset:208
	v_fma_f32 v46, v46, v70, -v66
	v_add_f32_e32 v66, v45, v67
	s_waitcnt lgkmcnt(2)
	v_dual_mul_f32 v76, v49, v1 :: v_dual_fmac_f32 v71, v47, v70
	v_mul_f32_e32 v67, v48, v1
	v_add_f32_e32 v70, v44, v46
	s_delay_alu instid0(VALU_DEP_3) | instskip(SKIP_3) | instid1(VALU_DEP_3)
	v_fma_f32 v45, v48, v0, -v76
	s_waitcnt lgkmcnt(1)
	v_dual_mul_f32 v44, v49, v53 :: v_dual_add_f32 v71, v64, v71
	v_mul_f32_e32 v64, v48, v53
	v_add_f32_e32 v76, v65, v45
	s_delay_alu instid0(VALU_DEP_3)
	v_fma_f32 v48, v48, v52, -v44
	ds_load_b128 v[44:47], v39 offset:4304
	v_add_f32_e32 v69, v56, v59
	ds_load_b128 v[56:59], v39 offset:4288
	v_fmac_f32_e32 v67, v49, v0
	v_fmac_f32_e32 v64, v49, v52
	s_delay_alu instid0(VALU_DEP_2) | instskip(SKIP_1) | instid1(VALU_DEP_2)
	v_dual_add_f32 v48, v74, v48 :: v_dual_add_f32 v77, v69, v67
	s_waitcnt lgkmcnt(0)
	v_dual_add_f32 v74, v68, v64 :: v_dual_mul_f32 v65, v57, v1
	v_mul_f32_e32 v1, v56, v1
	s_delay_alu instid0(VALU_DEP_2) | instskip(SKIP_1) | instid1(VALU_DEP_3)
	v_fma_f32 v49, v56, v0, -v65
	v_mul_f32_e32 v65, v57, v53
	v_dual_fmac_f32 v1, v57, v0 :: v_dual_mul_f32 v0, v56, v53
	s_delay_alu instid0(VALU_DEP_3) | instskip(NEXT) | instid1(VALU_DEP_3)
	v_add_f32_e32 v49, v75, v49
	v_fma_f32 v53, v56, v52, -v65
	v_mul_f32_e32 v56, v51, v3
	s_delay_alu instid0(VALU_DEP_4)
	v_dual_fmac_f32 v0, v57, v52 :: v_dual_add_f32 v1, v66, v1
	ds_load_2addr_b64 v[64:67], v72 offset0:64 offset1:96
	v_add_f32_e32 v53, v70, v53
	v_fma_f32 v56, v50, v2, -v56
	v_add_f32_e32 v0, v71, v0
	v_mul_f32_e32 v57, v51, v55
	ds_load_2addr_b64 v[68:71], v73 offset0:64 offset1:96
	v_mul_f32_e32 v52, v50, v3
	v_dual_add_f32 v56, v76, v56 :: v_dual_mul_f32 v75, v50, v55
	v_mul_f32_e32 v76, v59, v3
	v_fma_f32 v50, v50, v54, -v57
	s_delay_alu instid0(VALU_DEP_4) | instskip(NEXT) | instid1(VALU_DEP_4)
	v_dual_fmac_f32 v52, v51, v2 :: v_dual_mul_f32 v3, v58, v3
	v_fmac_f32_e32 v75, v51, v54
	s_delay_alu instid0(VALU_DEP_4) | instskip(NEXT) | instid1(VALU_DEP_4)
	v_fma_f32 v51, v58, v2, -v76
	v_add_f32_e32 v48, v48, v50
	v_mul_f32_e32 v50, v59, v55
	v_dual_fmac_f32 v3, v59, v2 :: v_dual_add_f32 v52, v77, v52
	s_delay_alu instid0(VALU_DEP_4) | instskip(SKIP_1) | instid1(VALU_DEP_4)
	v_add_f32_e32 v2, v49, v51
	v_mul_f32_e32 v49, v58, v55
	v_fma_f32 v50, v58, v54, -v50
	s_delay_alu instid0(VALU_DEP_4)
	v_add_f32_e32 v1, v1, v3
	s_waitcnt lgkmcnt(1)
	v_mul_f32_e32 v3, v60, v65
	v_mul_f32_e32 v51, v61, v65
	v_fmac_f32_e32 v49, v59, v54
	v_add_f32_e32 v50, v53, v50
	s_waitcnt lgkmcnt(0)
	v_mul_f32_e32 v53, v61, v69
	v_fmac_f32_e32 v3, v61, v64
	v_fma_f32 v51, v60, v64, -v51
	v_add_f32_e32 v55, v0, v49
	v_mul_f32_e32 v54, v60, v69
	v_fma_f32 v0, v60, v68, -v53
	v_dual_add_f32 v58, v52, v3 :: v_dual_mul_f32 v3, v45, v65
	v_mul_f32_e32 v49, v44, v65
	v_mul_f32_e32 v52, v44, v69
	s_delay_alu instid0(VALU_DEP_4) | instskip(NEXT) | instid1(VALU_DEP_4)
	v_dual_add_f32 v59, v48, v0 :: v_dual_mul_f32 v0, v45, v69
	v_fma_f32 v3, v44, v64, -v3
	v_add_f32_e32 v56, v56, v51
	v_dual_fmac_f32 v54, v61, v68 :: v_dual_mul_f32 v61, v62, v67
	s_delay_alu instid0(VALU_DEP_4) | instskip(SKIP_4) | instid1(VALU_DEP_4)
	v_fma_f32 v0, v44, v68, -v0
	v_mul_f32_e32 v44, v63, v67
	v_mul_f32_e32 v53, v63, v71
	;; [unrolled: 1-line block ×3, first 2 shown]
	v_dual_fmac_f32 v61, v63, v66 :: v_dual_fmac_f32 v52, v45, v68
	v_fma_f32 v44, v62, v66, -v44
	v_dual_fmac_f32 v49, v45, v64 :: v_dual_add_f32 v60, v2, v3
	s_delay_alu instid0(VALU_DEP_3) | instskip(NEXT) | instid1(VALU_DEP_3)
	v_dual_add_f32 v69, v58, v61 :: v_dual_add_f32 v68, v55, v52
	v_add_f32_e32 v44, v56, v44
	v_fma_f32 v56, v62, v70, -v53
	v_mul_f32_e32 v62, v47, v67
	v_dual_mul_f32 v67, v46, v67 :: v_dual_add_f32 v64, v1, v49
	v_add_f32_e32 v45, v50, v0
	ds_load_2addr_b64 v[0:3], v72 offset0:128 offset1:160
	ds_load_b128 v[48:51], v39 offset:224
	v_fma_f32 v61, v46, v66, -v62
	v_fmac_f32_e32 v67, v47, v66
	v_mul_f32_e32 v66, v47, v71
	v_mul_f32_e32 v71, v46, v71
	s_delay_alu instid0(VALU_DEP_3) | instskip(NEXT) | instid1(VALU_DEP_3)
	v_dual_fmac_f32 v65, v63, v70 :: v_dual_add_f32 v64, v64, v67
	v_fma_f32 v46, v46, v70, -v66
	s_delay_alu instid0(VALU_DEP_3) | instskip(NEXT) | instid1(VALU_DEP_1)
	v_fmac_f32_e32 v71, v47, v70
	v_dual_add_f32 v67, v45, v46 :: v_dual_add_f32 v68, v68, v71
	v_dual_add_f32 v57, v74, v75 :: v_dual_add_f32 v74, v59, v56
	s_delay_alu instid0(VALU_DEP_1) | instskip(SKIP_4) | instid1(VALU_DEP_2)
	v_add_f32_e32 v57, v57, v54
	ds_load_2addr_b64 v[52:55], v73 offset0:128 offset1:160
	s_waitcnt lgkmcnt(1)
	v_mul_f32_e32 v76, v49, v1
	v_mul_f32_e32 v66, v48, v1
	v_fma_f32 v47, v48, v0, -v76
	s_delay_alu instid0(VALU_DEP_2) | instskip(NEXT) | instid1(VALU_DEP_2)
	v_fmac_f32_e32 v66, v49, v0
	v_add_f32_e32 v70, v44, v47
	s_delay_alu instid0(VALU_DEP_2) | instskip(SKIP_3) | instid1(VALU_DEP_2)
	v_add_f32_e32 v76, v69, v66
	s_waitcnt lgkmcnt(0)
	v_mul_f32_e32 v45, v49, v53
	v_mul_f32_e32 v71, v48, v53
	v_fma_f32 v48, v48, v52, -v45
	ds_load_b128 v[44:47], v39 offset:4336
	v_add_f32_e32 v65, v57, v65
	ds_load_b128 v[56:59], v39 offset:4320
	v_add_f32_e32 v75, v60, v61
	ds_load_b128 v[60:63], v39 offset:240
	v_fmac_f32_e32 v71, v49, v52
	v_add_f32_e32 v48, v74, v48
	s_delay_alu instid0(VALU_DEP_2) | instskip(SKIP_4) | instid1(VALU_DEP_3)
	v_add_f32_e32 v74, v65, v71
	s_waitcnt lgkmcnt(1)
	v_mul_f32_e32 v66, v57, v1
	v_mul_f32_e32 v1, v56, v1
	;; [unrolled: 1-line block ×3, first 2 shown]
	v_fma_f32 v66, v56, v0, -v66
	s_delay_alu instid0(VALU_DEP_3) | instskip(NEXT) | instid1(VALU_DEP_3)
	v_dual_fmac_f32 v1, v57, v0 :: v_dual_mul_f32 v0, v56, v53
	v_fma_f32 v49, v56, v52, -v49
	v_mul_f32_e32 v56, v51, v3
	s_delay_alu instid0(VALU_DEP_4) | instskip(NEXT) | instid1(VALU_DEP_4)
	v_add_f32_e32 v53, v75, v66
	v_dual_add_f32 v1, v64, v1 :: v_dual_fmac_f32 v0, v57, v52
	s_delay_alu instid0(VALU_DEP_4) | instskip(NEXT) | instid1(VALU_DEP_4)
	v_add_f32_e32 v49, v67, v49
	v_fma_f32 v56, v50, v2, -v56
	ds_load_2addr_b64 v[64:67], v72 offset0:192 offset1:224
	v_dual_mul_f32 v57, v51, v55 :: v_dual_add_f32 v0, v68, v0
	v_mul_f32_e32 v52, v50, v3
	v_add_f32_e32 v56, v70, v56
	ds_load_2addr_b64 v[68:71], v73 offset0:192 offset1:224
	v_mul_f32_e32 v72, v50, v55
	v_fma_f32 v50, v50, v54, -v57
	v_mul_f32_e32 v57, v59, v3
	v_dual_fmac_f32 v52, v51, v2 :: v_dual_mul_f32 v3, v58, v3
	s_delay_alu instid0(VALU_DEP_4) | instskip(NEXT) | instid1(VALU_DEP_4)
	v_fmac_f32_e32 v72, v51, v54
	v_add_f32_e32 v48, v48, v50
	s_delay_alu instid0(VALU_DEP_4) | instskip(SKIP_3) | instid1(VALU_DEP_4)
	v_fma_f32 v50, v58, v2, -v57
	v_mul_f32_e32 v51, v59, v55
	v_fmac_f32_e32 v3, v59, v2
	v_dual_mul_f32 v55, v58, v55 :: v_dual_add_f32 v52, v76, v52
	v_add_f32_e32 v2, v53, v50
	s_delay_alu instid0(VALU_DEP_4)
	v_fma_f32 v50, v58, v54, -v51
	s_waitcnt lgkmcnt(1)
	v_mul_f32_e32 v51, v61, v65
	v_fmac_f32_e32 v55, v59, v54
	v_add_f32_e32 v1, v1, v3
	v_mul_f32_e32 v3, v60, v65
	v_add_f32_e32 v49, v49, v50
	v_fma_f32 v50, v60, v64, -v51
	s_waitcnt lgkmcnt(0)
	v_mul_f32_e32 v51, v61, v69
	v_mul_f32_e32 v54, v45, v65
	v_dual_fmac_f32 v3, v61, v64 :: v_dual_add_f32 v0, v0, v55
	v_mul_f32_e32 v55, v62, v67
	s_delay_alu instid0(VALU_DEP_4) | instskip(NEXT) | instid1(VALU_DEP_4)
	v_fma_f32 v51, v60, v68, -v51
	v_fma_f32 v54, v44, v64, -v54
	s_delay_alu instid0(VALU_DEP_4)
	v_add_f32_e32 v3, v52, v3
	v_mul_f32_e32 v52, v44, v65
	v_mul_f32_e32 v53, v60, v69
	v_dual_add_f32 v48, v48, v51 :: v_dual_mul_f32 v51, v45, v69
	v_add_f32_e32 v2, v2, v54
	v_mul_f32_e32 v54, v44, v69
	v_add_f32_e32 v50, v56, v50
	v_fmac_f32_e32 v52, v45, v64
	v_fma_f32 v44, v44, v68, -v51
	s_delay_alu instid0(VALU_DEP_4) | instskip(SKIP_2) | instid1(VALU_DEP_4)
	v_dual_mul_f32 v51, v63, v67 :: v_dual_fmac_f32 v54, v45, v68
	v_fmac_f32_e32 v55, v63, v66
	v_add_f32_e32 v57, v74, v72
	v_add_f32_e32 v44, v49, v44
	s_delay_alu instid0(VALU_DEP_4)
	v_fma_f32 v45, v62, v66, -v51
	v_mul_f32_e32 v49, v63, v71
	v_fmac_f32_e32 v53, v61, v68
	v_dual_add_f32 v1, v1, v52 :: v_dual_mul_f32 v52, v62, v71
	v_add_f32_e32 v0, v0, v54
	v_dual_add_f32 v50, v50, v45 :: v_dual_add_f32 v51, v3, v55
	v_fma_f32 v3, v62, v70, -v49
	v_mul_f32_e32 v45, v47, v67
	v_mul_f32_e32 v54, v46, v67
	;; [unrolled: 1-line block ×4, first 2 shown]
	v_dual_add_f32 v53, v57, v53 :: v_dual_fmac_f32 v52, v63, v70
	s_delay_alu instid0(VALU_DEP_4)
	v_fmac_f32_e32 v54, v47, v66
	v_add_f32_e32 v48, v48, v3
	v_fma_f32 v3, v46, v66, -v45
	v_fma_f32 v45, v46, v70, -v49
	v_fmac_f32_e32 v55, v47, v70
	v_add_f32_e32 v49, v53, v52
	s_delay_alu instid0(VALU_DEP_4) | instskip(NEXT) | instid1(VALU_DEP_4)
	v_dual_add_f32 v47, v1, v54 :: v_dual_add_f32 v46, v2, v3
	v_add_f32_e32 v45, v44, v45
	s_delay_alu instid0(VALU_DEP_4)
	v_add_f32_e32 v44, v0, v55
	s_barrier
	buffer_gl0_inv
	s_cbranch_scc1 .LBB85_55
.LBB85_7:                               ;   Parent Loop BB85_4 Depth=1
                                        ; =>  This Inner Loop Header: Depth=2
	v_add_co_u32 v0, s5, v10, s30
	s_delay_alu instid0(VALU_DEP_1) | instskip(SKIP_1) | instid1(VALU_DEP_2)
	v_add_co_ci_u32_e64 v1, s5, s31, v11, s5
	v_cmp_eq_u64_e64 s7, s[30:31], v[20:21]
	v_cmp_lt_i64_e64 s5, v[0:1], v[16:17]
	v_cmp_le_i64_e64 s6, s[12:13], v[0:1]
	s_delay_alu instid0(VALU_DEP_3) | instskip(SKIP_1) | instid1(VALU_DEP_3)
	s_and_b32 s43, s38, s7
	v_add_co_u32 v2, s7, v22, v28
	s_or_b32 s8, s3, s5
	v_add_co_ci_u32_e64 v3, s7, v23, v29, s7
	s_delay_alu instid0(VALU_DEP_3) | instskip(NEXT) | instid1(SALU_CYCLE_1)
	s_or_b32 s8, s6, s8
	s_or_b32 s7, s8, s43
	s_delay_alu instid0(SALU_CYCLE_1) | instskip(NEXT) | instid1(SALU_CYCLE_1)
	s_xor_b32 s7, s7, -1
	s_and_saveexec_b32 s8, s7
	s_delay_alu instid0(SALU_CYCLE_1)
	s_xor_b32 s7, exec_lo, s8
	s_cbranch_execz .LBB85_9
; %bb.8:                                ;   in Loop: Header=BB85_7 Depth=2
	global_load_b64 v[52:53], v[2:3], off
	s_waitcnt vmcnt(0)
	ds_store_b64 v40, v[52:53]
.LBB85_9:                               ;   in Loop: Header=BB85_7 Depth=2
	s_or_saveexec_b32 s7, s7
	s_xor_b32 s42, s43, -1
	s_xor_b32 exec_lo, exec_lo, s7
	s_cbranch_execz .LBB85_15
; %bb.10:                               ;   in Loop: Header=BB85_7 Depth=2
	s_and_saveexec_b32 s8, s42
	s_delay_alu instid0(SALU_CYCLE_1)
	s_xor_b32 s8, exec_lo, s8
	s_cbranch_execz .LBB85_12
; %bb.11:                               ;   in Loop: Header=BB85_7 Depth=2
	v_mov_b32_e32 v52, v15
	v_mov_b32_e32 v53, v15
	ds_store_b64 v40, v[52:53]
.LBB85_12:                              ;   in Loop: Header=BB85_7 Depth=2
	s_and_not1_saveexec_b32 s8, s8
	s_cbranch_execz .LBB85_14
; %bb.13:                               ;   in Loop: Header=BB85_7 Depth=2
	ds_store_b64 v40, v[14:15]
.LBB85_14:                              ;   in Loop: Header=BB85_7 Depth=2
	s_or_b32 exec_lo, exec_lo, s8
.LBB85_15:                              ;   in Loop: Header=BB85_7 Depth=2
	s_delay_alu instid0(SALU_CYCLE_1) | instskip(SKIP_1) | instid1(VALU_DEP_1)
	s_or_b32 exec_lo, exec_lo, s7
	v_add_co_u32 v52, s7, v0, 16
	v_add_co_ci_u32_e64 v53, s7, 0, v1, s7
	v_cmp_eq_u64_e64 s9, s[30:31], v[34:35]
	s_delay_alu instid0(VALU_DEP_2) | instskip(SKIP_1) | instid1(VALU_DEP_3)
	v_cmp_lt_i64_e64 s8, v[52:53], v[16:17]
	v_cmp_le_i64_e64 s7, s[12:13], v[52:53]
	s_and_b32 s9, s38, s9
	s_delay_alu instid0(VALU_DEP_2)
	s_or_b32 s8, s3, s8
	s_delay_alu instid0(VALU_DEP_1) | instid1(SALU_CYCLE_1)
	s_or_b32 s8, s7, s8
	s_delay_alu instid0(SALU_CYCLE_1) | instskip(NEXT) | instid1(SALU_CYCLE_1)
	s_or_b32 s8, s8, s9
	s_xor_b32 s8, s8, -1
	s_delay_alu instid0(SALU_CYCLE_1) | instskip(NEXT) | instid1(SALU_CYCLE_1)
	s_and_saveexec_b32 s44, s8
	s_xor_b32 s8, exec_lo, s44
	s_cbranch_execz .LBB85_17
; %bb.16:                               ;   in Loop: Header=BB85_7 Depth=2
	global_load_b64 v[2:3], v[2:3], off offset:128
	s_waitcnt vmcnt(0)
	ds_store_b64 v40, v[2:3] offset:128
.LBB85_17:                              ;   in Loop: Header=BB85_7 Depth=2
	s_and_not1_saveexec_b32 s8, s8
	s_cbranch_execz .LBB85_23
; %bb.18:                               ;   in Loop: Header=BB85_7 Depth=2
	s_xor_b32 s9, s9, -1
	s_delay_alu instid0(SALU_CYCLE_1) | instskip(NEXT) | instid1(SALU_CYCLE_1)
	s_and_saveexec_b32 s44, s9
	s_xor_b32 s9, exec_lo, s44
	s_cbranch_execz .LBB85_20
; %bb.19:                               ;   in Loop: Header=BB85_7 Depth=2
	v_mov_b32_e32 v2, v15
	v_mov_b32_e32 v3, v15
	ds_store_b64 v40, v[2:3] offset:128
.LBB85_20:                              ;   in Loop: Header=BB85_7 Depth=2
	s_and_not1_saveexec_b32 s9, s9
	s_cbranch_execz .LBB85_22
; %bb.21:                               ;   in Loop: Header=BB85_7 Depth=2
	ds_store_b64 v40, v[14:15] offset:128
.LBB85_22:                              ;   in Loop: Header=BB85_7 Depth=2
	s_or_b32 exec_lo, exec_lo, s9
.LBB85_23:                              ;   in Loop: Header=BB85_7 Depth=2
	s_delay_alu instid0(SALU_CYCLE_1) | instskip(SKIP_2) | instid1(VALU_DEP_2)
	s_or_b32 exec_lo, exec_lo, s8
	v_cmp_eq_u64_e64 s8, s[30:31], v[32:33]
	v_cmp_lt_i64_e64 s9, v[0:1], v[30:31]
	s_and_b32 s8, s38, s8
	s_delay_alu instid0(VALU_DEP_1) | instskip(NEXT) | instid1(SALU_CYCLE_1)
	s_or_b32 s9, s4, s9
	s_or_b32 s9, s9, s8
	s_delay_alu instid0(SALU_CYCLE_1) | instskip(NEXT) | instid1(SALU_CYCLE_1)
	s_or_b32 s6, s6, s9
	s_xor_b32 s6, s6, -1
	s_delay_alu instid0(SALU_CYCLE_1) | instskip(NEXT) | instid1(SALU_CYCLE_1)
	s_and_saveexec_b32 s9, s6
	s_xor_b32 s9, exec_lo, s9
	s_cbranch_execz .LBB85_25
; %bb.24:                               ;   in Loop: Header=BB85_7 Depth=2
	v_add_co_u32 v0, s6, v24, v28
	s_delay_alu instid0(VALU_DEP_1)
	v_add_co_ci_u32_e64 v1, s6, v25, v29, s6
	global_load_b64 v[0:1], v[0:1], off
	s_waitcnt vmcnt(0)
	ds_store_b64 v40, v[0:1] offset:4096
.LBB85_25:                              ;   in Loop: Header=BB85_7 Depth=2
	s_and_not1_saveexec_b32 s6, s9
	s_cbranch_execz .LBB85_31
; %bb.26:                               ;   in Loop: Header=BB85_7 Depth=2
	s_xor_b32 s8, s8, -1
	s_delay_alu instid0(SALU_CYCLE_1) | instskip(NEXT) | instid1(SALU_CYCLE_1)
	s_and_saveexec_b32 s9, s8
	s_xor_b32 s8, exec_lo, s9
	s_cbranch_execz .LBB85_28
; %bb.27:                               ;   in Loop: Header=BB85_7 Depth=2
	v_mov_b32_e32 v0, v15
	v_mov_b32_e32 v1, v15
	ds_store_b64 v40, v[0:1] offset:4096
.LBB85_28:                              ;   in Loop: Header=BB85_7 Depth=2
	s_and_not1_saveexec_b32 s8, s8
	s_cbranch_execz .LBB85_30
; %bb.29:                               ;   in Loop: Header=BB85_7 Depth=2
	ds_store_b64 v40, v[14:15] offset:4096
.LBB85_30:                              ;   in Loop: Header=BB85_7 Depth=2
	s_or_b32 exec_lo, exec_lo, s8
.LBB85_31:                              ;   in Loop: Header=BB85_7 Depth=2
	s_delay_alu instid0(SALU_CYCLE_1) | instskip(SKIP_1) | instid1(SALU_CYCLE_1)
	s_or_b32 exec_lo, exec_lo, s6
	s_or_b32 s5, s4, s5
	s_or_b32 s5, s7, s5
	s_delay_alu instid0(SALU_CYCLE_1) | instskip(NEXT) | instid1(SALU_CYCLE_1)
	s_or_b32 s5, s5, s43
	s_xor_b32 s5, s5, -1
	s_delay_alu instid0(SALU_CYCLE_1) | instskip(NEXT) | instid1(SALU_CYCLE_1)
	s_and_saveexec_b32 s6, s5
	s_xor_b32 s6, exec_lo, s6
	s_cbranch_execz .LBB85_33
; %bb.32:                               ;   in Loop: Header=BB85_7 Depth=2
	v_add_co_u32 v0, s5, v24, v28
	s_delay_alu instid0(VALU_DEP_1)
	v_add_co_ci_u32_e64 v1, s5, v25, v29, s5
	global_load_b64 v[0:1], v[0:1], off offset:128
	s_waitcnt vmcnt(0)
	ds_store_b64 v40, v[0:1] offset:4224
.LBB85_33:                              ;   in Loop: Header=BB85_7 Depth=2
	s_and_not1_saveexec_b32 s5, s6
	s_cbranch_execz .LBB85_39
; %bb.34:                               ;   in Loop: Header=BB85_7 Depth=2
	s_and_saveexec_b32 s6, s42
	s_delay_alu instid0(SALU_CYCLE_1)
	s_xor_b32 s6, exec_lo, s6
	s_cbranch_execz .LBB85_36
; %bb.35:                               ;   in Loop: Header=BB85_7 Depth=2
	v_mov_b32_e32 v0, v15
	v_mov_b32_e32 v1, v15
	ds_store_b64 v40, v[0:1] offset:4224
.LBB85_36:                              ;   in Loop: Header=BB85_7 Depth=2
	s_and_not1_saveexec_b32 s6, s6
	s_cbranch_execz .LBB85_38
; %bb.37:                               ;   in Loop: Header=BB85_7 Depth=2
	ds_store_b64 v40, v[14:15] offset:4224
.LBB85_38:                              ;   in Loop: Header=BB85_7 Depth=2
	s_or_b32 exec_lo, exec_lo, s6
.LBB85_39:                              ;   in Loop: Header=BB85_7 Depth=2
	s_delay_alu instid0(SALU_CYCLE_1) | instskip(SKIP_1) | instid1(VALU_DEP_1)
	s_or_b32 exec_lo, exec_lo, s5
	v_add_co_u32 v0, s5, v12, s30
	v_add_co_ci_u32_e64 v1, s5, s31, v13, s5
	v_add_co_u32 v2, s6, v36, v18
	s_delay_alu instid0(VALU_DEP_1) | instskip(NEXT) | instid1(VALU_DEP_3)
	v_add_co_ci_u32_e64 v3, s6, v37, v19, s6
	v_cmp_le_i64_e64 s5, s[12:13], v[0:1]
	s_delay_alu instid0(VALU_DEP_1) | instskip(NEXT) | instid1(SALU_CYCLE_1)
	s_or_b32 s6, s5, vcc_lo
	s_xor_b32 s6, s6, -1
	s_delay_alu instid0(SALU_CYCLE_1) | instskip(NEXT) | instid1(SALU_CYCLE_1)
	s_and_saveexec_b32 s7, s6
	s_xor_b32 s6, exec_lo, s7
	s_cbranch_execz .LBB85_41
; %bb.40:                               ;   in Loop: Header=BB85_7 Depth=2
	global_load_b64 v[52:53], v[2:3], off offset:-128
	s_waitcnt vmcnt(0)
	ds_store_b64 v42, v[52:53]
.LBB85_41:                              ;   in Loop: Header=BB85_7 Depth=2
	s_and_not1_saveexec_b32 s6, s6
	s_cbranch_execz .LBB85_43
; %bb.42:                               ;   in Loop: Header=BB85_7 Depth=2
	v_mov_b32_e32 v52, v15
	v_mov_b32_e32 v53, v15
	ds_store_b64 v42, v[52:53]
.LBB85_43:                              ;   in Loop: Header=BB85_7 Depth=2
	s_or_b32 exec_lo, exec_lo, s6
	s_or_b32 s5, s5, s0
	s_delay_alu instid0(SALU_CYCLE_1) | instskip(NEXT) | instid1(SALU_CYCLE_1)
	s_xor_b32 s5, s5, -1
	s_and_saveexec_b32 s6, s5
	s_delay_alu instid0(SALU_CYCLE_1)
	s_xor_b32 s5, exec_lo, s6
	s_cbranch_execz .LBB85_45
; %bb.44:                               ;   in Loop: Header=BB85_7 Depth=2
	global_load_b64 v[2:3], v[2:3], off
	s_waitcnt vmcnt(0)
	ds_store_b64 v42, v[2:3] offset:128
.LBB85_45:                              ;   in Loop: Header=BB85_7 Depth=2
	s_and_not1_saveexec_b32 s5, s5
	s_cbranch_execz .LBB85_47
; %bb.46:                               ;   in Loop: Header=BB85_7 Depth=2
	v_mov_b32_e32 v2, v15
	v_mov_b32_e32 v3, v15
	ds_store_b64 v42, v[2:3] offset:128
.LBB85_47:                              ;   in Loop: Header=BB85_7 Depth=2
	s_or_b32 exec_lo, exec_lo, s5
	v_cmp_le_i64_e64 s5, s[26:27], v[0:1]
	s_delay_alu instid0(VALU_DEP_1) | instskip(NEXT) | instid1(SALU_CYCLE_1)
	s_or_b32 s6, s5, vcc_lo
	s_xor_b32 s6, s6, -1
	s_delay_alu instid0(SALU_CYCLE_1) | instskip(NEXT) | instid1(SALU_CYCLE_1)
	s_and_saveexec_b32 s7, s6
	s_xor_b32 s7, exec_lo, s7
	s_cbranch_execz .LBB85_49
; %bb.48:                               ;   in Loop: Header=BB85_7 Depth=2
	v_add_co_u32 v0, s6, v36, v26
	s_delay_alu instid0(VALU_DEP_1)
	v_add_co_ci_u32_e64 v1, s6, v37, v27, s6
	global_load_b64 v[0:1], v[0:1], off offset:-128
	s_waitcnt vmcnt(0)
	ds_store_b64 v42, v[0:1] offset:4096
.LBB85_49:                              ;   in Loop: Header=BB85_7 Depth=2
	s_and_not1_saveexec_b32 s6, s7
	s_cbranch_execz .LBB85_51
; %bb.50:                               ;   in Loop: Header=BB85_7 Depth=2
	v_mov_b32_e32 v0, v15
	v_mov_b32_e32 v1, v15
	ds_store_b64 v42, v[0:1] offset:4096
.LBB85_51:                              ;   in Loop: Header=BB85_7 Depth=2
	s_or_b32 exec_lo, exec_lo, s6
	s_or_b32 s5, s5, s0
	s_delay_alu instid0(SALU_CYCLE_1) | instskip(NEXT) | instid1(SALU_CYCLE_1)
	s_xor_b32 s5, s5, -1
	s_and_saveexec_b32 s6, s5
	s_delay_alu instid0(SALU_CYCLE_1)
	s_xor_b32 s6, exec_lo, s6
	s_cbranch_execz .LBB85_53
; %bb.52:                               ;   in Loop: Header=BB85_7 Depth=2
	v_add_co_u32 v0, s5, v36, v26
	s_delay_alu instid0(VALU_DEP_1)
	v_add_co_ci_u32_e64 v1, s5, v37, v27, s5
	global_load_b64 v[0:1], v[0:1], off
	s_waitcnt vmcnt(0)
	ds_store_b64 v42, v[0:1] offset:4224
.LBB85_53:                              ;   in Loop: Header=BB85_7 Depth=2
	s_and_not1_saveexec_b32 s5, s6
	s_cbranch_execz .LBB85_6
; %bb.54:                               ;   in Loop: Header=BB85_7 Depth=2
	v_mov_b32_e32 v0, v15
	v_mov_b32_e32 v1, v15
	ds_store_b64 v42, v[0:1] offset:4224
	s_branch .LBB85_6
.LBB85_55:                              ;   in Loop: Header=BB85_4 Depth=1
	v_mul_lo_u32 v2, v17, s40
	v_mul_lo_u32 v3, v16, s41
	v_mad_u64_u32 v[0:1], null, v16, s40, 0
	v_cmp_gt_i32_e64 s3, s10, v16
	s_delay_alu instid0(VALU_DEP_2) | instskip(NEXT) | instid1(VALU_DEP_1)
	v_add3_u32 v1, v1, v3, v2
	v_lshlrev_b64 v[0:1], 3, v[0:1]
	s_delay_alu instid0(VALU_DEP_1) | instskip(NEXT) | instid1(VALU_DEP_1)
	v_add_co_u32 v0, s4, s36, v0
	v_add_co_ci_u32_e64 v1, s4, s37, v1, s4
	s_and_b32 s4, s1, s3
	s_delay_alu instid0(SALU_CYCLE_1)
	s_and_saveexec_b32 s5, s4
	s_cbranch_execz .LBB85_57
; %bb.56:                               ;   in Loop: Header=BB85_4 Depth=1
	v_add_co_u32 v2, s4, v0, v6
	s_delay_alu instid0(VALU_DEP_1) | instskip(SKIP_4) | instid1(VALU_DEP_1)
	v_add_co_ci_u32_e64 v3, s4, v1, v7, s4
	v_mul_f32_e32 v13, s11, v51
	global_load_b64 v[17:18], v[2:3], off
	v_fmac_f32_e32 v13, s33, v50
	s_waitcnt vmcnt(0)
	v_dual_mul_f32 v11, s33, v51 :: v_dual_add_f32 v18, v18, v13
	s_delay_alu instid0(VALU_DEP_1) | instskip(NEXT) | instid1(VALU_DEP_1)
	v_fma_f32 v11, v50, s11, -v11
	v_add_f32_e32 v17, v17, v11
	global_store_b64 v[2:3], v[17:18], off
.LBB85_57:                              ;   in Loop: Header=BB85_4 Depth=1
	s_or_b32 exec_lo, exec_lo, s5
	s_and_b32 s3, s2, s3
	s_delay_alu instid0(SALU_CYCLE_1)
	s_and_saveexec_b32 s4, s3
	s_cbranch_execz .LBB85_59
; %bb.58:                               ;   in Loop: Header=BB85_4 Depth=1
	v_lshlrev_b64 v[2:3], 3, v[4:5]
	v_mul_f32_e32 v11, s33, v49
	s_delay_alu instid0(VALU_DEP_1) | instskip(NEXT) | instid1(VALU_DEP_3)
	v_fma_f32 v11, v48, s11, -v11
	v_add_co_u32 v0, s3, v0, v2
	s_delay_alu instid0(VALU_DEP_1) | instskip(SKIP_3) | instid1(VALU_DEP_1)
	v_add_co_ci_u32_e64 v1, s3, v1, v3, s3
	global_load_b64 v[2:3], v[0:1], off
	s_waitcnt vmcnt(0)
	v_dual_mul_f32 v13, s11, v49 :: v_dual_add_f32 v2, v2, v11
	v_fmac_f32_e32 v13, s33, v48
	s_delay_alu instid0(VALU_DEP_1)
	v_add_f32_e32 v3, v3, v13
	global_store_b64 v[0:1], v[2:3], off
.LBB85_59:                              ;   in Loop: Header=BB85_4 Depth=1
	s_or_b32 exec_lo, exec_lo, s4
	v_add_nc_u32_e32 v2, 16, v16
	s_delay_alu instid0(VALU_DEP_1) | instskip(SKIP_3) | instid1(VALU_DEP_4)
	v_ashrrev_i32_e32 v3, 31, v2
	v_mul_lo_u32 v11, v2, s41
	v_mad_u64_u32 v[0:1], null, v2, s40, 0
	v_cmp_gt_i32_e64 s3, s10, v2
	v_mul_lo_u32 v3, v3, s40
	s_delay_alu instid0(VALU_DEP_1) | instskip(NEXT) | instid1(VALU_DEP_1)
	v_add3_u32 v1, v1, v11, v3
	v_lshlrev_b64 v[0:1], 3, v[0:1]
	s_delay_alu instid0(VALU_DEP_1) | instskip(NEXT) | instid1(VALU_DEP_1)
	v_add_co_u32 v0, s4, s36, v0
	v_add_co_ci_u32_e64 v1, s4, s37, v1, s4
	s_and_b32 s4, s1, s3
	s_delay_alu instid0(SALU_CYCLE_1)
	s_and_saveexec_b32 s5, s4
	s_cbranch_execz .LBB85_61
; %bb.60:                               ;   in Loop: Header=BB85_4 Depth=1
	v_add_co_u32 v2, s4, v0, v6
	s_delay_alu instid0(VALU_DEP_1)
	v_add_co_ci_u32_e64 v3, s4, v1, v7, s4
	v_mul_f32_e32 v11, s33, v47
	v_mul_f32_e32 v13, s11, v47
	global_load_b64 v[16:17], v[2:3], off
	v_fma_f32 v11, v46, s11, -v11
	s_waitcnt vmcnt(0)
	s_delay_alu instid0(VALU_DEP_1) | instskip(NEXT) | instid1(VALU_DEP_1)
	v_dual_fmac_f32 v13, s33, v46 :: v_dual_add_f32 v16, v16, v11
	v_add_f32_e32 v17, v17, v13
	global_store_b64 v[2:3], v[16:17], off
.LBB85_61:                              ;   in Loop: Header=BB85_4 Depth=1
	s_or_b32 exec_lo, exec_lo, s5
	s_and_b32 s3, s2, s3
	s_delay_alu instid0(SALU_CYCLE_1)
	s_and_saveexec_b32 s4, s3
	s_cbranch_execz .LBB85_3
; %bb.62:                               ;   in Loop: Header=BB85_4 Depth=1
	v_lshlrev_b64 v[2:3], 3, v[4:5]
	v_mul_f32_e32 v11, s33, v44
	s_delay_alu instid0(VALU_DEP_1) | instskip(NEXT) | instid1(VALU_DEP_3)
	v_fma_f32 v11, v45, s11, -v11
	v_add_co_u32 v0, s3, v0, v2
	s_delay_alu instid0(VALU_DEP_1) | instskip(SKIP_3) | instid1(VALU_DEP_1)
	v_add_co_ci_u32_e64 v1, s3, v1, v3, s3
	global_load_b64 v[2:3], v[0:1], off
	s_waitcnt vmcnt(0)
	v_dual_mul_f32 v13, s11, v44 :: v_dual_add_f32 v2, v2, v11
	v_fmac_f32_e32 v13, s33, v45
	s_delay_alu instid0(VALU_DEP_1)
	v_add_f32_e32 v3, v3, v13
	global_store_b64 v[0:1], v[2:3], off
	s_branch .LBB85_3
.LBB85_63:
	s_nop 0
	s_sendmsg sendmsg(MSG_DEALLOC_VGPRS)
	s_endpgm
	.section	.rodata,"a",@progbits
	.p2align	6, 0x0
	.amdhsa_kernel _ZL30rocblas_trmm_outofplace_kernelI19rocblas_complex_numIfELi32ELi2ELb0ELb0ELb0ELb0ES1_KS1_S1_Ev17rocblas_diagonal_iiT6_lPT7_lllS6_lllPT8_llli
		.amdhsa_group_segment_fixed_size 16384
		.amdhsa_private_segment_fixed_size 0
		.amdhsa_kernarg_size 392
		.amdhsa_user_sgpr_count 13
		.amdhsa_user_sgpr_dispatch_ptr 0
		.amdhsa_user_sgpr_queue_ptr 0
		.amdhsa_user_sgpr_kernarg_segment_ptr 1
		.amdhsa_user_sgpr_dispatch_id 0
		.amdhsa_user_sgpr_private_segment_size 0
		.amdhsa_wavefront_size32 1
		.amdhsa_uses_dynamic_stack 0
		.amdhsa_enable_private_segment 0
		.amdhsa_system_sgpr_workgroup_id_x 1
		.amdhsa_system_sgpr_workgroup_id_y 1
		.amdhsa_system_sgpr_workgroup_id_z 1
		.amdhsa_system_sgpr_workgroup_info 0
		.amdhsa_system_vgpr_workitem_id 1
		.amdhsa_next_free_vgpr 86
		.amdhsa_next_free_sgpr 45
		.amdhsa_reserve_vcc 1
		.amdhsa_float_round_mode_32 0
		.amdhsa_float_round_mode_16_64 0
		.amdhsa_float_denorm_mode_32 3
		.amdhsa_float_denorm_mode_16_64 3
		.amdhsa_dx10_clamp 1
		.amdhsa_ieee_mode 1
		.amdhsa_fp16_overflow 0
		.amdhsa_workgroup_processor_mode 1
		.amdhsa_memory_ordered 1
		.amdhsa_forward_progress 0
		.amdhsa_shared_vgpr_count 0
		.amdhsa_exception_fp_ieee_invalid_op 0
		.amdhsa_exception_fp_denorm_src 0
		.amdhsa_exception_fp_ieee_div_zero 0
		.amdhsa_exception_fp_ieee_overflow 0
		.amdhsa_exception_fp_ieee_underflow 0
		.amdhsa_exception_fp_ieee_inexact 0
		.amdhsa_exception_int_div_zero 0
	.end_amdhsa_kernel
	.section	.text._ZL30rocblas_trmm_outofplace_kernelI19rocblas_complex_numIfELi32ELi2ELb0ELb0ELb0ELb0ES1_KS1_S1_Ev17rocblas_diagonal_iiT6_lPT7_lllS6_lllPT8_llli,"axG",@progbits,_ZL30rocblas_trmm_outofplace_kernelI19rocblas_complex_numIfELi32ELi2ELb0ELb0ELb0ELb0ES1_KS1_S1_Ev17rocblas_diagonal_iiT6_lPT7_lllS6_lllPT8_llli,comdat
.Lfunc_end85:
	.size	_ZL30rocblas_trmm_outofplace_kernelI19rocblas_complex_numIfELi32ELi2ELb0ELb0ELb0ELb0ES1_KS1_S1_Ev17rocblas_diagonal_iiT6_lPT7_lllS6_lllPT8_llli, .Lfunc_end85-_ZL30rocblas_trmm_outofplace_kernelI19rocblas_complex_numIfELi32ELi2ELb0ELb0ELb0ELb0ES1_KS1_S1_Ev17rocblas_diagonal_iiT6_lPT7_lllS6_lllPT8_llli
                                        ; -- End function
	.section	.AMDGPU.csdata,"",@progbits
; Kernel info:
; codeLenInByte = 7400
; NumSgprs: 47
; NumVgprs: 86
; ScratchSize: 0
; MemoryBound: 1
; FloatMode: 240
; IeeeMode: 1
; LDSByteSize: 16384 bytes/workgroup (compile time only)
; SGPRBlocks: 5
; VGPRBlocks: 10
; NumSGPRsForWavesPerEU: 47
; NumVGPRsForWavesPerEU: 86
; Occupancy: 16
; WaveLimiterHint : 0
; COMPUTE_PGM_RSRC2:SCRATCH_EN: 0
; COMPUTE_PGM_RSRC2:USER_SGPR: 13
; COMPUTE_PGM_RSRC2:TRAP_HANDLER: 0
; COMPUTE_PGM_RSRC2:TGID_X_EN: 1
; COMPUTE_PGM_RSRC2:TGID_Y_EN: 1
; COMPUTE_PGM_RSRC2:TGID_Z_EN: 1
; COMPUTE_PGM_RSRC2:TIDIG_COMP_CNT: 1
	.section	.text._ZL30rocblas_trmm_outofplace_kernelI19rocblas_complex_numIfELi32ELi2ELb0ELb1ELb0ELb0EPKS1_S2_S1_Ev17rocblas_diagonal_iiT6_lPT7_lllS7_lllPT8_llli,"axG",@progbits,_ZL30rocblas_trmm_outofplace_kernelI19rocblas_complex_numIfELi32ELi2ELb0ELb1ELb0ELb0EPKS1_S2_S1_Ev17rocblas_diagonal_iiT6_lPT7_lllS7_lllPT8_llli,comdat
	.globl	_ZL30rocblas_trmm_outofplace_kernelI19rocblas_complex_numIfELi32ELi2ELb0ELb1ELb0ELb0EPKS1_S2_S1_Ev17rocblas_diagonal_iiT6_lPT7_lllS7_lllPT8_llli ; -- Begin function _ZL30rocblas_trmm_outofplace_kernelI19rocblas_complex_numIfELi32ELi2ELb0ELb1ELb0ELb0EPKS1_S2_S1_Ev17rocblas_diagonal_iiT6_lPT7_lllS7_lllPT8_llli
	.p2align	8
	.type	_ZL30rocblas_trmm_outofplace_kernelI19rocblas_complex_numIfELi32ELi2ELb0ELb1ELb0ELb0EPKS1_S2_S1_Ev17rocblas_diagonal_iiT6_lPT7_lllS7_lllPT8_llli,@function
_ZL30rocblas_trmm_outofplace_kernelI19rocblas_complex_numIfELi32ELi2ELb0ELb1ELb0ELb0EPKS1_S2_S1_Ev17rocblas_diagonal_iiT6_lPT7_lllS7_lllPT8_llli: ; @_ZL30rocblas_trmm_outofplace_kernelI19rocblas_complex_numIfELi32ELi2ELb0ELb1ELb0ELb0EPKS1_S2_S1_Ev17rocblas_diagonal_iiT6_lPT7_lllS7_lllPT8_llli
; %bb.0:
	s_load_b512 s[16:31], s[0:1], 0x10
	s_waitcnt lgkmcnt(0)
	s_mul_i32 s2, s15, s19
	s_mul_hi_u32 s3, s15, s18
	s_delay_alu instid0(SALU_CYCLE_1) | instskip(SKIP_1) | instid1(SALU_CYCLE_1)
	s_add_i32 s3, s3, s2
	s_mul_i32 s2, s15, s18
	s_lshl_b64 s[2:3], s[2:3], 3
	s_delay_alu instid0(SALU_CYCLE_1) | instskip(SKIP_4) | instid1(SALU_CYCLE_1)
	s_add_u32 s2, s16, s2
	s_addc_u32 s3, s17, s3
	s_load_b64 s[34:35], s[2:3], 0x0
	s_waitcnt lgkmcnt(0)
	s_or_b32 s2, s34, s35
	s_bitset0_b32 s2, 31
	s_delay_alu instid0(SALU_CYCLE_1)
	s_cmp_eq_u32 s2, 0
	s_cbranch_scc1 .LBB86_63
; %bb.1:
	s_load_b128 s[16:19], s[0:1], 0x0
	s_waitcnt lgkmcnt(0)
	s_add_i32 s2, s18, -1
	s_delay_alu instid0(SALU_CYCLE_1) | instskip(NEXT) | instid1(SALU_CYCLE_1)
	s_ashr_i32 s3, s2, 31
	s_lshr_b32 s3, s3, 27
	s_delay_alu instid0(SALU_CYCLE_1) | instskip(NEXT) | instid1(SALU_CYCLE_1)
	s_add_i32 s2, s2, s3
	s_ashr_i32 s33, s2, 5
	s_delay_alu instid0(SALU_CYCLE_1)
	s_cmp_gt_i32 s14, s33
	s_cbranch_scc1 .LBB86_63
; %bb.2:
	s_clause 0x2
	s_load_b256 s[4:11], s[0:1], 0x50
	s_load_b128 s[36:39], s[0:1], 0x70
	s_load_b32 s40, s[0:1], 0x8c
	v_bfe_u32 v35, v0, 10, 10
	v_dual_mov_b32 v5, 0 :: v_dual_and_b32 v34, 0x3ff, v0
	s_delay_alu instid0(VALU_DEP_1) | instskip(NEXT) | instid1(VALU_DEP_1)
	v_lshl_add_u32 v0, s13, 5, v34
	v_ashrrev_i32_e32 v1, 31, v0
	v_cmp_gt_i32_e32 vcc_lo, s17, v0
	v_add_nc_u32_e32 v6, 16, v0
	s_delay_alu instid0(VALU_DEP_3)
	v_lshlrev_b64 v[14:15], 3, v[0:1]
	s_waitcnt lgkmcnt(0)
	v_mad_u64_u32 v[2:3], null, s4, v35, 0
	s_mul_i32 s1, s15, s39
	s_mul_hi_u32 s2, s15, s38
	s_mul_i32 s0, s15, s38
	s_add_i32 s1, s2, s1
	s_delay_alu instid0(SALU_CYCLE_1) | instskip(NEXT) | instid1(VALU_DEP_1)
	s_lshl_b64 s[0:1], s[0:1], 3
	v_mad_u64_u32 v[9:10], null, s5, v35, v[3:4]
	v_lshl_add_u32 v4, v35, 3, 0x80
	s_add_u32 s2, s8, s0
	s_addc_u32 s3, s9, s1
	s_lshl_b64 s[0:1], s[10:11], 3
	v_lshlrev_b32_e32 v36, 3, v34
	s_add_u32 s38, s2, s0
	s_delay_alu instid0(VALU_DEP_3)
	v_mov_b32_e32 v3, v9
	s_addc_u32 s39, s3, s1
	v_mad_u64_u32 v[12:13], null, s4, v4, 0
	s_cmpk_eq_i32 s16, 0x84
	v_sub_co_u32 v42, s3, 0, v34
	s_cselect_b32 s41, -1, 0
	s_ashr_i32 s1, s17, 31
	s_ashr_i32 s19, s18, 31
	s_lshl_b64 s[10:11], s[4:5], 8
	v_sub_co_ci_u32_e64 v43, null, 0, 0, s3
	s_mul_i32 s3, s7, s15
	s_mul_hi_u32 s7, s6, s15
	s_add_u32 s12, s18, -16
	s_addc_u32 s13, s19, -1
	s_add_i32 s7, s7, s3
	s_mul_i32 s6, s6, s15
	s_lshl_b64 s[8:9], s[30:31], 3
	s_lshl_b64 s[6:7], s[6:7], 3
	v_lshlrev_b32_e32 v37, 8, v35
	v_sub_co_u32 v7, s0, s17, v0
	v_mov_b32_e32 v0, v13
	s_lshl_b32 s42, s40, 5
	s_add_u32 s3, s6, s8
	s_addc_u32 s6, s7, s9
	s_add_u32 s3, s28, s3
	v_sub_co_ci_u32_e64 v8, s0, s1, v1, s0
	v_lshlrev_b64 v[10:11], 3, v[2:3]
	s_addc_u32 s8, s29, s6
	v_add_co_u32 v3, s3, s3, v14
	v_mad_u64_u32 v[1:2], null, s5, v4, v[0:1]
	s_mul_i32 s4, s27, s15
	s_mul_hi_u32 s7, s26, s15
	v_add_co_ci_u32_e64 v9, s3, s8, v15, s3
	v_or_b32_e32 v39, 0x2000, v36
	s_add_i32 s7, s7, s4
	s_mul_i32 s6, s26, s15
	v_add_co_u32 v16, s3, 0x80, v3
	s_lshl_b64 s[6:7], s[6:7], 3
	s_lshl_b64 s[4:5], s[22:23], 3
	v_cmp_gt_i64_e64 s0, 1, v[7:8]
	v_cmp_gt_i64_e64 s1, 17, v[7:8]
	v_add_co_ci_u32_e64 v17, s3, 0, v9, s3
	v_add_nc_u32_e32 v38, v37, v36
	v_add_nc_u32_e32 v40, v39, v37
	v_dual_mov_b32 v4, 1.0 :: v_dual_add_nc_u32 v41, 0x2080, v36
	v_lshl_add_u32 v8, s14, 5, v35
	s_add_u32 s3, s6, s4
	v_mov_b32_e32 v13, v1
	v_cmp_gt_i32_e64 s2, s17, v6
	v_ashrrev_i32_e32 v7, 31, v6
	s_addc_u32 s4, s7, s5
	s_add_u32 s16, s20, s3
	s_addc_u32 s17, s21, s4
	s_lshl_b64 s[20:21], s[24:25], 3
	s_branch .LBB86_4
.LBB86_3:                               ;   in Loop: Header=BB86_4 Depth=1
	s_or_b32 exec_lo, exec_lo, s4
	v_add_nc_u32_e32 v8, s42, v8
	s_add_i32 s14, s40, s14
	s_delay_alu instid0(SALU_CYCLE_1)
	s_cmp_le_i32 s14, s33
	s_cbranch_scc0 .LBB86_63
.LBB86_4:                               ; =>This Loop Header: Depth=1
                                        ;     Child Loop BB86_7 Depth 2
	s_lshl_b32 s15, s14, 5
	s_delay_alu instid0(SALU_CYCLE_1)
	v_dual_mov_b32 v49, v5 :: v_dual_add_nc_u32 v18, s15, v35
	v_mov_b32_e32 v50, v5
	v_mov_b32_e32 v47, v5
	;; [unrolled: 1-line block ×4, first 2 shown]
	v_ashrrev_i32_e32 v19, 31, v18
	v_mov_b32_e32 v46, v5
	v_mov_b32_e32 v44, v5
	;; [unrolled: 1-line block ×3, first 2 shown]
	s_cmp_lt_i32 s14, 0
	s_cbranch_scc1 .LBB86_55
; %bb.5:                                ;   in Loop: Header=BB86_4 Depth=1
	v_ashrrev_i32_e32 v9, 31, v8
	v_add_co_u32 v24, s4, v18, 16
	s_delay_alu instid0(VALU_DEP_1) | instskip(NEXT) | instid1(VALU_DEP_3)
	v_add_co_ci_u32_e64 v25, s4, 0, v19, s4
	v_lshlrev_b64 v[0:1], 3, v[8:9]
	v_add_co_u32 v26, s4, v42, v8
	v_mad_u64_u32 v[20:21], null, s20, v8, s[16:17]
	v_mul_lo_u32 v2, s21, v8
	s_delay_alu instid0(VALU_DEP_4) | instskip(NEXT) | instid1(VALU_DEP_1)
	v_add_co_u32 v0, s3, 0x80, v0
	v_add_co_ci_u32_e64 v1, s3, 0, v1, s3
	v_mul_lo_u32 v3, s20, v9
	s_delay_alu instid0(VALU_DEP_3) | instskip(SKIP_1) | instid1(VALU_DEP_4)
	v_mul_lo_u32 v28, s25, v0
	v_mad_u64_u32 v[22:23], null, s24, v0, s[16:17]
	v_mul_lo_u32 v1, s24, v1
	v_add_co_ci_u32_e64 v27, s4, v43, v9, s4
	v_cmp_le_i64_e64 s4, s[18:19], v[24:25]
	v_dual_mov_b32 v33, v17 :: v_dual_mov_b32 v44, 0
	v_cmp_le_i32_e64 s3, s18, v18
	v_add3_u32 v21, v2, v21, v3
	v_add3_u32 v23, v28, v23, v1
	v_add_co_u32 v28, s5, v26, 16
	s_delay_alu instid0(VALU_DEP_1) | instskip(SKIP_1) | instid1(VALU_DEP_1)
	v_add_co_ci_u32_e64 v29, s5, 0, v27, s5
	v_add_co_u32 v30, s5, v26, -16
	v_add_co_ci_u32_e64 v31, s5, -1, v27, s5
	v_dual_mov_b32 v9, 0 :: v_dual_mov_b32 v32, v16
	v_dual_mov_b32 v46, 0 :: v_dual_mov_b32 v45, 0
	;; [unrolled: 1-line block ×4, first 2 shown]
	s_mov_b64 s[22:23], 0
	s_branch .LBB86_7
.LBB86_6:                               ;   in Loop: Header=BB86_7 Depth=2
	s_or_b32 exec_lo, exec_lo, s5
	s_waitcnt lgkmcnt(0)
	s_waitcnt_vscnt null, 0x0
	s_barrier
	buffer_gl0_inv
	ds_load_2addr_b64 v[51:54], v39 offset1:32
	ds_load_b128 v[55:58], v37
	ds_load_2addr_b64 v[59:62], v41 offset1:32
	ds_load_b128 v[63:66], v37 offset:4096
	ds_load_b128 v[67:70], v37 offset:16
	ds_load_b128 v[71:74], v37 offset:32
	ds_load_b128 v[0:3], v37 offset:48
	ds_load_b128 v[75:78], v37 offset:4112
	v_add_co_u32 v32, s5, v32, s10
	s_delay_alu instid0(VALU_DEP_1) | instskip(SKIP_1) | instid1(VALU_DEP_1)
	v_add_co_ci_u32_e64 v33, s5, s11, v33, s5
	v_add_co_u32 v20, s5, 0x100, v20
	v_add_co_ci_u32_e64 v21, s5, 0, v21, s5
	v_add_co_u32 v22, s5, 0x100, v22
	s_add_u32 s22, s22, 32
	v_add_co_ci_u32_e64 v23, s5, 0, v23, s5
	s_waitcnt lgkmcnt(6)
	v_mul_f32_e32 v79, v56, v52
	s_waitcnt lgkmcnt(5)
	v_mul_f32_e32 v81, v56, v60
	v_mul_f32_e32 v82, v55, v60
	s_waitcnt lgkmcnt(4)
	v_mul_f32_e32 v84, v64, v60
	v_mul_f32_e32 v60, v63, v60
	;; [unrolled: 1-line block ×3, first 2 shown]
	s_addc_u32 s23, s23, 0
	s_sub_i32 s6, s22, 32
	s_delay_alu instid0(VALU_DEP_2) | instskip(SKIP_1) | instid1(VALU_DEP_1)
	v_fmac_f32_e32 v60, v64, v59
	s_cmp_ge_i32 s6, s15
	v_dual_add_f32 v9, v9, v60 :: v_dual_mul_f32 v60, v58, v62
	v_fma_f32 v79, v55, v51, -v79
	s_delay_alu instid0(VALU_DEP_1) | instskip(NEXT) | instid1(VALU_DEP_1)
	v_dual_mul_f32 v80, v55, v52 :: v_dual_add_f32 v49, v49, v79
	v_fmac_f32_e32 v80, v56, v51
	v_fmac_f32_e32 v82, v56, v59
	v_mul_f32_e32 v52, v63, v52
	v_fma_f32 v56, v63, v51, -v83
	s_delay_alu instid0(VALU_DEP_3) | instskip(SKIP_3) | instid1(VALU_DEP_2)
	v_add_f32_e32 v79, v48, v82
	v_mul_f32_e32 v82, v66, v54
	v_fma_f32 v55, v55, v59, -v81
	v_dual_fmac_f32 v52, v64, v51 :: v_dual_mul_f32 v81, v57, v62
	v_add_f32_e32 v55, v47, v55
	v_fma_f32 v51, v63, v59, -v84
	v_mul_f32_e32 v59, v57, v54
	s_delay_alu instid0(VALU_DEP_2) | instskip(NEXT) | instid1(VALU_DEP_2)
	v_dual_fmac_f32 v81, v58, v61 :: v_dual_add_f32 v64, v44, v51
	v_fmac_f32_e32 v59, v58, v53
	v_add_f32_e32 v63, v50, v80
	v_dual_add_f32 v56, v45, v56 :: v_dual_mul_f32 v45, v58, v54
	v_mul_f32_e32 v54, v65, v54
	v_fma_f32 v58, v65, v53, -v82
	s_delay_alu instid0(VALU_DEP_4) | instskip(NEXT) | instid1(VALU_DEP_4)
	v_add_f32_e32 v59, v63, v59
	v_fma_f32 v48, v57, v53, -v45
	v_fma_f32 v57, v57, v61, -v60
	v_add_f32_e32 v52, v46, v52
	ds_load_2addr_b64 v[44:47], v39 offset0:64 offset1:96
	v_add_f32_e32 v60, v79, v81
	v_dual_add_f32 v80, v49, v48 :: v_dual_add_f32 v55, v55, v57
	v_mul_f32_e32 v57, v66, v62
	ds_load_2addr_b64 v[48:51], v41 offset0:64 offset1:96
	v_dual_fmac_f32 v54, v66, v53 :: v_dual_add_f32 v53, v56, v58
	v_fma_f32 v57, v65, v61, -v57
	s_delay_alu instid0(VALU_DEP_1) | instskip(NEXT) | instid1(VALU_DEP_1)
	v_dual_mul_f32 v56, v65, v62 :: v_dual_add_f32 v57, v64, v57
	v_fmac_f32_e32 v56, v66, v61
	s_delay_alu instid0(VALU_DEP_1)
	v_dual_add_f32 v9, v9, v56 :: v_dual_add_f32 v52, v52, v54
	s_waitcnt lgkmcnt(1)
	v_dual_mul_f32 v54, v67, v45 :: v_dual_mul_f32 v63, v78, v47
	s_waitcnt lgkmcnt(0)
	v_mul_f32_e32 v56, v67, v49
	v_mul_f32_e32 v66, v69, v51
	s_delay_alu instid0(VALU_DEP_3) | instskip(NEXT) | instid1(VALU_DEP_2)
	v_fmac_f32_e32 v54, v68, v44
	v_dual_mul_f32 v61, v68, v49 :: v_dual_fmac_f32 v66, v70, v50
	s_delay_alu instid0(VALU_DEP_2) | instskip(SKIP_1) | instid1(VALU_DEP_3)
	v_add_f32_e32 v62, v59, v54
	v_mul_f32_e32 v54, v76, v45
	v_fma_f32 v61, v67, v48, -v61
	s_delay_alu instid0(VALU_DEP_2) | instskip(SKIP_2) | instid1(VALU_DEP_4)
	v_fma_f32 v54, v75, v44, -v54
	v_mul_f32_e32 v58, v68, v45
	v_mul_f32_e32 v45, v75, v45
	v_add_f32_e32 v61, v55, v61
	s_delay_alu instid0(VALU_DEP_4) | instskip(NEXT) | instid1(VALU_DEP_4)
	v_add_f32_e32 v65, v53, v54
	v_fma_f32 v58, v67, v44, -v58
	s_delay_alu instid0(VALU_DEP_4) | instskip(SKIP_1) | instid1(VALU_DEP_3)
	v_dual_fmac_f32 v45, v76, v44 :: v_dual_mul_f32 v44, v75, v49
	v_dual_mul_f32 v53, v70, v47 :: v_dual_fmac_f32 v56, v68, v48
	v_add_f32_e32 v58, v80, v58
	v_mul_f32_e32 v55, v76, v49
	s_delay_alu instid0(VALU_DEP_4) | instskip(SKIP_2) | instid1(VALU_DEP_4)
	v_fmac_f32_e32 v44, v76, v48
	v_add_f32_e32 v45, v52, v45
	v_fma_f32 v68, v77, v46, -v63
	v_fma_f32 v49, v75, v48, -v55
	s_delay_alu instid0(VALU_DEP_1) | instskip(SKIP_3) | instid1(VALU_DEP_3)
	v_add_f32_e32 v48, v57, v49
	v_mul_f32_e32 v49, v69, v47
	v_mul_f32_e32 v57, v70, v51
	;; [unrolled: 1-line block ×3, first 2 shown]
	v_dual_fmac_f32 v49, v70, v46 :: v_dual_add_f32 v64, v60, v56
	v_fma_f32 v56, v69, v46, -v53
	ds_load_2addr_b64 v[52:55], v39 offset0:128 offset1:160
	v_fma_f32 v60, v69, v50, -v57
	v_add_f32_e32 v49, v62, v49
	v_add_f32_e32 v9, v9, v44
	;; [unrolled: 1-line block ×3, first 2 shown]
	ds_load_2addr_b64 v[56:59], v41 offset0:128 offset1:160
	v_add_f32_e32 v67, v61, v60
	ds_load_b128 v[60:63], v37 offset:4128
	v_add_f32_e32 v64, v64, v66
	v_mul_f32_e32 v66, v78, v51
	v_dual_fmac_f32 v47, v78, v46 :: v_dual_mul_f32 v46, v77, v51
	v_add_f32_e32 v51, v65, v68
	s_waitcnt lgkmcnt(2)
	s_delay_alu instid0(VALU_DEP_2) | instskip(SKIP_1) | instid1(VALU_DEP_2)
	v_dual_add_f32 v68, v45, v47 :: v_dual_mul_f32 v65, v72, v53
	v_fma_f32 v66, v77, v50, -v66
	v_fma_f32 v45, v71, v52, -v65
	s_waitcnt lgkmcnt(1)
	v_dual_mul_f32 v47, v72, v57 :: v_dual_fmac_f32 v46, v78, v50
	v_mul_f32_e32 v50, v71, v53
	s_delay_alu instid0(VALU_DEP_3) | instskip(NEXT) | instid1(VALU_DEP_3)
	v_add_f32_e32 v65, v44, v45
	v_fma_f32 v69, v71, v56, -v47
	s_delay_alu instid0(VALU_DEP_4) | instskip(SKIP_3) | instid1(VALU_DEP_1)
	v_add_f32_e32 v9, v9, v46
	v_add_f32_e32 v48, v48, v66
	ds_load_b128 v[44:47], v37 offset:4144
	v_fmac_f32_e32 v50, v72, v52
	v_dual_mul_f32 v66, v71, v57 :: v_dual_add_f32 v71, v49, v50
	s_delay_alu instid0(VALU_DEP_1)
	v_fmac_f32_e32 v66, v72, v56
	s_waitcnt lgkmcnt(1)
	v_mul_f32_e32 v70, v61, v53
	v_mul_f32_e32 v49, v60, v53
	v_add_f32_e32 v53, v67, v69
	v_mul_f32_e32 v67, v61, v57
	v_add_f32_e32 v69, v64, v66
	v_fma_f32 v50, v60, v52, -v70
	v_dual_fmac_f32 v49, v61, v52 :: v_dual_mul_f32 v52, v60, v57
	s_delay_alu instid0(VALU_DEP_2) | instskip(SKIP_2) | instid1(VALU_DEP_4)
	v_add_f32_e32 v57, v51, v50
	v_mul_f32_e32 v51, v74, v55
	v_fma_f32 v50, v60, v56, -v67
	v_add_f32_e32 v60, v68, v49
	v_fmac_f32_e32 v52, v61, v56
	v_mul_f32_e32 v56, v73, v55
	v_fma_f32 v64, v73, v54, -v51
	v_add_f32_e32 v61, v48, v50
	ds_load_2addr_b64 v[48:51], v39 offset0:192 offset1:224
	v_mul_f32_e32 v72, v63, v55
	v_dual_mul_f32 v55, v62, v55 :: v_dual_add_f32 v68, v65, v64
	ds_load_2addr_b64 v[64:67], v41 offset0:192 offset1:224
	v_fmac_f32_e32 v55, v63, v54
	v_dual_add_f32 v9, v9, v52 :: v_dual_fmac_f32 v56, v74, v54
	s_delay_alu instid0(VALU_DEP_1) | instskip(SKIP_2) | instid1(VALU_DEP_2)
	v_dual_add_f32 v55, v60, v55 :: v_dual_add_f32 v56, v71, v56
	v_fma_f32 v71, v62, v54, -v72
	v_add_nc_u32_e32 v72, 0x800, v39
	v_add_f32_e32 v54, v57, v71
	v_mul_f32_e32 v57, v62, v59
	v_mul_f32_e32 v70, v73, v59
	s_waitcnt lgkmcnt(0)
	v_mul_f32_e32 v71, v47, v67
	s_delay_alu instid0(VALU_DEP_3) | instskip(NEXT) | instid1(VALU_DEP_3)
	v_fmac_f32_e32 v57, v63, v58
	v_fmac_f32_e32 v70, v74, v58
	s_delay_alu instid0(VALU_DEP_2) | instskip(NEXT) | instid1(VALU_DEP_2)
	v_dual_mul_f32 v52, v74, v59 :: v_dual_add_f32 v9, v9, v57
	v_add_f32_e32 v69, v69, v70
	s_delay_alu instid0(VALU_DEP_2) | instskip(SKIP_2) | instid1(VALU_DEP_3)
	v_fma_f32 v52, v73, v58, -v52
	v_mul_f32_e32 v57, v0, v65
	v_mul_f32_e32 v60, v0, v49
	v_dual_add_f32 v52, v53, v52 :: v_dual_add_nc_u32 v73, 0x800, v41
	v_mul_f32_e32 v53, v63, v59
	v_mul_f32_e32 v59, v1, v49
	v_fmac_f32_e32 v57, v1, v64
	s_delay_alu instid0(VALU_DEP_3) | instskip(NEXT) | instid1(VALU_DEP_3)
	v_fma_f32 v53, v62, v58, -v53
	v_fma_f32 v58, v0, v48, -v59
	v_mul_f32_e32 v59, v1, v65
	v_fmac_f32_e32 v60, v1, v48
	s_delay_alu instid0(VALU_DEP_4) | instskip(NEXT) | instid1(VALU_DEP_4)
	v_add_f32_e32 v53, v61, v53
	v_add_f32_e32 v61, v68, v58
	s_delay_alu instid0(VALU_DEP_4) | instskip(NEXT) | instid1(VALU_DEP_4)
	v_fma_f32 v0, v0, v64, -v59
	v_add_f32_e32 v68, v56, v60
	v_mul_f32_e32 v56, v45, v49
	v_mul_f32_e32 v60, v3, v67
	s_delay_alu instid0(VALU_DEP_4) | instskip(NEXT) | instid1(VALU_DEP_3)
	v_add_f32_e32 v0, v52, v0
	v_fma_f32 v52, v44, v48, -v56
	v_mul_f32_e32 v56, v44, v65
	v_mul_f32_e32 v1, v44, v49
	;; [unrolled: 1-line block ×3, first 2 shown]
	s_delay_alu instid0(VALU_DEP_3) | instskip(NEXT) | instid1(VALU_DEP_3)
	v_fmac_f32_e32 v56, v45, v64
	v_fmac_f32_e32 v1, v45, v48
	v_add_f32_e32 v48, v69, v57
	s_delay_alu instid0(VALU_DEP_4) | instskip(SKIP_3) | instid1(VALU_DEP_4)
	v_fma_f32 v44, v44, v64, -v49
	v_mul_f32_e32 v64, v2, v51
	v_add_f32_e32 v49, v54, v52
	v_add_f32_e32 v45, v55, v1
	v_dual_mul_f32 v1, v3, v51 :: v_dual_add_f32 v44, v53, v44
	v_add_f32_e32 v9, v9, v56
	ds_load_2addr_b64 v[52:55], v72 offset1:32
	ds_load_b128 v[56:59], v37 offset:64
	v_fmac_f32_e32 v64, v3, v50
	v_fma_f32 v1, v2, v50, -v1
	s_delay_alu instid0(VALU_DEP_2) | instskip(NEXT) | instid1(VALU_DEP_2)
	v_dual_mul_f32 v65, v2, v67 :: v_dual_add_f32 v64, v68, v64
	v_add_f32_e32 v69, v61, v1
	v_fma_f32 v1, v2, v66, -v60
	v_mul_f32_e32 v2, v47, v51
	ds_load_2addr_b64 v[60:63], v73 offset1:32
	v_dual_fmac_f32 v65, v3, v66 :: v_dual_mul_f32 v68, v46, v51
	v_add_f32_e32 v70, v0, v1
	v_fma_f32 v51, v46, v50, -v2
	ds_load_b128 v[0:3], v37 offset:4160
	v_dual_add_f32 v65, v48, v65 :: v_dual_fmac_f32 v68, v47, v50
	v_mul_f32_e32 v67, v46, v67
	v_fma_f32 v46, v46, v66, -v71
	s_delay_alu instid0(VALU_DEP_3) | instskip(NEXT) | instid1(VALU_DEP_3)
	v_add_f32_e32 v68, v45, v68
	v_dual_add_f32 v74, v49, v51 :: v_dual_fmac_f32 v67, v47, v66
	s_waitcnt lgkmcnt(2)
	v_mul_f32_e32 v66, v56, v53
	ds_load_b128 v[48:51], v37 offset:80
	v_add_f32_e32 v71, v44, v46
	v_add_f32_e32 v9, v9, v67
	s_waitcnt lgkmcnt(2)
	v_mul_f32_e32 v44, v57, v61
	v_dual_fmac_f32 v66, v57, v52 :: v_dual_mul_f32 v67, v56, v61
	s_delay_alu instid0(VALU_DEP_1) | instskip(NEXT) | instid1(VALU_DEP_2)
	v_dual_mul_f32 v75, v57, v53 :: v_dual_add_f32 v76, v64, v66
	v_fmac_f32_e32 v67, v57, v60
	s_delay_alu instid0(VALU_DEP_2)
	v_fma_f32 v45, v56, v52, -v75
	s_waitcnt lgkmcnt(1)
	v_mul_f32_e32 v75, v1, v53
	v_mul_f32_e32 v53, v0, v53
	v_fma_f32 v56, v56, v60, -v44
	v_mul_f32_e32 v64, v1, v61
	v_add_f32_e32 v69, v69, v45
	v_fma_f32 v57, v0, v52, -v75
	v_dual_fmac_f32 v53, v1, v52 :: v_dual_mul_f32 v52, v0, v61
	v_dual_mul_f32 v61, v59, v55 :: v_dual_add_f32 v56, v70, v56
	v_fma_f32 v0, v0, v60, -v64
	ds_load_b128 v[44:47], v37 offset:4176
	v_fmac_f32_e32 v52, v1, v60
	v_fma_f32 v60, v58, v54, -v61
	v_dual_add_f32 v57, v74, v57 :: v_dual_add_f32 v0, v71, v0
	s_delay_alu instid0(VALU_DEP_3) | instskip(SKIP_1) | instid1(VALU_DEP_4)
	v_dual_mul_f32 v74, v3, v55 :: v_dual_add_f32 v9, v9, v52
	v_dual_mul_f32 v52, v59, v63 :: v_dual_add_f32 v53, v68, v53
	v_add_f32_e32 v60, v69, v60
	ds_load_2addr_b64 v[68:71], v73 offset0:64 offset1:96
	v_mul_f32_e32 v1, v58, v55
	v_fma_f32 v52, v58, v62, -v52
	v_add_f32_e32 v75, v65, v67
	ds_load_2addr_b64 v[64:67], v72 offset0:64 offset1:96
	v_mul_f32_e32 v61, v58, v63
	v_mul_f32_e32 v55, v2, v55
	v_fma_f32 v58, v2, v54, -v74
	v_add_f32_e32 v52, v56, v52
	v_mul_f32_e32 v56, v3, v63
	v_fmac_f32_e32 v1, v59, v54
	v_fmac_f32_e32 v55, v3, v54
	v_dual_add_f32 v54, v57, v58 :: v_dual_mul_f32 v57, v2, v63
	s_delay_alu instid0(VALU_DEP_4) | instskip(NEXT) | instid1(VALU_DEP_2)
	v_fma_f32 v2, v2, v62, -v56
	v_fmac_f32_e32 v57, v3, v62
	s_delay_alu instid0(VALU_DEP_2)
	v_add_f32_e32 v0, v0, v2
	v_fmac_f32_e32 v61, v59, v62
	s_waitcnt lgkmcnt(1)
	v_dual_mul_f32 v3, v49, v69 :: v_dual_mul_f32 v58, v51, v71
	s_waitcnt lgkmcnt(0)
	v_mul_f32_e32 v62, v50, v67
	v_mul_f32_e32 v56, v49, v65
	v_add_f32_e32 v53, v53, v55
	s_delay_alu instid0(VALU_DEP_3) | instskip(NEXT) | instid1(VALU_DEP_3)
	v_dual_mul_f32 v55, v48, v65 :: v_dual_fmac_f32 v62, v51, v66
	v_fma_f32 v2, v48, v64, -v56
	v_mul_f32_e32 v56, v48, v69
	v_add_f32_e32 v1, v76, v1
	s_delay_alu instid0(VALU_DEP_4)
	v_fmac_f32_e32 v55, v49, v64
	v_add_f32_e32 v9, v9, v57
	v_add_f32_e32 v57, v60, v2
	v_fma_f32 v2, v48, v68, -v3
	v_dual_fmac_f32 v56, v49, v68 :: v_dual_add_f32 v59, v75, v61
	v_add_f32_e32 v48, v1, v55
	v_mul_f32_e32 v1, v45, v65
	s_delay_alu instid0(VALU_DEP_4) | instskip(NEXT) | instid1(VALU_DEP_4)
	v_dual_add_f32 v49, v52, v2 :: v_dual_mul_f32 v2, v45, v69
	v_add_f32_e32 v60, v59, v56
	v_mul_f32_e32 v56, v44, v69
	s_delay_alu instid0(VALU_DEP_4) | instskip(NEXT) | instid1(VALU_DEP_4)
	v_fma_f32 v1, v44, v64, -v1
	v_fma_f32 v2, v44, v68, -v2
	s_delay_alu instid0(VALU_DEP_3) | instskip(SKIP_3) | instid1(VALU_DEP_3)
	v_dual_fmac_f32 v56, v45, v68 :: v_dual_mul_f32 v3, v44, v65
	v_mul_f32_e32 v44, v51, v67
	v_dual_add_f32 v68, v48, v62 :: v_dual_mul_f32 v65, v47, v67
	v_mul_f32_e32 v67, v46, v67
	v_fma_f32 v44, v50, v66, -v44
	s_delay_alu instid0(VALU_DEP_3) | instskip(NEXT) | instid1(VALU_DEP_3)
	v_fma_f32 v62, v46, v66, -v65
	v_fmac_f32_e32 v67, v47, v66
	v_mul_f32_e32 v66, v47, v71
	s_delay_alu instid0(VALU_DEP_4)
	v_add_f32_e32 v44, v57, v44
	v_fmac_f32_e32 v3, v45, v64
	v_add_f32_e32 v61, v54, v1
	v_add_f32_e32 v45, v0, v2
	v_mul_f32_e32 v63, v50, v71
	v_fma_f32 v50, v50, v70, -v58
	v_add_f32_e32 v64, v53, v3
	ds_load_2addr_b64 v[0:3], v72 offset0:128 offset1:160
	ds_load_b128 v[52:55], v37 offset:96
	v_add_f32_e32 v9, v9, v56
	v_mul_f32_e32 v71, v46, v71
	v_fma_f32 v46, v46, v70, -v66
	ds_load_2addr_b64 v[56:59], v73 offset0:128 offset1:160
	v_dual_fmac_f32 v63, v51, v70 :: v_dual_add_f32 v64, v64, v67
	v_fmac_f32_e32 v71, v47, v70
	s_waitcnt lgkmcnt(1)
	v_dual_add_f32 v67, v45, v46 :: v_dual_mul_f32 v66, v52, v1
	v_mul_f32_e32 v75, v53, v1
	s_delay_alu instid0(VALU_DEP_3) | instskip(SKIP_1) | instid1(VALU_DEP_3)
	v_add_f32_e32 v9, v9, v71
	s_waitcnt lgkmcnt(0)
	v_dual_mul_f32 v71, v52, v57 :: v_dual_fmac_f32 v66, v53, v0
	v_add_f32_e32 v69, v49, v50
	ds_load_b128 v[48:51], v37 offset:4192
	v_fma_f32 v47, v52, v0, -v75
	v_add_f32_e32 v65, v60, v63
	v_dual_add_f32 v76, v68, v66 :: v_dual_fmac_f32 v71, v53, v56
	s_delay_alu instid0(VALU_DEP_3) | instskip(SKIP_3) | instid1(VALU_DEP_1)
	v_add_f32_e32 v70, v44, v47
	v_add_f32_e32 v74, v61, v62
	ds_load_b128 v[60:63], v37 offset:112
	v_mul_f32_e32 v45, v53, v57
	v_fma_f32 v52, v52, v56, -v45
	ds_load_b128 v[44:47], v37 offset:4208
	s_waitcnt lgkmcnt(2)
	v_mul_f32_e32 v75, v49, v1
	v_mul_f32_e32 v1, v48, v1
	;; [unrolled: 1-line block ×3, first 2 shown]
	s_delay_alu instid0(VALU_DEP_3) | instskip(NEXT) | instid1(VALU_DEP_3)
	v_fma_f32 v53, v48, v0, -v75
	v_dual_fmac_f32 v1, v49, v0 :: v_dual_mul_f32 v0, v48, v57
	s_delay_alu instid0(VALU_DEP_3) | instskip(SKIP_1) | instid1(VALU_DEP_4)
	v_fma_f32 v48, v48, v56, -v66
	v_mul_f32_e32 v57, v55, v3
	v_add_f32_e32 v53, v74, v53
	s_delay_alu instid0(VALU_DEP_4) | instskip(NEXT) | instid1(VALU_DEP_4)
	v_dual_add_f32 v1, v64, v1 :: v_dual_fmac_f32 v0, v49, v56
	v_dual_add_f32 v75, v65, v71 :: v_dual_add_f32 v48, v67, v48
	s_delay_alu instid0(VALU_DEP_4)
	v_fma_f32 v56, v54, v2, -v57
	ds_load_2addr_b64 v[64:67], v72 offset0:192 offset1:224
	v_add_f32_e32 v52, v69, v52
	v_dual_add_f32 v0, v9, v0 :: v_dual_mul_f32 v9, v55, v59
	v_add_f32_e32 v56, v70, v56
	ds_load_2addr_b64 v[68:71], v73 offset0:192 offset1:224
	v_mul_f32_e32 v72, v51, v3
	v_mul_f32_e32 v49, v54, v3
	;; [unrolled: 1-line block ×3, first 2 shown]
	v_fma_f32 v9, v54, v58, -v9
	v_mul_f32_e32 v3, v50, v3
	v_fma_f32 v54, v50, v2, -v72
	v_fmac_f32_e32 v49, v55, v2
	v_fmac_f32_e32 v57, v55, v58
	v_dual_add_f32 v9, v52, v9 :: v_dual_mul_f32 v52, v51, v59
	v_fmac_f32_e32 v3, v51, v2
	v_dual_add_f32 v2, v53, v54 :: v_dual_mul_f32 v53, v50, v59
	v_add_f32_e32 v49, v76, v49
	s_delay_alu instid0(VALU_DEP_4)
	v_fma_f32 v50, v50, v58, -v52
	s_waitcnt lgkmcnt(1)
	v_mul_f32_e32 v52, v61, v65
	v_dual_fmac_f32 v53, v51, v58 :: v_dual_add_nc_u32 v72, 0x1000, v39
	v_mul_f32_e32 v58, v62, v67
	v_add_f32_e32 v1, v1, v3
	v_mul_f32_e32 v3, v60, v65
	v_add_f32_e32 v48, v48, v50
	v_fma_f32 v50, v60, v64, -v52
	s_waitcnt lgkmcnt(0)
	v_mul_f32_e32 v51, v61, v69
	v_dual_add_f32 v0, v0, v53 :: v_dual_fmac_f32 v3, v61, v64
	s_delay_alu instid0(VALU_DEP_3) | instskip(NEXT) | instid1(VALU_DEP_3)
	v_dual_mul_f32 v54, v63, v71 :: v_dual_add_f32 v53, v56, v50
	v_fma_f32 v50, v60, v68, -v51
	v_mul_f32_e32 v52, v60, v69
	s_delay_alu instid0(VALU_DEP_4) | instskip(SKIP_1) | instid1(VALU_DEP_4)
	v_dual_add_f32 v56, v49, v3 :: v_dual_mul_f32 v49, v44, v65
	v_mul_f32_e32 v3, v45, v65
	v_add_f32_e32 v9, v9, v50
	v_mul_f32_e32 v50, v45, v69
	v_mul_f32_e32 v51, v44, v69
	v_dual_fmac_f32 v49, v45, v64 :: v_dual_fmac_f32 v58, v63, v66
	v_fmac_f32_e32 v52, v61, v68
	v_fma_f32 v3, v44, v64, -v3
	v_fma_f32 v44, v44, v68, -v50
	v_fmac_f32_e32 v51, v45, v68
	v_add_f32_e32 v45, v1, v49
	v_dual_mul_f32 v1, v63, v67 :: v_dual_add_f32 v68, v56, v58
	v_add_f32_e32 v55, v75, v57
	v_mul_f32_e32 v59, v62, v71
	v_fma_f32 v61, v62, v70, -v54
	v_add_f32_e32 v60, v2, v3
	v_add_f32_e32 v44, v48, v44
	;; [unrolled: 1-line block ×3, first 2 shown]
	v_fma_f32 v52, v62, v66, -v1
	v_mul_f32_e32 v62, v47, v67
	v_fmac_f32_e32 v59, v63, v70
	v_dual_add_f32 v9, v9, v61 :: v_dual_add_f32 v64, v0, v51
	ds_load_2addr_b64 v[0:3], v72 offset1:32
	ds_load_b128 v[48:51], v37 offset:128
	v_fma_f32 v61, v46, v66, -v62
	v_add_f32_e32 v69, v57, v59
	ds_load_b128 v[56:59], v37 offset:4224
	v_add_f32_e32 v65, v53, v52
	v_dual_mul_f32 v67, v46, v67 :: v_dual_add_f32 v74, v60, v61
	ds_load_b128 v[60:63], v37 offset:144
	v_add_nc_u32_e32 v73, 0x1000, v41
	v_fmac_f32_e32 v67, v47, v66
	v_mul_f32_e32 v66, v47, v71
	v_mul_f32_e32 v71, v46, v71
	ds_load_2addr_b64 v[52:55], v73 offset1:32
	v_fma_f32 v46, v46, v70, -v66
	v_dual_add_f32 v66, v45, v67 :: v_dual_fmac_f32 v71, v47, v70
	s_waitcnt lgkmcnt(3)
	s_delay_alu instid0(VALU_DEP_2) | instskip(SKIP_1) | instid1(VALU_DEP_3)
	v_dual_mul_f32 v75, v49, v1 :: v_dual_add_f32 v70, v44, v46
	v_mul_f32_e32 v67, v48, v1
	v_add_f32_e32 v71, v64, v71
	s_delay_alu instid0(VALU_DEP_3) | instskip(NEXT) | instid1(VALU_DEP_3)
	v_fma_f32 v45, v48, v0, -v75
	v_fmac_f32_e32 v67, v49, v0
	s_delay_alu instid0(VALU_DEP_1) | instskip(SKIP_3) | instid1(VALU_DEP_2)
	v_dual_add_f32 v75, v65, v45 :: v_dual_add_f32 v76, v68, v67
	s_waitcnt lgkmcnt(0)
	v_mul_f32_e32 v44, v49, v53
	v_mul_f32_e32 v64, v48, v53
	v_fma_f32 v48, v48, v52, -v44
	ds_load_b128 v[44:47], v37 offset:4240
	v_mul_f32_e32 v65, v57, v1
	v_dual_mul_f32 v1, v56, v1 :: v_dual_fmac_f32 v64, v49, v52
	v_add_f32_e32 v9, v9, v48
	v_mul_f32_e32 v49, v57, v53
	s_delay_alu instid0(VALU_DEP_4) | instskip(NEXT) | instid1(VALU_DEP_4)
	v_fma_f32 v48, v56, v0, -v65
	v_dual_fmac_f32 v1, v57, v0 :: v_dual_mul_f32 v0, v56, v53
	v_mul_f32_e32 v53, v51, v3
	s_delay_alu instid0(VALU_DEP_4) | instskip(NEXT) | instid1(VALU_DEP_4)
	v_fma_f32 v49, v56, v52, -v49
	v_add_f32_e32 v48, v74, v48
	v_mul_f32_e32 v74, v59, v3
	v_fmac_f32_e32 v0, v57, v52
	v_mul_f32_e32 v52, v50, v3
	v_mul_f32_e32 v57, v50, v55
	;; [unrolled: 1-line block ×4, first 2 shown]
	s_delay_alu instid0(VALU_DEP_4) | instskip(NEXT) | instid1(VALU_DEP_4)
	v_dual_add_f32 v77, v69, v64 :: v_dual_fmac_f32 v52, v51, v2
	v_fmac_f32_e32 v57, v51, v54
	v_fma_f32 v51, v58, v2, -v74
	v_add_f32_e32 v1, v66, v1
	v_fma_f32 v53, v50, v2, -v53
	ds_load_2addr_b64 v[64:67], v72 offset0:64 offset1:96
	v_dual_fmac_f32 v3, v59, v2 :: v_dual_add_f32 v2, v48, v51
	v_mul_f32_e32 v48, v58, v55
	v_dual_add_f32 v49, v70, v49 :: v_dual_add_f32 v0, v71, v0
	v_fma_f32 v50, v50, v54, -v56
	s_delay_alu instid0(VALU_DEP_3) | instskip(SKIP_4) | instid1(VALU_DEP_2)
	v_dual_add_f32 v1, v1, v3 :: v_dual_fmac_f32 v48, v59, v54
	ds_load_2addr_b64 v[68:71], v73 offset0:64 offset1:96
	v_dual_add_f32 v52, v76, v52 :: v_dual_add_f32 v9, v9, v50
	v_dual_mul_f32 v50, v59, v55 :: v_dual_add_f32 v55, v0, v48
	v_add_f32_e32 v56, v77, v57
	v_fma_f32 v50, v58, v54, -v50
	s_waitcnt lgkmcnt(1)
	v_mul_f32_e32 v51, v61, v65
	v_mul_f32_e32 v3, v60, v65
	s_delay_alu instid0(VALU_DEP_3) | instskip(SKIP_1) | instid1(VALU_DEP_4)
	v_dual_add_f32 v49, v49, v50 :: v_dual_mul_f32 v48, v44, v65
	v_mul_f32_e32 v58, v62, v67
	v_fma_f32 v50, v60, v64, -v51
	s_delay_alu instid0(VALU_DEP_4) | instskip(NEXT) | instid1(VALU_DEP_4)
	v_fmac_f32_e32 v3, v61, v64
	v_dual_add_f32 v53, v75, v53 :: v_dual_fmac_f32 v48, v45, v64
	s_waitcnt lgkmcnt(0)
	v_mul_f32_e32 v51, v61, v69
	v_mul_f32_e32 v54, v60, v69
	v_add_f32_e32 v57, v52, v3
	v_mul_f32_e32 v3, v45, v65
	v_mul_f32_e32 v52, v44, v69
	v_fma_f32 v0, v60, v68, -v51
	v_fmac_f32_e32 v54, v61, v68
	v_add_f32_e32 v53, v53, v50
	v_fma_f32 v3, v44, v64, -v3
	v_fmac_f32_e32 v52, v45, v68
	v_add_f32_e32 v9, v9, v0
	v_mul_f32_e32 v0, v45, v69
	v_add_f32_e32 v56, v56, v54
	v_mul_f32_e32 v54, v63, v71
	v_mul_f32_e32 v59, v62, v71
	v_add_f32_e32 v60, v2, v3
	v_fma_f32 v0, v44, v68, -v0
	v_mul_f32_e32 v44, v63, v67
	v_add_f32_e32 v64, v1, v48
	v_add_f32_e32 v65, v55, v52
	s_delay_alu instid0(VALU_DEP_4) | instskip(NEXT) | instid1(VALU_DEP_4)
	v_dual_fmac_f32 v58, v63, v66 :: v_dual_add_f32 v45, v49, v0
	v_fma_f32 v44, v62, v66, -v44
	ds_load_2addr_b64 v[0:3], v72 offset0:128 offset1:160
	ds_load_b128 v[48:51], v37 offset:160
	v_fma_f32 v61, v62, v70, -v54
	v_fmac_f32_e32 v59, v63, v70
	v_mul_f32_e32 v62, v47, v67
	v_add_f32_e32 v44, v53, v44
	ds_load_2addr_b64 v[52:55], v73 offset0:128 offset1:160
	v_dual_add_f32 v68, v57, v58 :: v_dual_mul_f32 v67, v46, v67
	v_add_f32_e32 v69, v56, v59
	ds_load_b128 v[56:59], v37 offset:4256
	v_add_f32_e32 v9, v9, v61
	v_fma_f32 v61, v46, v66, -v62
	v_fmac_f32_e32 v67, v47, v66
	v_mul_f32_e32 v66, v47, v71
	s_delay_alu instid0(VALU_DEP_3)
	v_dual_mul_f32 v71, v46, v71 :: v_dual_add_f32 v74, v60, v61
	ds_load_b128 v[60:63], v37 offset:176
	v_fma_f32 v46, v46, v70, -v66
	v_fmac_f32_e32 v71, v47, v70
	s_waitcnt lgkmcnt(3)
	v_mul_f32_e32 v75, v49, v1
	v_mul_f32_e32 v66, v48, v1
	v_dual_add_f32 v64, v64, v67 :: v_dual_add_f32 v67, v45, v46
	s_waitcnt lgkmcnt(2)
	v_dual_add_f32 v70, v65, v71 :: v_dual_mul_f32 v65, v48, v53
	v_fma_f32 v47, v48, v0, -v75
	v_mul_f32_e32 v45, v49, v53
	v_fmac_f32_e32 v66, v49, v0
	s_waitcnt lgkmcnt(1)
	v_mul_f32_e32 v75, v57, v1
	v_fmac_f32_e32 v65, v49, v52
	v_mul_f32_e32 v1, v56, v1
	v_mul_f32_e32 v49, v57, v53
	v_fma_f32 v48, v48, v52, -v45
	s_delay_alu instid0(VALU_DEP_3) | instskip(NEXT) | instid1(VALU_DEP_3)
	v_dual_add_f32 v76, v68, v66 :: v_dual_fmac_f32 v1, v57, v0
	v_fma_f32 v49, v56, v52, -v49
	s_delay_alu instid0(VALU_DEP_3)
	v_add_f32_e32 v9, v9, v48
	v_fma_f32 v48, v56, v0, -v75
	v_add_f32_e32 v75, v69, v65
	v_add_f32_e32 v1, v64, v1
	;; [unrolled: 1-line block ×3, first 2 shown]
	ds_load_2addr_b64 v[64:67], v72 offset0:192 offset1:224
	v_dual_mul_f32 v0, v56, v53 :: v_dual_mul_f32 v53, v51, v3
	v_mul_f32_e32 v56, v51, v55
	v_mul_f32_e32 v72, v59, v3
	v_add_f32_e32 v48, v74, v48
	s_delay_alu instid0(VALU_DEP_4)
	v_fmac_f32_e32 v0, v57, v52
	v_mul_f32_e32 v52, v50, v3
	v_mul_f32_e32 v3, v58, v3
	v_fma_f32 v53, v50, v2, -v53
	v_mul_f32_e32 v57, v50, v55
	v_fma_f32 v50, v50, v54, -v56
	v_fmac_f32_e32 v52, v51, v2
	v_dual_fmac_f32 v3, v59, v2 :: v_dual_add_f32 v0, v70, v0
	s_delay_alu instid0(VALU_DEP_4) | instskip(SKIP_2) | instid1(VALU_DEP_4)
	v_fmac_f32_e32 v57, v51, v54
	v_fma_f32 v51, v58, v2, -v72
	v_dual_add_f32 v9, v9, v50 :: v_dual_mul_f32 v50, v59, v55
	v_add_f32_e32 v1, v1, v3
	s_waitcnt lgkmcnt(0)
	v_mul_f32_e32 v3, v60, v65
	v_add_f32_e32 v52, v76, v52
	v_add_f32_e32 v2, v48, v51
	v_mul_f32_e32 v48, v58, v55
	v_fma_f32 v50, v58, v54, -v50
	v_dual_fmac_f32 v3, v61, v64 :: v_dual_mul_f32 v58, v62, v67
	v_add_f32_e32 v56, v75, v57
	v_mul_f32_e32 v51, v61, v65
	s_delay_alu instid0(VALU_DEP_4) | instskip(NEXT) | instid1(VALU_DEP_4)
	v_add_f32_e32 v49, v49, v50
	v_dual_add_f32 v57, v52, v3 :: v_dual_fmac_f32 v58, v63, v66
	v_add_f32_e32 v71, v44, v47
	ds_load_b128 v[44:47], v37 offset:4272
	v_fma_f32 v50, v60, v64, -v51
	v_fmac_f32_e32 v48, v59, v54
	v_dual_add_f32 v53, v71, v53 :: v_dual_add_nc_u32 v72, 0x1800, v39
	ds_load_2addr_b64 v[68:71], v73 offset0:192 offset1:224
	v_dual_add_f32 v0, v0, v48 :: v_dual_add_nc_u32 v73, 0x1800, v41
	v_add_f32_e32 v53, v53, v50
	s_waitcnt lgkmcnt(1)
	v_mul_f32_e32 v3, v45, v65
	s_waitcnt lgkmcnt(0)
	v_mul_f32_e32 v51, v61, v69
	v_mul_f32_e32 v52, v44, v69
	;; [unrolled: 1-line block ×4, first 2 shown]
	v_fma_f32 v3, v44, v64, -v3
	v_fma_f32 v50, v60, v68, -v51
	v_dual_mul_f32 v51, v44, v65 :: v_dual_fmac_f32 v52, v45, v68
	v_dual_fmac_f32 v48, v61, v68 :: v_dual_mul_f32 v59, v62, v71
	s_delay_alu instid0(VALU_DEP_3) | instskip(NEXT) | instid1(VALU_DEP_3)
	v_add_f32_e32 v9, v9, v50
	v_fmac_f32_e32 v51, v45, v64
	v_mul_f32_e32 v50, v45, v69
	v_add_f32_e32 v64, v0, v52
	v_fma_f32 v61, v62, v70, -v54
	s_delay_alu instid0(VALU_DEP_4) | instskip(SKIP_4) | instid1(VALU_DEP_4)
	v_dual_add_f32 v56, v56, v48 :: v_dual_add_f32 v45, v1, v51
	v_mul_f32_e32 v1, v63, v67
	v_fma_f32 v44, v44, v68, -v50
	v_dual_add_f32 v60, v2, v3 :: v_dual_fmac_f32 v59, v63, v70
	v_add_f32_e32 v9, v9, v61
	v_fma_f32 v52, v62, v66, -v1
	v_mul_f32_e32 v62, v47, v67
	v_add_f32_e32 v44, v49, v44
	ds_load_2addr_b64 v[0:3], v72 offset1:32
	ds_load_b128 v[48:51], v37 offset:192
	v_dual_add_f32 v68, v57, v58 :: v_dual_add_f32 v69, v56, v59
	v_fma_f32 v61, v46, v66, -v62
	ds_load_b128 v[56:59], v37 offset:4288
	v_dual_mul_f32 v67, v46, v67 :: v_dual_add_f32 v74, v60, v61
	ds_load_b128 v[60:63], v37 offset:208
	v_add_f32_e32 v65, v53, v52
	ds_load_2addr_b64 v[52:55], v73 offset1:32
	v_fmac_f32_e32 v67, v47, v66
	v_mul_f32_e32 v66, v47, v71
	v_mul_f32_e32 v71, v46, v71
	s_delay_alu instid0(VALU_DEP_2) | instskip(NEXT) | instid1(VALU_DEP_4)
	v_fma_f32 v46, v46, v70, -v66
	v_add_f32_e32 v66, v45, v67
	s_waitcnt lgkmcnt(3)
	v_mul_f32_e32 v75, v49, v1
	v_fmac_f32_e32 v71, v47, v70
	v_mul_f32_e32 v67, v48, v1
	v_add_f32_e32 v70, v44, v46
	s_delay_alu instid0(VALU_DEP_4) | instskip(NEXT) | instid1(VALU_DEP_4)
	v_fma_f32 v45, v48, v0, -v75
	v_add_f32_e32 v71, v64, v71
	s_delay_alu instid0(VALU_DEP_4) | instskip(NEXT) | instid1(VALU_DEP_3)
	v_fmac_f32_e32 v67, v49, v0
	v_add_f32_e32 v75, v65, v45
	s_waitcnt lgkmcnt(0)
	v_mul_f32_e32 v44, v49, v53
	v_mul_f32_e32 v64, v48, v53
	v_mul_f32_e32 v65, v57, v1
	v_mul_f32_e32 v1, v56, v1
	v_add_f32_e32 v76, v68, v67
	v_fma_f32 v48, v48, v52, -v44
	v_fmac_f32_e32 v64, v49, v52
	v_mul_f32_e32 v49, v57, v53
	v_fmac_f32_e32 v1, v57, v0
	ds_load_b128 v[44:47], v37 offset:4304
	v_add_f32_e32 v9, v9, v48
	v_fma_f32 v48, v56, v0, -v65
	v_dual_mul_f32 v0, v56, v53 :: v_dual_add_f32 v77, v69, v64
	v_fma_f32 v49, v56, v52, -v49
	v_add_f32_e32 v1, v66, v1
	ds_load_2addr_b64 v[64:67], v72 offset0:64 offset1:96
	v_dual_fmac_f32 v0, v57, v52 :: v_dual_mul_f32 v53, v51, v3
	v_dual_add_f32 v49, v70, v49 :: v_dual_mul_f32 v56, v51, v55
	v_add_f32_e32 v48, v74, v48
	s_delay_alu instid0(VALU_DEP_3)
	v_add_f32_e32 v0, v71, v0
	ds_load_2addr_b64 v[68:71], v73 offset0:64 offset1:96
	v_mul_f32_e32 v52, v50, v3
	v_fma_f32 v53, v50, v2, -v53
	v_mul_f32_e32 v57, v50, v55
	v_mul_f32_e32 v74, v59, v3
	v_fma_f32 v50, v50, v54, -v56
	v_dual_fmac_f32 v52, v51, v2 :: v_dual_mul_f32 v3, v58, v3
	s_delay_alu instid0(VALU_DEP_4) | instskip(NEXT) | instid1(VALU_DEP_4)
	v_fmac_f32_e32 v57, v51, v54
	v_fma_f32 v51, v58, v2, -v74
	s_delay_alu instid0(VALU_DEP_4) | instskip(NEXT) | instid1(VALU_DEP_4)
	v_dual_add_f32 v9, v9, v50 :: v_dual_mul_f32 v50, v59, v55
	v_dual_fmac_f32 v3, v59, v2 :: v_dual_add_f32 v52, v76, v52
	s_delay_alu instid0(VALU_DEP_3) | instskip(SKIP_1) | instid1(VALU_DEP_4)
	v_add_f32_e32 v2, v48, v51
	v_mul_f32_e32 v48, v58, v55
	v_fma_f32 v50, v58, v54, -v50
	s_waitcnt lgkmcnt(1)
	v_mul_f32_e32 v51, v61, v65
	v_add_f32_e32 v1, v1, v3
	v_dual_mul_f32 v3, v60, v65 :: v_dual_fmac_f32 v48, v59, v54
	v_add_f32_e32 v49, v49, v50
	s_delay_alu instid0(VALU_DEP_4) | instskip(SKIP_4) | instid1(VALU_DEP_3)
	v_fma_f32 v50, v60, v64, -v51
	s_waitcnt lgkmcnt(0)
	v_mul_f32_e32 v51, v61, v69
	v_dual_fmac_f32 v3, v61, v64 :: v_dual_mul_f32 v54, v60, v69
	v_dual_add_f32 v55, v0, v48 :: v_dual_add_f32 v56, v77, v57
	v_fma_f32 v0, v60, v68, -v51
	s_delay_alu instid0(VALU_DEP_3) | instskip(SKIP_1) | instid1(VALU_DEP_3)
	v_dual_add_f32 v57, v52, v3 :: v_dual_fmac_f32 v54, v61, v68
	v_mul_f32_e32 v3, v45, v65
	v_dual_mul_f32 v48, v44, v65 :: v_dual_add_f32 v9, v9, v0
	v_mul_f32_e32 v0, v45, v69
	s_delay_alu instid0(VALU_DEP_4) | instskip(NEXT) | instid1(VALU_DEP_4)
	v_add_f32_e32 v56, v56, v54
	v_fma_f32 v3, v44, v64, -v3
	v_mul_f32_e32 v52, v44, v69
	v_mul_f32_e32 v54, v63, v71
	v_fma_f32 v0, v44, v68, -v0
	v_mul_f32_e32 v44, v63, v67
	v_mul_f32_e32 v58, v62, v67
	v_mul_f32_e32 v59, v62, v71
	v_fma_f32 v61, v62, v70, -v54
	v_fmac_f32_e32 v48, v45, v64
	v_fma_f32 v44, v62, v66, -v44
	v_mul_f32_e32 v62, v47, v67
	v_dual_mul_f32 v67, v46, v67 :: v_dual_fmac_f32 v58, v63, v66
	v_add_f32_e32 v9, v9, v61
	v_fmac_f32_e32 v52, v45, v68
	s_delay_alu instid0(VALU_DEP_4) | instskip(NEXT) | instid1(VALU_DEP_4)
	v_fma_f32 v61, v46, v66, -v62
	v_fmac_f32_e32 v67, v47, v66
	v_dual_mul_f32 v66, v47, v71 :: v_dual_add_f32 v45, v49, v0
	v_mul_f32_e32 v71, v46, v71
	v_add_f32_e32 v60, v2, v3
	v_add_f32_e32 v64, v1, v48
	s_delay_alu instid0(VALU_DEP_4)
	v_fma_f32 v46, v46, v70, -v66
	v_add_f32_e32 v65, v55, v52
	v_fmac_f32_e32 v59, v63, v70
	v_add_f32_e32 v68, v57, v58
	v_fmac_f32_e32 v71, v47, v70
	v_add_f32_e32 v45, v45, v46
	v_dual_add_f32 v53, v75, v53 :: v_dual_add_f32 v76, v64, v67
	v_add_f32_e32 v74, v60, v61
	s_delay_alu instid0(VALU_DEP_4) | instskip(NEXT) | instid1(VALU_DEP_3)
	v_add_f32_e32 v70, v65, v71
	v_add_f32_e32 v53, v53, v50
	ds_load_2addr_b64 v[0:3], v72 offset0:128 offset1:160
	ds_load_b128 v[48:51], v37 offset:224
	ds_load_b128 v[60:63], v37 offset:240
	v_add_f32_e32 v44, v53, v44
	ds_load_2addr_b64 v[52:55], v73 offset0:128 offset1:160
	s_waitcnt lgkmcnt(2)
	v_mul_f32_e32 v66, v48, v1
	v_mul_f32_e32 v75, v49, v1
	s_delay_alu instid0(VALU_DEP_2) | instskip(NEXT) | instid1(VALU_DEP_2)
	v_fmac_f32_e32 v66, v49, v0
	v_fma_f32 v47, v48, v0, -v75
	s_waitcnt lgkmcnt(0)
	s_delay_alu instid0(VALU_DEP_2)
	v_dual_mul_f32 v46, v49, v53 :: v_dual_add_f32 v75, v68, v66
	ds_load_b128 v[64:67], v37 offset:4336
	v_add_f32_e32 v69, v56, v59
	ds_load_b128 v[56:59], v37 offset:4320
	v_add_f32_e32 v71, v44, v47
	v_mul_f32_e32 v44, v48, v53
	v_fma_f32 v46, v48, v52, -v46
	s_delay_alu instid0(VALU_DEP_2) | instskip(NEXT) | instid1(VALU_DEP_2)
	v_fmac_f32_e32 v44, v49, v52
	v_add_f32_e32 v9, v9, v46
	s_delay_alu instid0(VALU_DEP_2) | instskip(SKIP_4) | instid1(VALU_DEP_3)
	v_add_f32_e32 v48, v69, v44
	s_waitcnt lgkmcnt(0)
	v_mul_f32_e32 v47, v57, v1
	v_mul_f32_e32 v1, v56, v1
	;; [unrolled: 1-line block ×3, first 2 shown]
	v_fma_f32 v47, v56, v0, -v47
	s_delay_alu instid0(VALU_DEP_3) | instskip(NEXT) | instid1(VALU_DEP_3)
	v_dual_fmac_f32 v1, v57, v0 :: v_dual_mul_f32 v0, v56, v53
	v_fma_f32 v44, v56, v52, -v46
	v_mul_f32_e32 v46, v51, v3
	s_delay_alu instid0(VALU_DEP_4) | instskip(NEXT) | instid1(VALU_DEP_4)
	v_add_f32_e32 v49, v74, v47
	v_dual_mul_f32 v53, v50, v3 :: v_dual_fmac_f32 v0, v57, v52
	s_delay_alu instid0(VALU_DEP_4) | instskip(NEXT) | instid1(VALU_DEP_4)
	v_add_f32_e32 v52, v45, v44
	v_fma_f32 v56, v50, v2, -v46
	ds_load_2addr_b64 v[44:47], v72 offset0:192 offset1:224
	v_dual_mul_f32 v57, v51, v55 :: v_dual_add_f32 v0, v70, v0
	v_mul_f32_e32 v72, v50, v55
	v_add_f32_e32 v56, v71, v56
	ds_load_2addr_b64 v[68:71], v73 offset0:192 offset1:224
	v_fma_f32 v50, v50, v54, -v57
	v_mul_f32_e32 v57, v59, v3
	v_mul_f32_e32 v3, v58, v3
	v_add_f32_e32 v1, v76, v1
	v_fmac_f32_e32 v53, v51, v2
	v_fmac_f32_e32 v72, v51, v54
	v_add_f32_e32 v9, v9, v50
	v_fma_f32 v50, v58, v2, -v57
	v_mul_f32_e32 v51, v59, v55
	v_fmac_f32_e32 v3, v59, v2
	v_mul_f32_e32 v55, v58, v55
	s_delay_alu instid0(VALU_DEP_4) | instskip(NEXT) | instid1(VALU_DEP_4)
	v_dual_add_f32 v53, v75, v53 :: v_dual_add_f32 v2, v49, v50
	v_fma_f32 v49, v58, v54, -v51
	s_delay_alu instid0(VALU_DEP_4)
	v_add_f32_e32 v1, v1, v3
	s_waitcnt lgkmcnt(1)
	v_mul_f32_e32 v3, v60, v45
	v_dual_fmac_f32 v55, v59, v54 :: v_dual_mul_f32 v54, v65, v45
	v_add_f32_e32 v49, v52, v49
	s_waitcnt lgkmcnt(0)
	v_mul_f32_e32 v51, v61, v69
	v_dual_fmac_f32 v3, v61, v44 :: v_dual_mul_f32 v52, v60, v69
	v_add_f32_e32 v48, v48, v72
	v_mul_f32_e32 v50, v61, v45
	s_delay_alu instid0(VALU_DEP_4) | instskip(NEXT) | instid1(VALU_DEP_4)
	v_fma_f32 v51, v60, v68, -v51
	v_add_f32_e32 v3, v53, v3
	v_dual_fmac_f32 v52, v61, v68 :: v_dual_mul_f32 v45, v64, v45
	v_fma_f32 v53, v64, v44, -v54
	v_fma_f32 v50, v60, v44, -v50
	v_add_f32_e32 v9, v9, v51
	s_delay_alu instid0(VALU_DEP_4) | instskip(NEXT) | instid1(VALU_DEP_4)
	v_dual_mul_f32 v51, v65, v69 :: v_dual_add_f32 v48, v48, v52
	v_dual_fmac_f32 v45, v65, v44 :: v_dual_add_f32 v2, v2, v53
	v_mul_f32_e32 v44, v64, v69
	v_mul_f32_e32 v52, v63, v47
	;; [unrolled: 1-line block ×3, first 2 shown]
	v_add_f32_e32 v0, v0, v55
	v_add_f32_e32 v50, v56, v50
	v_fma_f32 v51, v64, v68, -v51
	v_add_f32_e32 v1, v1, v45
	v_fmac_f32_e32 v44, v65, v68
	v_fma_f32 v45, v62, v46, -v52
	v_fmac_f32_e32 v53, v63, v46
	v_mul_f32_e32 v52, v63, v71
	v_add_f32_e32 v51, v49, v51
	v_mul_f32_e32 v54, v62, v71
	v_dual_add_f32 v0, v0, v44 :: v_dual_add_f32 v49, v50, v45
	v_add_f32_e32 v50, v3, v53
	v_fma_f32 v3, v62, v70, -v52
	v_mul_f32_e32 v44, v67, v47
	v_mul_f32_e32 v52, v66, v47
	;; [unrolled: 1-line block ×3, first 2 shown]
	v_dual_mul_f32 v53, v66, v71 :: v_dual_fmac_f32 v54, v63, v70
	v_add_f32_e32 v47, v9, v3
	v_fma_f32 v3, v66, v46, -v44
	v_fmac_f32_e32 v52, v67, v46
	v_fma_f32 v9, v66, v70, -v45
	v_fmac_f32_e32 v53, v67, v70
	s_delay_alu instid0(VALU_DEP_4) | instskip(NEXT) | instid1(VALU_DEP_4)
	v_dual_add_f32 v48, v48, v54 :: v_dual_add_f32 v45, v2, v3
	v_add_f32_e32 v46, v1, v52
	s_delay_alu instid0(VALU_DEP_4) | instskip(NEXT) | instid1(VALU_DEP_4)
	v_add_f32_e32 v44, v51, v9
	v_add_f32_e32 v9, v0, v53
	s_barrier
	buffer_gl0_inv
	s_cbranch_scc1 .LBB86_55
.LBB86_7:                               ;   Parent Loop BB86_4 Depth=1
                                        ; =>  This Inner Loop Header: Depth=2
	v_add_co_u32 v0, s5, v34, s22
	s_delay_alu instid0(VALU_DEP_1) | instskip(SKIP_1) | instid1(VALU_DEP_2)
	v_add_co_ci_u32_e64 v1, null, 0, s23, s5
	v_cmp_eq_u64_e64 s6, s[22:23], v[26:27]
	v_cmp_gt_i64_e64 s5, v[0:1], v[18:19]
	s_delay_alu instid0(VALU_DEP_2) | instskip(SKIP_1) | instid1(VALU_DEP_2)
	s_and_b32 s27, s41, s6
	v_cmp_le_i64_e64 s6, s[18:19], v[0:1]
	s_or_b32 s7, s3, s5
	s_delay_alu instid0(SALU_CYCLE_1) | instskip(SKIP_1) | instid1(VALU_DEP_1)
	s_or_b32 s8, s7, s27
	v_add_co_u32 v2, s7, v20, v36
	v_add_co_ci_u32_e64 v3, s7, 0, v21, s7
	s_delay_alu instid0(VALU_DEP_3) | instskip(NEXT) | instid1(SALU_CYCLE_1)
	s_or_b32 s7, s6, s8
	s_xor_b32 s7, s7, -1
	s_delay_alu instid0(SALU_CYCLE_1) | instskip(NEXT) | instid1(SALU_CYCLE_1)
	s_and_saveexec_b32 s8, s7
	s_xor_b32 s7, exec_lo, s8
	s_cbranch_execz .LBB86_9
; %bb.8:                                ;   in Loop: Header=BB86_7 Depth=2
	global_load_b64 v[51:52], v[2:3], off
	s_waitcnt vmcnt(0)
	ds_store_b64 v38, v[51:52]
.LBB86_9:                               ;   in Loop: Header=BB86_7 Depth=2
	s_or_saveexec_b32 s7, s7
	s_xor_b32 s26, s27, -1
	s_xor_b32 exec_lo, exec_lo, s7
	s_cbranch_execz .LBB86_15
; %bb.10:                               ;   in Loop: Header=BB86_7 Depth=2
	s_and_saveexec_b32 s8, s26
	s_delay_alu instid0(SALU_CYCLE_1)
	s_xor_b32 s8, exec_lo, s8
	s_cbranch_execz .LBB86_12
; %bb.11:                               ;   in Loop: Header=BB86_7 Depth=2
	v_mov_b32_e32 v51, v5
	v_mov_b32_e32 v52, v5
	ds_store_b64 v38, v[51:52]
.LBB86_12:                              ;   in Loop: Header=BB86_7 Depth=2
	s_and_not1_saveexec_b32 s8, s8
	s_cbranch_execz .LBB86_14
; %bb.13:                               ;   in Loop: Header=BB86_7 Depth=2
	ds_store_b64 v38, v[4:5]
.LBB86_14:                              ;   in Loop: Header=BB86_7 Depth=2
	s_or_b32 exec_lo, exec_lo, s8
.LBB86_15:                              ;   in Loop: Header=BB86_7 Depth=2
	s_delay_alu instid0(SALU_CYCLE_1) | instskip(SKIP_1) | instid1(VALU_DEP_1)
	s_or_b32 exec_lo, exec_lo, s7
	v_add_co_u32 v51, s7, v0, 16
	v_add_co_ci_u32_e64 v52, s7, 0, v1, s7
	v_cmp_eq_u64_e64 s8, s[22:23], v[30:31]
	s_delay_alu instid0(VALU_DEP_2) | instskip(SKIP_1) | instid1(VALU_DEP_3)
	v_cmp_gt_i64_e64 s9, v[51:52], v[18:19]
	v_cmp_le_i64_e64 s7, s[18:19], v[51:52]
	s_and_b32 s28, s41, s8
	s_delay_alu instid0(VALU_DEP_2) | instskip(NEXT) | instid1(SALU_CYCLE_1)
	s_or_b32 s8, s3, s9
	s_or_b32 s8, s8, s28
	s_delay_alu instid0(VALU_DEP_1) | instid1(SALU_CYCLE_1)
	s_or_b32 s8, s7, s8
	s_delay_alu instid0(SALU_CYCLE_1) | instskip(NEXT) | instid1(SALU_CYCLE_1)
	s_xor_b32 s8, s8, -1
	s_and_saveexec_b32 s9, s8
	s_delay_alu instid0(SALU_CYCLE_1)
	s_xor_b32 s8, exec_lo, s9
	s_cbranch_execz .LBB86_17
; %bb.16:                               ;   in Loop: Header=BB86_7 Depth=2
	global_load_b64 v[2:3], v[2:3], off offset:128
	s_waitcnt vmcnt(0)
	ds_store_b64 v38, v[2:3] offset:128
.LBB86_17:                              ;   in Loop: Header=BB86_7 Depth=2
	s_and_not1_saveexec_b32 s8, s8
	s_cbranch_execz .LBB86_23
; %bb.18:                               ;   in Loop: Header=BB86_7 Depth=2
	s_xor_b32 s9, s28, -1
	s_delay_alu instid0(SALU_CYCLE_1) | instskip(NEXT) | instid1(SALU_CYCLE_1)
	s_and_saveexec_b32 s28, s9
	s_xor_b32 s9, exec_lo, s28
	s_cbranch_execz .LBB86_20
; %bb.19:                               ;   in Loop: Header=BB86_7 Depth=2
	v_mov_b32_e32 v2, v5
	v_mov_b32_e32 v3, v5
	ds_store_b64 v38, v[2:3] offset:128
.LBB86_20:                              ;   in Loop: Header=BB86_7 Depth=2
	s_and_not1_saveexec_b32 s9, s9
	s_cbranch_execz .LBB86_22
; %bb.21:                               ;   in Loop: Header=BB86_7 Depth=2
	ds_store_b64 v38, v[4:5] offset:128
.LBB86_22:                              ;   in Loop: Header=BB86_7 Depth=2
	s_or_b32 exec_lo, exec_lo, s9
.LBB86_23:                              ;   in Loop: Header=BB86_7 Depth=2
	s_delay_alu instid0(SALU_CYCLE_1) | instskip(SKIP_2) | instid1(VALU_DEP_2)
	s_or_b32 exec_lo, exec_lo, s8
	v_cmp_eq_u64_e64 s8, s[22:23], v[28:29]
	v_cmp_gt_i64_e64 s9, v[0:1], v[24:25]
	s_and_b32 s8, s41, s8
	s_delay_alu instid0(VALU_DEP_1) | instskip(NEXT) | instid1(SALU_CYCLE_1)
	s_or_b32 s9, s4, s9
	s_or_b32 s9, s9, s8
	s_delay_alu instid0(SALU_CYCLE_1) | instskip(NEXT) | instid1(SALU_CYCLE_1)
	s_or_b32 s6, s6, s9
	s_xor_b32 s6, s6, -1
	s_delay_alu instid0(SALU_CYCLE_1) | instskip(NEXT) | instid1(SALU_CYCLE_1)
	s_and_saveexec_b32 s9, s6
	s_xor_b32 s9, exec_lo, s9
	s_cbranch_execz .LBB86_25
; %bb.24:                               ;   in Loop: Header=BB86_7 Depth=2
	v_add_co_u32 v0, s6, v22, v36
	s_delay_alu instid0(VALU_DEP_1)
	v_add_co_ci_u32_e64 v1, s6, 0, v23, s6
	global_load_b64 v[0:1], v[0:1], off
	s_waitcnt vmcnt(0)
	ds_store_b64 v38, v[0:1] offset:4096
.LBB86_25:                              ;   in Loop: Header=BB86_7 Depth=2
	s_and_not1_saveexec_b32 s6, s9
	s_cbranch_execz .LBB86_31
; %bb.26:                               ;   in Loop: Header=BB86_7 Depth=2
	s_xor_b32 s8, s8, -1
	s_delay_alu instid0(SALU_CYCLE_1) | instskip(NEXT) | instid1(SALU_CYCLE_1)
	s_and_saveexec_b32 s9, s8
	s_xor_b32 s8, exec_lo, s9
	s_cbranch_execz .LBB86_28
; %bb.27:                               ;   in Loop: Header=BB86_7 Depth=2
	v_mov_b32_e32 v0, v5
	v_mov_b32_e32 v1, v5
	ds_store_b64 v38, v[0:1] offset:4096
.LBB86_28:                              ;   in Loop: Header=BB86_7 Depth=2
	s_and_not1_saveexec_b32 s8, s8
	s_cbranch_execz .LBB86_30
; %bb.29:                               ;   in Loop: Header=BB86_7 Depth=2
	ds_store_b64 v38, v[4:5] offset:4096
.LBB86_30:                              ;   in Loop: Header=BB86_7 Depth=2
	s_or_b32 exec_lo, exec_lo, s8
.LBB86_31:                              ;   in Loop: Header=BB86_7 Depth=2
	s_delay_alu instid0(SALU_CYCLE_1) | instskip(SKIP_1) | instid1(SALU_CYCLE_1)
	s_or_b32 exec_lo, exec_lo, s6
	s_or_b32 s5, s4, s5
	s_or_b32 s5, s5, s27
	s_delay_alu instid0(SALU_CYCLE_1) | instskip(NEXT) | instid1(SALU_CYCLE_1)
	s_or_b32 s5, s7, s5
	s_xor_b32 s5, s5, -1
	s_delay_alu instid0(SALU_CYCLE_1) | instskip(NEXT) | instid1(SALU_CYCLE_1)
	s_and_saveexec_b32 s6, s5
	s_xor_b32 s6, exec_lo, s6
	s_cbranch_execz .LBB86_33
; %bb.32:                               ;   in Loop: Header=BB86_7 Depth=2
	v_add_co_u32 v0, s5, v22, v36
	s_delay_alu instid0(VALU_DEP_1)
	v_add_co_ci_u32_e64 v1, s5, 0, v23, s5
	global_load_b64 v[0:1], v[0:1], off offset:128
	s_waitcnt vmcnt(0)
	ds_store_b64 v38, v[0:1] offset:4224
.LBB86_33:                              ;   in Loop: Header=BB86_7 Depth=2
	s_and_not1_saveexec_b32 s5, s6
	s_cbranch_execz .LBB86_39
; %bb.34:                               ;   in Loop: Header=BB86_7 Depth=2
	s_and_saveexec_b32 s6, s26
	s_delay_alu instid0(SALU_CYCLE_1)
	s_xor_b32 s6, exec_lo, s6
	s_cbranch_execz .LBB86_36
; %bb.35:                               ;   in Loop: Header=BB86_7 Depth=2
	v_mov_b32_e32 v0, v5
	v_mov_b32_e32 v1, v5
	ds_store_b64 v38, v[0:1] offset:4224
.LBB86_36:                              ;   in Loop: Header=BB86_7 Depth=2
	s_and_not1_saveexec_b32 s6, s6
	s_cbranch_execz .LBB86_38
; %bb.37:                               ;   in Loop: Header=BB86_7 Depth=2
	ds_store_b64 v38, v[4:5] offset:4224
.LBB86_38:                              ;   in Loop: Header=BB86_7 Depth=2
	s_or_b32 exec_lo, exec_lo, s6
.LBB86_39:                              ;   in Loop: Header=BB86_7 Depth=2
	s_delay_alu instid0(SALU_CYCLE_1) | instskip(SKIP_1) | instid1(VALU_DEP_1)
	s_or_b32 exec_lo, exec_lo, s5
	v_add_co_u32 v0, s5, v35, s22
	v_add_co_ci_u32_e64 v1, null, 0, s23, s5
	v_add_co_u32 v2, s6, v32, v10
	s_delay_alu instid0(VALU_DEP_1) | instskip(NEXT) | instid1(VALU_DEP_3)
	v_add_co_ci_u32_e64 v3, s6, v33, v11, s6
	v_cmp_le_i64_e64 s5, s[18:19], v[0:1]
	s_delay_alu instid0(VALU_DEP_1) | instskip(NEXT) | instid1(SALU_CYCLE_1)
	s_or_b32 s6, s5, s0
	s_xor_b32 s6, s6, -1
	s_delay_alu instid0(SALU_CYCLE_1) | instskip(NEXT) | instid1(SALU_CYCLE_1)
	s_and_saveexec_b32 s7, s6
	s_xor_b32 s6, exec_lo, s7
	s_cbranch_execz .LBB86_41
; %bb.40:                               ;   in Loop: Header=BB86_7 Depth=2
	global_load_b64 v[51:52], v[2:3], off offset:-128
	s_waitcnt vmcnt(0)
	ds_store_b64 v40, v[51:52]
.LBB86_41:                              ;   in Loop: Header=BB86_7 Depth=2
	s_and_not1_saveexec_b32 s6, s6
	s_cbranch_execz .LBB86_43
; %bb.42:                               ;   in Loop: Header=BB86_7 Depth=2
	v_mov_b32_e32 v51, v5
	v_mov_b32_e32 v52, v5
	ds_store_b64 v40, v[51:52]
.LBB86_43:                              ;   in Loop: Header=BB86_7 Depth=2
	s_or_b32 exec_lo, exec_lo, s6
	s_or_b32 s5, s5, s1
	s_delay_alu instid0(SALU_CYCLE_1) | instskip(NEXT) | instid1(SALU_CYCLE_1)
	s_xor_b32 s5, s5, -1
	s_and_saveexec_b32 s6, s5
	s_delay_alu instid0(SALU_CYCLE_1)
	s_xor_b32 s5, exec_lo, s6
	s_cbranch_execz .LBB86_45
; %bb.44:                               ;   in Loop: Header=BB86_7 Depth=2
	global_load_b64 v[2:3], v[2:3], off
	s_waitcnt vmcnt(0)
	ds_store_b64 v40, v[2:3] offset:128
.LBB86_45:                              ;   in Loop: Header=BB86_7 Depth=2
	s_and_not1_saveexec_b32 s5, s5
	s_cbranch_execz .LBB86_47
; %bb.46:                               ;   in Loop: Header=BB86_7 Depth=2
	v_mov_b32_e32 v2, v5
	v_mov_b32_e32 v3, v5
	ds_store_b64 v40, v[2:3] offset:128
.LBB86_47:                              ;   in Loop: Header=BB86_7 Depth=2
	s_or_b32 exec_lo, exec_lo, s5
	v_cmp_le_i64_e64 s5, s[12:13], v[0:1]
	s_delay_alu instid0(VALU_DEP_1) | instskip(NEXT) | instid1(SALU_CYCLE_1)
	s_or_b32 s6, s5, s0
	s_xor_b32 s6, s6, -1
	s_delay_alu instid0(SALU_CYCLE_1) | instskip(NEXT) | instid1(SALU_CYCLE_1)
	s_and_saveexec_b32 s7, s6
	s_xor_b32 s7, exec_lo, s7
	s_cbranch_execz .LBB86_49
; %bb.48:                               ;   in Loop: Header=BB86_7 Depth=2
	v_add_co_u32 v0, s6, v32, v12
	s_delay_alu instid0(VALU_DEP_1)
	v_add_co_ci_u32_e64 v1, s6, v33, v13, s6
	global_load_b64 v[0:1], v[0:1], off offset:-128
	s_waitcnt vmcnt(0)
	ds_store_b64 v40, v[0:1] offset:4096
.LBB86_49:                              ;   in Loop: Header=BB86_7 Depth=2
	s_and_not1_saveexec_b32 s6, s7
	s_cbranch_execz .LBB86_51
; %bb.50:                               ;   in Loop: Header=BB86_7 Depth=2
	v_mov_b32_e32 v0, v5
	v_mov_b32_e32 v1, v5
	ds_store_b64 v40, v[0:1] offset:4096
.LBB86_51:                              ;   in Loop: Header=BB86_7 Depth=2
	s_or_b32 exec_lo, exec_lo, s6
	s_or_b32 s5, s5, s1
	s_delay_alu instid0(SALU_CYCLE_1) | instskip(NEXT) | instid1(SALU_CYCLE_1)
	s_xor_b32 s5, s5, -1
	s_and_saveexec_b32 s6, s5
	s_delay_alu instid0(SALU_CYCLE_1)
	s_xor_b32 s6, exec_lo, s6
	s_cbranch_execz .LBB86_53
; %bb.52:                               ;   in Loop: Header=BB86_7 Depth=2
	v_add_co_u32 v0, s5, v32, v12
	s_delay_alu instid0(VALU_DEP_1)
	v_add_co_ci_u32_e64 v1, s5, v33, v13, s5
	global_load_b64 v[0:1], v[0:1], off
	s_waitcnt vmcnt(0)
	ds_store_b64 v40, v[0:1] offset:4224
.LBB86_53:                              ;   in Loop: Header=BB86_7 Depth=2
	s_and_not1_saveexec_b32 s5, s6
	s_cbranch_execz .LBB86_6
; %bb.54:                               ;   in Loop: Header=BB86_7 Depth=2
	v_mov_b32_e32 v0, v5
	v_mov_b32_e32 v1, v5
	ds_store_b64 v40, v[0:1] offset:4224
	s_branch .LBB86_6
.LBB86_55:                              ;   in Loop: Header=BB86_4 Depth=1
	v_mul_lo_u32 v2, v19, s36
	v_mul_lo_u32 v3, v18, s37
	v_mad_u64_u32 v[0:1], null, v18, s36, 0
	v_cmp_gt_i32_e64 s3, s18, v18
	s_delay_alu instid0(VALU_DEP_2) | instskip(NEXT) | instid1(VALU_DEP_1)
	v_add3_u32 v1, v1, v3, v2
	v_lshlrev_b64 v[0:1], 3, v[0:1]
	s_delay_alu instid0(VALU_DEP_1) | instskip(NEXT) | instid1(VALU_DEP_1)
	v_add_co_u32 v0, s4, s38, v0
	v_add_co_ci_u32_e64 v1, s4, s39, v1, s4
	s_and_b32 s4, vcc_lo, s3
	s_delay_alu instid0(SALU_CYCLE_1)
	s_and_saveexec_b32 s5, s4
	s_cbranch_execz .LBB86_57
; %bb.56:                               ;   in Loop: Header=BB86_4 Depth=1
	v_add_co_u32 v2, s4, v0, v14
	s_delay_alu instid0(VALU_DEP_1) | instskip(SKIP_2) | instid1(VALU_DEP_1)
	v_add_co_ci_u32_e64 v3, s4, v1, v15, s4
	global_load_b64 v[19:20], v[2:3], off
	v_mul_f32_e32 v22, s34, v50
	v_dual_mul_f32 v21, s35, v50 :: v_dual_fmac_f32 v22, s35, v49
	s_delay_alu instid0(VALU_DEP_1) | instskip(SKIP_1) | instid1(VALU_DEP_1)
	v_fma_f32 v21, v49, s34, -v21
	s_waitcnt vmcnt(0)
	v_dual_add_f32 v19, v19, v21 :: v_dual_add_f32 v20, v20, v22
	global_store_b64 v[2:3], v[19:20], off
.LBB86_57:                              ;   in Loop: Header=BB86_4 Depth=1
	s_or_b32 exec_lo, exec_lo, s5
	s_and_b32 s3, s2, s3
	s_delay_alu instid0(SALU_CYCLE_1)
	s_and_saveexec_b32 s4, s3
	s_cbranch_execz .LBB86_59
; %bb.58:                               ;   in Loop: Header=BB86_4 Depth=1
	v_lshlrev_b64 v[2:3], 3, v[6:7]
	v_mul_f32_e32 v20, s34, v48
	s_delay_alu instid0(VALU_DEP_1) | instskip(NEXT) | instid1(VALU_DEP_3)
	v_dual_mul_f32 v19, s35, v48 :: v_dual_fmac_f32 v20, s35, v47
	v_add_co_u32 v0, s3, v0, v2
	s_delay_alu instid0(VALU_DEP_1) | instskip(NEXT) | instid1(VALU_DEP_3)
	v_add_co_ci_u32_e64 v1, s3, v1, v3, s3
	v_fma_f32 v19, v47, s34, -v19
	global_load_b64 v[2:3], v[0:1], off
	s_waitcnt vmcnt(0)
	v_dual_add_f32 v2, v2, v19 :: v_dual_add_f32 v3, v3, v20
	global_store_b64 v[0:1], v[2:3], off
.LBB86_59:                              ;   in Loop: Header=BB86_4 Depth=1
	s_or_b32 exec_lo, exec_lo, s4
	v_add_nc_u32_e32 v2, 16, v18
	s_delay_alu instid0(VALU_DEP_1) | instskip(SKIP_3) | instid1(VALU_DEP_4)
	v_ashrrev_i32_e32 v3, 31, v2
	v_mul_lo_u32 v18, v2, s37
	v_mad_u64_u32 v[0:1], null, v2, s36, 0
	v_cmp_gt_i32_e64 s3, s18, v2
	v_mul_lo_u32 v3, v3, s36
	s_delay_alu instid0(VALU_DEP_1) | instskip(NEXT) | instid1(VALU_DEP_1)
	v_add3_u32 v1, v1, v18, v3
	v_lshlrev_b64 v[0:1], 3, v[0:1]
	s_delay_alu instid0(VALU_DEP_1) | instskip(NEXT) | instid1(VALU_DEP_1)
	v_add_co_u32 v0, s4, s38, v0
	v_add_co_ci_u32_e64 v1, s4, s39, v1, s4
	s_and_b32 s4, vcc_lo, s3
	s_delay_alu instid0(SALU_CYCLE_1)
	s_and_saveexec_b32 s5, s4
	s_cbranch_execz .LBB86_61
; %bb.60:                               ;   in Loop: Header=BB86_4 Depth=1
	v_add_co_u32 v2, s4, v0, v14
	s_delay_alu instid0(VALU_DEP_1) | instskip(SKIP_2) | instid1(VALU_DEP_1)
	v_add_co_ci_u32_e64 v3, s4, v1, v15, s4
	global_load_b64 v[18:19], v[2:3], off
	v_mul_f32_e32 v21, s34, v46
	v_dual_mul_f32 v20, s35, v46 :: v_dual_fmac_f32 v21, s35, v45
	s_delay_alu instid0(VALU_DEP_1) | instskip(SKIP_1) | instid1(VALU_DEP_1)
	v_fma_f32 v20, v45, s34, -v20
	s_waitcnt vmcnt(0)
	v_dual_add_f32 v18, v18, v20 :: v_dual_add_f32 v19, v19, v21
	global_store_b64 v[2:3], v[18:19], off
.LBB86_61:                              ;   in Loop: Header=BB86_4 Depth=1
	s_or_b32 exec_lo, exec_lo, s5
	s_and_b32 s3, s2, s3
	s_delay_alu instid0(SALU_CYCLE_1)
	s_and_saveexec_b32 s4, s3
	s_cbranch_execz .LBB86_3
; %bb.62:                               ;   in Loop: Header=BB86_4 Depth=1
	v_lshlrev_b64 v[2:3], 3, v[6:7]
	v_mul_f32_e32 v18, s35, v9
	s_delay_alu instid0(VALU_DEP_2) | instskip(NEXT) | instid1(VALU_DEP_1)
	v_add_co_u32 v0, s3, v0, v2
	v_add_co_ci_u32_e64 v1, s3, v1, v3, s3
	global_load_b64 v[2:3], v[0:1], off
	v_mul_f32_e32 v9, s34, v9
	s_delay_alu instid0(VALU_DEP_1) | instskip(SKIP_2) | instid1(VALU_DEP_1)
	v_fmac_f32_e32 v9, s35, v44
	v_fma_f32 v18, v44, s34, -v18
	s_waitcnt vmcnt(0)
	v_dual_add_f32 v2, v2, v18 :: v_dual_add_f32 v3, v3, v9
	global_store_b64 v[0:1], v[2:3], off
	s_branch .LBB86_3
.LBB86_63:
	s_nop 0
	s_sendmsg sendmsg(MSG_DEALLOC_VGPRS)
	s_endpgm
	.section	.rodata,"a",@progbits
	.p2align	6, 0x0
	.amdhsa_kernel _ZL30rocblas_trmm_outofplace_kernelI19rocblas_complex_numIfELi32ELi2ELb0ELb1ELb0ELb0EPKS1_S2_S1_Ev17rocblas_diagonal_iiT6_lPT7_lllS7_lllPT8_llli
		.amdhsa_group_segment_fixed_size 16384
		.amdhsa_private_segment_fixed_size 0
		.amdhsa_kernarg_size 392
		.amdhsa_user_sgpr_count 13
		.amdhsa_user_sgpr_dispatch_ptr 0
		.amdhsa_user_sgpr_queue_ptr 0
		.amdhsa_user_sgpr_kernarg_segment_ptr 1
		.amdhsa_user_sgpr_dispatch_id 0
		.amdhsa_user_sgpr_private_segment_size 0
		.amdhsa_wavefront_size32 1
		.amdhsa_uses_dynamic_stack 0
		.amdhsa_enable_private_segment 0
		.amdhsa_system_sgpr_workgroup_id_x 1
		.amdhsa_system_sgpr_workgroup_id_y 1
		.amdhsa_system_sgpr_workgroup_id_z 1
		.amdhsa_system_sgpr_workgroup_info 0
		.amdhsa_system_vgpr_workitem_id 1
		.amdhsa_next_free_vgpr 85
		.amdhsa_next_free_sgpr 43
		.amdhsa_reserve_vcc 1
		.amdhsa_float_round_mode_32 0
		.amdhsa_float_round_mode_16_64 0
		.amdhsa_float_denorm_mode_32 3
		.amdhsa_float_denorm_mode_16_64 3
		.amdhsa_dx10_clamp 1
		.amdhsa_ieee_mode 1
		.amdhsa_fp16_overflow 0
		.amdhsa_workgroup_processor_mode 1
		.amdhsa_memory_ordered 1
		.amdhsa_forward_progress 0
		.amdhsa_shared_vgpr_count 0
		.amdhsa_exception_fp_ieee_invalid_op 0
		.amdhsa_exception_fp_denorm_src 0
		.amdhsa_exception_fp_ieee_div_zero 0
		.amdhsa_exception_fp_ieee_overflow 0
		.amdhsa_exception_fp_ieee_underflow 0
		.amdhsa_exception_fp_ieee_inexact 0
		.amdhsa_exception_int_div_zero 0
	.end_amdhsa_kernel
	.section	.text._ZL30rocblas_trmm_outofplace_kernelI19rocblas_complex_numIfELi32ELi2ELb0ELb1ELb0ELb0EPKS1_S2_S1_Ev17rocblas_diagonal_iiT6_lPT7_lllS7_lllPT8_llli,"axG",@progbits,_ZL30rocblas_trmm_outofplace_kernelI19rocblas_complex_numIfELi32ELi2ELb0ELb1ELb0ELb0EPKS1_S2_S1_Ev17rocblas_diagonal_iiT6_lPT7_lllS7_lllPT8_llli,comdat
.Lfunc_end86:
	.size	_ZL30rocblas_trmm_outofplace_kernelI19rocblas_complex_numIfELi32ELi2ELb0ELb1ELb0ELb0EPKS1_S2_S1_Ev17rocblas_diagonal_iiT6_lPT7_lllS7_lllPT8_llli, .Lfunc_end86-_ZL30rocblas_trmm_outofplace_kernelI19rocblas_complex_numIfELi32ELi2ELb0ELb1ELb0ELb0EPKS1_S2_S1_Ev17rocblas_diagonal_iiT6_lPT7_lllS7_lllPT8_llli
                                        ; -- End function
	.section	.AMDGPU.csdata,"",@progbits
; Kernel info:
; codeLenInByte = 7360
; NumSgprs: 45
; NumVgprs: 85
; ScratchSize: 0
; MemoryBound: 1
; FloatMode: 240
; IeeeMode: 1
; LDSByteSize: 16384 bytes/workgroup (compile time only)
; SGPRBlocks: 5
; VGPRBlocks: 10
; NumSGPRsForWavesPerEU: 45
; NumVGPRsForWavesPerEU: 85
; Occupancy: 16
; WaveLimiterHint : 0
; COMPUTE_PGM_RSRC2:SCRATCH_EN: 0
; COMPUTE_PGM_RSRC2:USER_SGPR: 13
; COMPUTE_PGM_RSRC2:TRAP_HANDLER: 0
; COMPUTE_PGM_RSRC2:TGID_X_EN: 1
; COMPUTE_PGM_RSRC2:TGID_Y_EN: 1
; COMPUTE_PGM_RSRC2:TGID_Z_EN: 1
; COMPUTE_PGM_RSRC2:TIDIG_COMP_CNT: 1
	.section	.text._ZL30rocblas_trmm_outofplace_kernelI19rocblas_complex_numIfELi32ELi2ELb0ELb1ELb0ELb0ES1_KS1_S1_Ev17rocblas_diagonal_iiT6_lPT7_lllS6_lllPT8_llli,"axG",@progbits,_ZL30rocblas_trmm_outofplace_kernelI19rocblas_complex_numIfELi32ELi2ELb0ELb1ELb0ELb0ES1_KS1_S1_Ev17rocblas_diagonal_iiT6_lPT7_lllS6_lllPT8_llli,comdat
	.globl	_ZL30rocblas_trmm_outofplace_kernelI19rocblas_complex_numIfELi32ELi2ELb0ELb1ELb0ELb0ES1_KS1_S1_Ev17rocblas_diagonal_iiT6_lPT7_lllS6_lllPT8_llli ; -- Begin function _ZL30rocblas_trmm_outofplace_kernelI19rocblas_complex_numIfELi32ELi2ELb0ELb1ELb0ELb0ES1_KS1_S1_Ev17rocblas_diagonal_iiT6_lPT7_lllS6_lllPT8_llli
	.p2align	8
	.type	_ZL30rocblas_trmm_outofplace_kernelI19rocblas_complex_numIfELi32ELi2ELb0ELb1ELb0ELb0ES1_KS1_S1_Ev17rocblas_diagonal_iiT6_lPT7_lllS6_lllPT8_llli,@function
_ZL30rocblas_trmm_outofplace_kernelI19rocblas_complex_numIfELi32ELi2ELb0ELb1ELb0ELb0ES1_KS1_S1_Ev17rocblas_diagonal_iiT6_lPT7_lllS6_lllPT8_llli: ; @_ZL30rocblas_trmm_outofplace_kernelI19rocblas_complex_numIfELi32ELi2ELb0ELb1ELb0ELb0ES1_KS1_S1_Ev17rocblas_diagonal_iiT6_lPT7_lllS6_lllPT8_llli
; %bb.0:
	s_clause 0x1
	s_load_b128 s[8:11], s[0:1], 0x0
	s_load_b32 s33, s[0:1], 0x10
	s_waitcnt lgkmcnt(0)
	s_or_b32 s2, s11, s33
	s_delay_alu instid0(SALU_CYCLE_1) | instskip(NEXT) | instid1(SALU_CYCLE_1)
	s_bitset0_b32 s2, 31
	s_cmp_eq_u32 s2, 0
	s_cbranch_scc1 .LBB87_63
; %bb.1:
	s_add_i32 s2, s10, -1
	s_delay_alu instid0(SALU_CYCLE_1) | instskip(NEXT) | instid1(SALU_CYCLE_1)
	s_ashr_i32 s3, s2, 31
	s_lshr_b32 s3, s3, 27
	s_delay_alu instid0(SALU_CYCLE_1) | instskip(NEXT) | instid1(SALU_CYCLE_1)
	s_add_i32 s2, s2, s3
	s_ashr_i32 s44, s2, 5
	s_delay_alu instid0(SALU_CYCLE_1)
	s_cmp_gt_i32 s14, s44
	s_cbranch_scc1 .LBB87_63
; %bb.2:
	s_clause 0x1
	s_load_b512 s[16:31], s[0:1], 0x20
	s_load_b256 s[36:43], s[0:1], 0x60
	v_bfe_u32 v35, v0, 10, 10
	s_load_b32 s45, s[0:1], 0x8c
	v_dual_mov_b32 v5, 0 :: v_dual_and_b32 v34, 0x3ff, v0
	s_mov_b32 s12, s10
	s_delay_alu instid0(VALU_DEP_1) | instskip(NEXT) | instid1(VALU_DEP_1)
	v_lshl_add_u32 v0, s13, 5, v34
	v_ashrrev_i32_e32 v1, 31, v0
	v_cmp_gt_i32_e32 vcc_lo, s9, v0
	v_add_nc_u32_e32 v6, 16, v0
	s_delay_alu instid0(VALU_DEP_3)
	v_lshlrev_b64 v[14:15], 3, v[0:1]
	s_waitcnt lgkmcnt(0)
	v_mad_u64_u32 v[2:3], null, s28, v35, 0
	s_mul_i32 s1, s15, s43
	s_mul_hi_u32 s2, s15, s42
	s_mul_i32 s0, s15, s42
	s_add_i32 s1, s2, s1
	s_mul_hi_u32 s4, s30, s15
	s_lshl_b64 s[0:1], s[0:1], 3
	s_delay_alu instid0(VALU_DEP_1)
	v_mad_u64_u32 v[9:10], null, s29, v35, v[3:4]
	v_lshl_add_u32 v4, v35, 3, 0x80
	s_add_u32 s2, s36, s0
	s_addc_u32 s3, s37, s1
	s_lshl_b64 s[0:1], s[38:39], 3
	v_lshlrev_b32_e32 v36, 3, v34
	s_add_u32 s38, s2, s0
	s_delay_alu instid0(VALU_DEP_3)
	v_mov_b32_e32 v3, v9
	s_addc_u32 s39, s3, s1
	v_mad_u64_u32 v[12:13], null, s28, v4, 0
	s_cmpk_eq_i32 s8, 0x84
	v_sub_co_u32 v42, s3, 0, v34
	s_cselect_b32 s42, -1, 0
	s_ashr_i32 s1, s9, 31
	s_ashr_i32 s13, s10, 31
	s_lshl_b64 s[34:35], s[28:29], 8
	v_sub_co_ci_u32_e64 v43, null, 0, 0, s3
	s_mul_i32 s3, s31, s15
	s_add_u32 s36, s10, -16
	s_addc_u32 s37, s13, -1
	s_add_i32 s5, s4, s3
	s_mul_i32 s4, s30, s15
	s_lshl_b64 s[6:7], s[26:27], 3
	s_lshl_b64 s[4:5], s[4:5], 3
	v_lshlrev_b32_e32 v37, 8, v35
	v_sub_co_u32 v7, s0, s9, v0
	v_mov_b32_e32 v0, v13
	s_lshl_b32 s30, s45, 5
	s_add_u32 s3, s4, s6
	s_addc_u32 s4, s5, s7
	s_add_u32 s3, s24, s3
	v_sub_co_ci_u32_e64 v8, s0, s1, v1, s0
	v_lshlrev_b64 v[10:11], 3, v[2:3]
	s_addc_u32 s7, s25, s4
	v_add_co_u32 v3, s3, s3, v14
	v_mad_u64_u32 v[1:2], null, s29, v4, v[0:1]
	s_mul_i32 s5, s23, s15
	s_mul_hi_u32 s6, s22, s15
	v_add_co_ci_u32_e64 v9, s3, s7, v15, s3
	v_or_b32_e32 v39, 0x2000, v36
	s_add_i32 s5, s6, s5
	s_mul_i32 s4, s22, s15
	v_add_co_u32 v16, s3, 0x80, v3
	s_lshl_b64 s[4:5], s[4:5], 3
	s_lshl_b64 s[6:7], s[18:19], 3
	v_cmp_gt_i64_e64 s0, 1, v[7:8]
	v_cmp_gt_i64_e64 s1, 17, v[7:8]
	v_add_co_ci_u32_e64 v17, s3, 0, v9, s3
	v_add_nc_u32_e32 v38, v37, v36
	v_add_nc_u32_e32 v40, v39, v37
	v_dual_mov_b32 v4, 1.0 :: v_dual_add_nc_u32 v41, 0x2080, v36
	v_lshl_add_u32 v8, s14, 5, v35
	s_add_u32 s3, s4, s6
	v_mov_b32_e32 v13, v1
	v_cmp_gt_i32_e64 s2, s9, v6
	v_ashrrev_i32_e32 v7, 31, v6
	s_addc_u32 s4, s5, s7
	s_add_u32 s16, s16, s3
	s_addc_u32 s17, s17, s4
	s_lshl_b64 s[18:19], s[20:21], 3
	s_branch .LBB87_4
.LBB87_3:                               ;   in Loop: Header=BB87_4 Depth=1
	s_or_b32 exec_lo, exec_lo, s4
	v_add_nc_u32_e32 v8, s30, v8
	s_add_i32 s14, s45, s14
	s_delay_alu instid0(SALU_CYCLE_1)
	s_cmp_le_i32 s14, s44
	s_cbranch_scc0 .LBB87_63
.LBB87_4:                               ; =>This Loop Header: Depth=1
                                        ;     Child Loop BB87_7 Depth 2
	s_lshl_b32 s15, s14, 5
	s_delay_alu instid0(SALU_CYCLE_1)
	v_dual_mov_b32 v49, v5 :: v_dual_add_nc_u32 v18, s15, v35
	v_mov_b32_e32 v50, v5
	v_mov_b32_e32 v47, v5
	;; [unrolled: 1-line block ×4, first 2 shown]
	v_ashrrev_i32_e32 v19, 31, v18
	v_mov_b32_e32 v46, v5
	v_mov_b32_e32 v44, v5
	;; [unrolled: 1-line block ×3, first 2 shown]
	s_cmp_lt_i32 s14, 0
	s_cbranch_scc1 .LBB87_55
; %bb.5:                                ;   in Loop: Header=BB87_4 Depth=1
	v_ashrrev_i32_e32 v9, 31, v8
	v_add_co_u32 v24, s4, v18, 16
	s_delay_alu instid0(VALU_DEP_1) | instskip(NEXT) | instid1(VALU_DEP_3)
	v_add_co_ci_u32_e64 v25, s4, 0, v19, s4
	v_lshlrev_b64 v[0:1], 3, v[8:9]
	v_add_co_u32 v26, s4, v42, v8
	v_mad_u64_u32 v[20:21], null, s18, v8, s[16:17]
	v_mul_lo_u32 v2, s19, v8
	s_delay_alu instid0(VALU_DEP_4) | instskip(NEXT) | instid1(VALU_DEP_1)
	v_add_co_u32 v0, s3, 0x80, v0
	v_add_co_ci_u32_e64 v1, s3, 0, v1, s3
	v_mul_lo_u32 v3, s18, v9
	s_delay_alu instid0(VALU_DEP_3) | instskip(SKIP_1) | instid1(VALU_DEP_4)
	v_mul_lo_u32 v28, s21, v0
	v_mad_u64_u32 v[22:23], null, s20, v0, s[16:17]
	v_mul_lo_u32 v1, s20, v1
	v_add_co_ci_u32_e64 v27, s4, v43, v9, s4
	v_cmp_le_i64_e64 s4, s[12:13], v[24:25]
	v_dual_mov_b32 v33, v17 :: v_dual_mov_b32 v44, 0
	v_cmp_le_i32_e64 s3, s10, v18
	v_add3_u32 v21, v2, v21, v3
	v_add3_u32 v23, v28, v23, v1
	v_add_co_u32 v28, s5, v26, 16
	s_delay_alu instid0(VALU_DEP_1) | instskip(SKIP_1) | instid1(VALU_DEP_1)
	v_add_co_ci_u32_e64 v29, s5, 0, v27, s5
	v_add_co_u32 v30, s5, v26, -16
	v_add_co_ci_u32_e64 v31, s5, -1, v27, s5
	v_dual_mov_b32 v9, 0 :: v_dual_mov_b32 v32, v16
	v_dual_mov_b32 v46, 0 :: v_dual_mov_b32 v45, 0
	;; [unrolled: 1-line block ×4, first 2 shown]
	s_mov_b64 s[22:23], 0
	s_branch .LBB87_7
.LBB87_6:                               ;   in Loop: Header=BB87_7 Depth=2
	s_or_b32 exec_lo, exec_lo, s5
	s_waitcnt lgkmcnt(0)
	s_waitcnt_vscnt null, 0x0
	s_barrier
	buffer_gl0_inv
	ds_load_2addr_b64 v[51:54], v39 offset1:32
	ds_load_b128 v[55:58], v37
	ds_load_2addr_b64 v[59:62], v41 offset1:32
	ds_load_b128 v[63:66], v37 offset:4096
	ds_load_b128 v[67:70], v37 offset:16
	;; [unrolled: 1-line block ×5, first 2 shown]
	v_add_co_u32 v32, s5, v32, s34
	s_delay_alu instid0(VALU_DEP_1) | instskip(SKIP_1) | instid1(VALU_DEP_1)
	v_add_co_ci_u32_e64 v33, s5, s35, v33, s5
	v_add_co_u32 v20, s5, 0x100, v20
	v_add_co_ci_u32_e64 v21, s5, 0, v21, s5
	v_add_co_u32 v22, s5, 0x100, v22
	s_add_u32 s22, s22, 32
	v_add_co_ci_u32_e64 v23, s5, 0, v23, s5
	s_waitcnt lgkmcnt(6)
	v_mul_f32_e32 v79, v56, v52
	s_waitcnt lgkmcnt(5)
	v_mul_f32_e32 v81, v56, v60
	v_mul_f32_e32 v82, v55, v60
	s_waitcnt lgkmcnt(4)
	v_mul_f32_e32 v84, v64, v60
	v_mul_f32_e32 v60, v63, v60
	;; [unrolled: 1-line block ×3, first 2 shown]
	s_addc_u32 s23, s23, 0
	s_sub_i32 s6, s22, 32
	s_delay_alu instid0(VALU_DEP_2) | instskip(SKIP_1) | instid1(VALU_DEP_1)
	v_fmac_f32_e32 v60, v64, v59
	s_cmp_ge_i32 s6, s15
	v_dual_add_f32 v9, v9, v60 :: v_dual_mul_f32 v60, v58, v62
	v_fma_f32 v79, v55, v51, -v79
	s_delay_alu instid0(VALU_DEP_1) | instskip(NEXT) | instid1(VALU_DEP_1)
	v_dual_mul_f32 v80, v55, v52 :: v_dual_add_f32 v49, v49, v79
	v_fmac_f32_e32 v80, v56, v51
	v_fmac_f32_e32 v82, v56, v59
	v_mul_f32_e32 v52, v63, v52
	v_fma_f32 v56, v63, v51, -v83
	s_delay_alu instid0(VALU_DEP_3) | instskip(SKIP_3) | instid1(VALU_DEP_2)
	v_add_f32_e32 v79, v48, v82
	v_mul_f32_e32 v82, v66, v54
	v_fma_f32 v55, v55, v59, -v81
	v_dual_fmac_f32 v52, v64, v51 :: v_dual_mul_f32 v81, v57, v62
	v_add_f32_e32 v55, v47, v55
	v_fma_f32 v51, v63, v59, -v84
	v_mul_f32_e32 v59, v57, v54
	s_delay_alu instid0(VALU_DEP_2) | instskip(NEXT) | instid1(VALU_DEP_2)
	v_dual_fmac_f32 v81, v58, v61 :: v_dual_add_f32 v64, v44, v51
	v_fmac_f32_e32 v59, v58, v53
	v_add_f32_e32 v63, v50, v80
	v_dual_add_f32 v56, v45, v56 :: v_dual_mul_f32 v45, v58, v54
	v_mul_f32_e32 v54, v65, v54
	v_fma_f32 v58, v65, v53, -v82
	s_delay_alu instid0(VALU_DEP_4) | instskip(NEXT) | instid1(VALU_DEP_4)
	v_add_f32_e32 v59, v63, v59
	v_fma_f32 v48, v57, v53, -v45
	v_fma_f32 v57, v57, v61, -v60
	v_add_f32_e32 v52, v46, v52
	ds_load_2addr_b64 v[44:47], v39 offset0:64 offset1:96
	v_add_f32_e32 v60, v79, v81
	v_dual_add_f32 v80, v49, v48 :: v_dual_add_f32 v55, v55, v57
	v_mul_f32_e32 v57, v66, v62
	ds_load_2addr_b64 v[48:51], v41 offset0:64 offset1:96
	v_dual_fmac_f32 v54, v66, v53 :: v_dual_add_f32 v53, v56, v58
	v_fma_f32 v57, v65, v61, -v57
	s_delay_alu instid0(VALU_DEP_1) | instskip(NEXT) | instid1(VALU_DEP_1)
	v_dual_mul_f32 v56, v65, v62 :: v_dual_add_f32 v57, v64, v57
	v_fmac_f32_e32 v56, v66, v61
	s_delay_alu instid0(VALU_DEP_1)
	v_dual_add_f32 v9, v9, v56 :: v_dual_add_f32 v52, v52, v54
	s_waitcnt lgkmcnt(1)
	v_dual_mul_f32 v54, v67, v45 :: v_dual_mul_f32 v63, v78, v47
	s_waitcnt lgkmcnt(0)
	v_mul_f32_e32 v56, v67, v49
	v_mul_f32_e32 v66, v69, v51
	s_delay_alu instid0(VALU_DEP_3) | instskip(NEXT) | instid1(VALU_DEP_2)
	v_fmac_f32_e32 v54, v68, v44
	v_dual_mul_f32 v61, v68, v49 :: v_dual_fmac_f32 v66, v70, v50
	s_delay_alu instid0(VALU_DEP_2) | instskip(SKIP_1) | instid1(VALU_DEP_3)
	v_add_f32_e32 v62, v59, v54
	v_mul_f32_e32 v54, v76, v45
	v_fma_f32 v61, v67, v48, -v61
	s_delay_alu instid0(VALU_DEP_2) | instskip(SKIP_2) | instid1(VALU_DEP_4)
	v_fma_f32 v54, v75, v44, -v54
	v_mul_f32_e32 v58, v68, v45
	v_mul_f32_e32 v45, v75, v45
	v_add_f32_e32 v61, v55, v61
	s_delay_alu instid0(VALU_DEP_4) | instskip(NEXT) | instid1(VALU_DEP_4)
	v_add_f32_e32 v65, v53, v54
	v_fma_f32 v58, v67, v44, -v58
	s_delay_alu instid0(VALU_DEP_4) | instskip(SKIP_1) | instid1(VALU_DEP_3)
	v_dual_fmac_f32 v45, v76, v44 :: v_dual_mul_f32 v44, v75, v49
	v_dual_mul_f32 v53, v70, v47 :: v_dual_fmac_f32 v56, v68, v48
	v_add_f32_e32 v58, v80, v58
	v_mul_f32_e32 v55, v76, v49
	s_delay_alu instid0(VALU_DEP_4) | instskip(SKIP_2) | instid1(VALU_DEP_4)
	v_fmac_f32_e32 v44, v76, v48
	v_add_f32_e32 v45, v52, v45
	v_fma_f32 v68, v77, v46, -v63
	v_fma_f32 v49, v75, v48, -v55
	s_delay_alu instid0(VALU_DEP_1) | instskip(SKIP_3) | instid1(VALU_DEP_3)
	v_add_f32_e32 v48, v57, v49
	v_mul_f32_e32 v49, v69, v47
	v_mul_f32_e32 v57, v70, v51
	;; [unrolled: 1-line block ×3, first 2 shown]
	v_dual_fmac_f32 v49, v70, v46 :: v_dual_add_f32 v64, v60, v56
	v_fma_f32 v56, v69, v46, -v53
	ds_load_2addr_b64 v[52:55], v39 offset0:128 offset1:160
	v_fma_f32 v60, v69, v50, -v57
	v_add_f32_e32 v49, v62, v49
	v_add_f32_e32 v9, v9, v44
	;; [unrolled: 1-line block ×3, first 2 shown]
	ds_load_2addr_b64 v[56:59], v41 offset0:128 offset1:160
	v_add_f32_e32 v67, v61, v60
	ds_load_b128 v[60:63], v37 offset:4128
	v_add_f32_e32 v64, v64, v66
	v_mul_f32_e32 v66, v78, v51
	v_dual_fmac_f32 v47, v78, v46 :: v_dual_mul_f32 v46, v77, v51
	v_add_f32_e32 v51, v65, v68
	s_waitcnt lgkmcnt(2)
	s_delay_alu instid0(VALU_DEP_2) | instskip(SKIP_1) | instid1(VALU_DEP_2)
	v_dual_add_f32 v68, v45, v47 :: v_dual_mul_f32 v65, v72, v53
	v_fma_f32 v66, v77, v50, -v66
	v_fma_f32 v45, v71, v52, -v65
	s_waitcnt lgkmcnt(1)
	v_dual_mul_f32 v47, v72, v57 :: v_dual_fmac_f32 v46, v78, v50
	v_mul_f32_e32 v50, v71, v53
	s_delay_alu instid0(VALU_DEP_3) | instskip(NEXT) | instid1(VALU_DEP_3)
	v_add_f32_e32 v65, v44, v45
	v_fma_f32 v69, v71, v56, -v47
	s_delay_alu instid0(VALU_DEP_4) | instskip(SKIP_3) | instid1(VALU_DEP_1)
	v_add_f32_e32 v9, v9, v46
	v_add_f32_e32 v48, v48, v66
	ds_load_b128 v[44:47], v37 offset:4144
	v_fmac_f32_e32 v50, v72, v52
	v_dual_mul_f32 v66, v71, v57 :: v_dual_add_f32 v71, v49, v50
	s_delay_alu instid0(VALU_DEP_1)
	v_fmac_f32_e32 v66, v72, v56
	s_waitcnt lgkmcnt(1)
	v_mul_f32_e32 v70, v61, v53
	v_mul_f32_e32 v49, v60, v53
	v_add_f32_e32 v53, v67, v69
	v_mul_f32_e32 v67, v61, v57
	v_add_f32_e32 v69, v64, v66
	v_fma_f32 v50, v60, v52, -v70
	v_dual_fmac_f32 v49, v61, v52 :: v_dual_mul_f32 v52, v60, v57
	s_delay_alu instid0(VALU_DEP_2) | instskip(SKIP_2) | instid1(VALU_DEP_4)
	v_add_f32_e32 v57, v51, v50
	v_mul_f32_e32 v51, v74, v55
	v_fma_f32 v50, v60, v56, -v67
	v_add_f32_e32 v60, v68, v49
	v_fmac_f32_e32 v52, v61, v56
	v_mul_f32_e32 v56, v73, v55
	v_fma_f32 v64, v73, v54, -v51
	v_add_f32_e32 v61, v48, v50
	ds_load_2addr_b64 v[48:51], v39 offset0:192 offset1:224
	v_mul_f32_e32 v72, v63, v55
	v_dual_mul_f32 v55, v62, v55 :: v_dual_add_f32 v68, v65, v64
	ds_load_2addr_b64 v[64:67], v41 offset0:192 offset1:224
	v_fmac_f32_e32 v55, v63, v54
	v_dual_add_f32 v9, v9, v52 :: v_dual_fmac_f32 v56, v74, v54
	s_delay_alu instid0(VALU_DEP_1) | instskip(SKIP_2) | instid1(VALU_DEP_2)
	v_dual_add_f32 v55, v60, v55 :: v_dual_add_f32 v56, v71, v56
	v_fma_f32 v71, v62, v54, -v72
	v_add_nc_u32_e32 v72, 0x800, v39
	v_add_f32_e32 v54, v57, v71
	v_mul_f32_e32 v57, v62, v59
	v_mul_f32_e32 v70, v73, v59
	s_waitcnt lgkmcnt(0)
	v_mul_f32_e32 v71, v47, v67
	s_delay_alu instid0(VALU_DEP_3) | instskip(NEXT) | instid1(VALU_DEP_3)
	v_fmac_f32_e32 v57, v63, v58
	v_fmac_f32_e32 v70, v74, v58
	s_delay_alu instid0(VALU_DEP_2) | instskip(NEXT) | instid1(VALU_DEP_2)
	v_dual_mul_f32 v52, v74, v59 :: v_dual_add_f32 v9, v9, v57
	v_add_f32_e32 v69, v69, v70
	s_delay_alu instid0(VALU_DEP_2) | instskip(SKIP_2) | instid1(VALU_DEP_3)
	v_fma_f32 v52, v73, v58, -v52
	v_mul_f32_e32 v57, v0, v65
	v_mul_f32_e32 v60, v0, v49
	v_dual_add_f32 v52, v53, v52 :: v_dual_add_nc_u32 v73, 0x800, v41
	v_mul_f32_e32 v53, v63, v59
	v_mul_f32_e32 v59, v1, v49
	v_fmac_f32_e32 v57, v1, v64
	s_delay_alu instid0(VALU_DEP_3) | instskip(NEXT) | instid1(VALU_DEP_3)
	v_fma_f32 v53, v62, v58, -v53
	v_fma_f32 v58, v0, v48, -v59
	v_mul_f32_e32 v59, v1, v65
	v_fmac_f32_e32 v60, v1, v48
	s_delay_alu instid0(VALU_DEP_4) | instskip(NEXT) | instid1(VALU_DEP_4)
	v_add_f32_e32 v53, v61, v53
	v_add_f32_e32 v61, v68, v58
	s_delay_alu instid0(VALU_DEP_4) | instskip(NEXT) | instid1(VALU_DEP_4)
	v_fma_f32 v0, v0, v64, -v59
	v_add_f32_e32 v68, v56, v60
	v_mul_f32_e32 v56, v45, v49
	v_mul_f32_e32 v60, v3, v67
	s_delay_alu instid0(VALU_DEP_4) | instskip(NEXT) | instid1(VALU_DEP_3)
	v_add_f32_e32 v0, v52, v0
	v_fma_f32 v52, v44, v48, -v56
	v_mul_f32_e32 v56, v44, v65
	v_mul_f32_e32 v1, v44, v49
	;; [unrolled: 1-line block ×3, first 2 shown]
	s_delay_alu instid0(VALU_DEP_3) | instskip(NEXT) | instid1(VALU_DEP_3)
	v_fmac_f32_e32 v56, v45, v64
	v_fmac_f32_e32 v1, v45, v48
	v_add_f32_e32 v48, v69, v57
	s_delay_alu instid0(VALU_DEP_4) | instskip(SKIP_3) | instid1(VALU_DEP_4)
	v_fma_f32 v44, v44, v64, -v49
	v_mul_f32_e32 v64, v2, v51
	v_add_f32_e32 v49, v54, v52
	v_add_f32_e32 v45, v55, v1
	v_dual_mul_f32 v1, v3, v51 :: v_dual_add_f32 v44, v53, v44
	v_add_f32_e32 v9, v9, v56
	ds_load_2addr_b64 v[52:55], v72 offset1:32
	ds_load_b128 v[56:59], v37 offset:64
	v_fmac_f32_e32 v64, v3, v50
	v_fma_f32 v1, v2, v50, -v1
	s_delay_alu instid0(VALU_DEP_2) | instskip(NEXT) | instid1(VALU_DEP_2)
	v_dual_mul_f32 v65, v2, v67 :: v_dual_add_f32 v64, v68, v64
	v_add_f32_e32 v69, v61, v1
	v_fma_f32 v1, v2, v66, -v60
	v_mul_f32_e32 v2, v47, v51
	ds_load_2addr_b64 v[60:63], v73 offset1:32
	v_dual_fmac_f32 v65, v3, v66 :: v_dual_mul_f32 v68, v46, v51
	v_add_f32_e32 v70, v0, v1
	v_fma_f32 v51, v46, v50, -v2
	ds_load_b128 v[0:3], v37 offset:4160
	v_dual_add_f32 v65, v48, v65 :: v_dual_fmac_f32 v68, v47, v50
	v_mul_f32_e32 v67, v46, v67
	v_fma_f32 v46, v46, v66, -v71
	s_delay_alu instid0(VALU_DEP_3) | instskip(NEXT) | instid1(VALU_DEP_3)
	v_add_f32_e32 v68, v45, v68
	v_dual_add_f32 v74, v49, v51 :: v_dual_fmac_f32 v67, v47, v66
	s_waitcnt lgkmcnt(2)
	v_mul_f32_e32 v66, v56, v53
	ds_load_b128 v[48:51], v37 offset:80
	v_add_f32_e32 v71, v44, v46
	v_add_f32_e32 v9, v9, v67
	s_waitcnt lgkmcnt(2)
	v_mul_f32_e32 v44, v57, v61
	v_dual_fmac_f32 v66, v57, v52 :: v_dual_mul_f32 v67, v56, v61
	s_delay_alu instid0(VALU_DEP_1) | instskip(NEXT) | instid1(VALU_DEP_2)
	v_dual_mul_f32 v75, v57, v53 :: v_dual_add_f32 v76, v64, v66
	v_fmac_f32_e32 v67, v57, v60
	s_delay_alu instid0(VALU_DEP_2)
	v_fma_f32 v45, v56, v52, -v75
	s_waitcnt lgkmcnt(1)
	v_mul_f32_e32 v75, v1, v53
	v_mul_f32_e32 v53, v0, v53
	v_fma_f32 v56, v56, v60, -v44
	v_mul_f32_e32 v64, v1, v61
	v_add_f32_e32 v69, v69, v45
	v_fma_f32 v57, v0, v52, -v75
	v_dual_fmac_f32 v53, v1, v52 :: v_dual_mul_f32 v52, v0, v61
	v_dual_mul_f32 v61, v59, v55 :: v_dual_add_f32 v56, v70, v56
	v_fma_f32 v0, v0, v60, -v64
	ds_load_b128 v[44:47], v37 offset:4176
	v_fmac_f32_e32 v52, v1, v60
	v_fma_f32 v60, v58, v54, -v61
	v_dual_add_f32 v57, v74, v57 :: v_dual_add_f32 v0, v71, v0
	s_delay_alu instid0(VALU_DEP_3) | instskip(SKIP_1) | instid1(VALU_DEP_4)
	v_dual_mul_f32 v74, v3, v55 :: v_dual_add_f32 v9, v9, v52
	v_dual_mul_f32 v52, v59, v63 :: v_dual_add_f32 v53, v68, v53
	v_add_f32_e32 v60, v69, v60
	ds_load_2addr_b64 v[68:71], v73 offset0:64 offset1:96
	v_mul_f32_e32 v1, v58, v55
	v_fma_f32 v52, v58, v62, -v52
	v_add_f32_e32 v75, v65, v67
	ds_load_2addr_b64 v[64:67], v72 offset0:64 offset1:96
	v_mul_f32_e32 v61, v58, v63
	v_mul_f32_e32 v55, v2, v55
	v_fma_f32 v58, v2, v54, -v74
	v_add_f32_e32 v52, v56, v52
	v_mul_f32_e32 v56, v3, v63
	v_fmac_f32_e32 v1, v59, v54
	v_fmac_f32_e32 v55, v3, v54
	v_dual_add_f32 v54, v57, v58 :: v_dual_mul_f32 v57, v2, v63
	s_delay_alu instid0(VALU_DEP_4) | instskip(NEXT) | instid1(VALU_DEP_2)
	v_fma_f32 v2, v2, v62, -v56
	v_fmac_f32_e32 v57, v3, v62
	s_delay_alu instid0(VALU_DEP_2)
	v_add_f32_e32 v0, v0, v2
	v_fmac_f32_e32 v61, v59, v62
	s_waitcnt lgkmcnt(1)
	v_dual_mul_f32 v3, v49, v69 :: v_dual_mul_f32 v58, v51, v71
	s_waitcnt lgkmcnt(0)
	v_mul_f32_e32 v62, v50, v67
	v_mul_f32_e32 v56, v49, v65
	v_add_f32_e32 v53, v53, v55
	s_delay_alu instid0(VALU_DEP_3) | instskip(NEXT) | instid1(VALU_DEP_3)
	v_dual_mul_f32 v55, v48, v65 :: v_dual_fmac_f32 v62, v51, v66
	v_fma_f32 v2, v48, v64, -v56
	v_mul_f32_e32 v56, v48, v69
	v_add_f32_e32 v1, v76, v1
	s_delay_alu instid0(VALU_DEP_4)
	v_fmac_f32_e32 v55, v49, v64
	v_add_f32_e32 v9, v9, v57
	v_add_f32_e32 v57, v60, v2
	v_fma_f32 v2, v48, v68, -v3
	v_dual_fmac_f32 v56, v49, v68 :: v_dual_add_f32 v59, v75, v61
	v_add_f32_e32 v48, v1, v55
	v_mul_f32_e32 v1, v45, v65
	s_delay_alu instid0(VALU_DEP_4) | instskip(NEXT) | instid1(VALU_DEP_4)
	v_dual_add_f32 v49, v52, v2 :: v_dual_mul_f32 v2, v45, v69
	v_add_f32_e32 v60, v59, v56
	v_mul_f32_e32 v56, v44, v69
	s_delay_alu instid0(VALU_DEP_4) | instskip(NEXT) | instid1(VALU_DEP_4)
	v_fma_f32 v1, v44, v64, -v1
	v_fma_f32 v2, v44, v68, -v2
	s_delay_alu instid0(VALU_DEP_3) | instskip(SKIP_3) | instid1(VALU_DEP_3)
	v_dual_fmac_f32 v56, v45, v68 :: v_dual_mul_f32 v3, v44, v65
	v_mul_f32_e32 v44, v51, v67
	v_dual_add_f32 v68, v48, v62 :: v_dual_mul_f32 v65, v47, v67
	v_mul_f32_e32 v67, v46, v67
	v_fma_f32 v44, v50, v66, -v44
	s_delay_alu instid0(VALU_DEP_3) | instskip(NEXT) | instid1(VALU_DEP_3)
	v_fma_f32 v62, v46, v66, -v65
	v_fmac_f32_e32 v67, v47, v66
	v_mul_f32_e32 v66, v47, v71
	s_delay_alu instid0(VALU_DEP_4)
	v_add_f32_e32 v44, v57, v44
	v_fmac_f32_e32 v3, v45, v64
	v_add_f32_e32 v61, v54, v1
	v_add_f32_e32 v45, v0, v2
	v_mul_f32_e32 v63, v50, v71
	v_fma_f32 v50, v50, v70, -v58
	v_add_f32_e32 v64, v53, v3
	ds_load_2addr_b64 v[0:3], v72 offset0:128 offset1:160
	ds_load_b128 v[52:55], v37 offset:96
	v_add_f32_e32 v9, v9, v56
	v_mul_f32_e32 v71, v46, v71
	v_fma_f32 v46, v46, v70, -v66
	ds_load_2addr_b64 v[56:59], v73 offset0:128 offset1:160
	v_dual_fmac_f32 v63, v51, v70 :: v_dual_add_f32 v64, v64, v67
	v_fmac_f32_e32 v71, v47, v70
	s_waitcnt lgkmcnt(1)
	v_dual_add_f32 v67, v45, v46 :: v_dual_mul_f32 v66, v52, v1
	v_mul_f32_e32 v75, v53, v1
	s_delay_alu instid0(VALU_DEP_3) | instskip(SKIP_1) | instid1(VALU_DEP_3)
	v_add_f32_e32 v9, v9, v71
	s_waitcnt lgkmcnt(0)
	v_dual_mul_f32 v71, v52, v57 :: v_dual_fmac_f32 v66, v53, v0
	v_add_f32_e32 v69, v49, v50
	ds_load_b128 v[48:51], v37 offset:4192
	v_fma_f32 v47, v52, v0, -v75
	v_add_f32_e32 v65, v60, v63
	v_dual_add_f32 v76, v68, v66 :: v_dual_fmac_f32 v71, v53, v56
	s_delay_alu instid0(VALU_DEP_3) | instskip(SKIP_3) | instid1(VALU_DEP_1)
	v_add_f32_e32 v70, v44, v47
	v_add_f32_e32 v74, v61, v62
	ds_load_b128 v[60:63], v37 offset:112
	v_mul_f32_e32 v45, v53, v57
	v_fma_f32 v52, v52, v56, -v45
	ds_load_b128 v[44:47], v37 offset:4208
	s_waitcnt lgkmcnt(2)
	v_mul_f32_e32 v75, v49, v1
	v_mul_f32_e32 v1, v48, v1
	;; [unrolled: 1-line block ×3, first 2 shown]
	s_delay_alu instid0(VALU_DEP_3) | instskip(NEXT) | instid1(VALU_DEP_3)
	v_fma_f32 v53, v48, v0, -v75
	v_dual_fmac_f32 v1, v49, v0 :: v_dual_mul_f32 v0, v48, v57
	s_delay_alu instid0(VALU_DEP_3) | instskip(SKIP_1) | instid1(VALU_DEP_4)
	v_fma_f32 v48, v48, v56, -v66
	v_mul_f32_e32 v57, v55, v3
	v_add_f32_e32 v53, v74, v53
	s_delay_alu instid0(VALU_DEP_4) | instskip(NEXT) | instid1(VALU_DEP_4)
	v_dual_add_f32 v1, v64, v1 :: v_dual_fmac_f32 v0, v49, v56
	v_dual_add_f32 v75, v65, v71 :: v_dual_add_f32 v48, v67, v48
	s_delay_alu instid0(VALU_DEP_4)
	v_fma_f32 v56, v54, v2, -v57
	ds_load_2addr_b64 v[64:67], v72 offset0:192 offset1:224
	v_add_f32_e32 v52, v69, v52
	v_dual_add_f32 v0, v9, v0 :: v_dual_mul_f32 v9, v55, v59
	v_add_f32_e32 v56, v70, v56
	ds_load_2addr_b64 v[68:71], v73 offset0:192 offset1:224
	v_mul_f32_e32 v72, v51, v3
	v_mul_f32_e32 v49, v54, v3
	;; [unrolled: 1-line block ×3, first 2 shown]
	v_fma_f32 v9, v54, v58, -v9
	v_mul_f32_e32 v3, v50, v3
	v_fma_f32 v54, v50, v2, -v72
	v_fmac_f32_e32 v49, v55, v2
	v_fmac_f32_e32 v57, v55, v58
	v_dual_add_f32 v9, v52, v9 :: v_dual_mul_f32 v52, v51, v59
	v_fmac_f32_e32 v3, v51, v2
	v_dual_add_f32 v2, v53, v54 :: v_dual_mul_f32 v53, v50, v59
	v_add_f32_e32 v49, v76, v49
	s_delay_alu instid0(VALU_DEP_4)
	v_fma_f32 v50, v50, v58, -v52
	s_waitcnt lgkmcnt(1)
	v_mul_f32_e32 v52, v61, v65
	v_dual_fmac_f32 v53, v51, v58 :: v_dual_add_nc_u32 v72, 0x1000, v39
	v_mul_f32_e32 v58, v62, v67
	v_add_f32_e32 v1, v1, v3
	v_mul_f32_e32 v3, v60, v65
	v_add_f32_e32 v48, v48, v50
	v_fma_f32 v50, v60, v64, -v52
	s_waitcnt lgkmcnt(0)
	v_mul_f32_e32 v51, v61, v69
	v_dual_add_f32 v0, v0, v53 :: v_dual_fmac_f32 v3, v61, v64
	s_delay_alu instid0(VALU_DEP_3) | instskip(NEXT) | instid1(VALU_DEP_3)
	v_dual_mul_f32 v54, v63, v71 :: v_dual_add_f32 v53, v56, v50
	v_fma_f32 v50, v60, v68, -v51
	v_mul_f32_e32 v52, v60, v69
	s_delay_alu instid0(VALU_DEP_4) | instskip(SKIP_1) | instid1(VALU_DEP_4)
	v_dual_add_f32 v56, v49, v3 :: v_dual_mul_f32 v49, v44, v65
	v_mul_f32_e32 v3, v45, v65
	v_add_f32_e32 v9, v9, v50
	v_mul_f32_e32 v50, v45, v69
	v_mul_f32_e32 v51, v44, v69
	v_dual_fmac_f32 v49, v45, v64 :: v_dual_fmac_f32 v58, v63, v66
	v_fmac_f32_e32 v52, v61, v68
	v_fma_f32 v3, v44, v64, -v3
	v_fma_f32 v44, v44, v68, -v50
	v_fmac_f32_e32 v51, v45, v68
	v_add_f32_e32 v45, v1, v49
	v_dual_mul_f32 v1, v63, v67 :: v_dual_add_f32 v68, v56, v58
	v_add_f32_e32 v55, v75, v57
	v_mul_f32_e32 v59, v62, v71
	v_fma_f32 v61, v62, v70, -v54
	v_add_f32_e32 v60, v2, v3
	v_add_f32_e32 v44, v48, v44
	;; [unrolled: 1-line block ×3, first 2 shown]
	v_fma_f32 v52, v62, v66, -v1
	v_mul_f32_e32 v62, v47, v67
	v_fmac_f32_e32 v59, v63, v70
	v_dual_add_f32 v9, v9, v61 :: v_dual_add_f32 v64, v0, v51
	ds_load_2addr_b64 v[0:3], v72 offset1:32
	ds_load_b128 v[48:51], v37 offset:128
	v_fma_f32 v61, v46, v66, -v62
	v_add_f32_e32 v69, v57, v59
	ds_load_b128 v[56:59], v37 offset:4224
	v_add_f32_e32 v65, v53, v52
	v_dual_mul_f32 v67, v46, v67 :: v_dual_add_f32 v74, v60, v61
	ds_load_b128 v[60:63], v37 offset:144
	v_add_nc_u32_e32 v73, 0x1000, v41
	v_fmac_f32_e32 v67, v47, v66
	v_mul_f32_e32 v66, v47, v71
	v_mul_f32_e32 v71, v46, v71
	ds_load_2addr_b64 v[52:55], v73 offset1:32
	v_fma_f32 v46, v46, v70, -v66
	v_dual_add_f32 v66, v45, v67 :: v_dual_fmac_f32 v71, v47, v70
	s_waitcnt lgkmcnt(3)
	s_delay_alu instid0(VALU_DEP_2) | instskip(SKIP_1) | instid1(VALU_DEP_3)
	v_dual_mul_f32 v75, v49, v1 :: v_dual_add_f32 v70, v44, v46
	v_mul_f32_e32 v67, v48, v1
	v_add_f32_e32 v71, v64, v71
	s_delay_alu instid0(VALU_DEP_3) | instskip(NEXT) | instid1(VALU_DEP_3)
	v_fma_f32 v45, v48, v0, -v75
	v_fmac_f32_e32 v67, v49, v0
	s_delay_alu instid0(VALU_DEP_1) | instskip(SKIP_3) | instid1(VALU_DEP_2)
	v_dual_add_f32 v75, v65, v45 :: v_dual_add_f32 v76, v68, v67
	s_waitcnt lgkmcnt(0)
	v_mul_f32_e32 v44, v49, v53
	v_mul_f32_e32 v64, v48, v53
	v_fma_f32 v48, v48, v52, -v44
	ds_load_b128 v[44:47], v37 offset:4240
	v_mul_f32_e32 v65, v57, v1
	v_dual_mul_f32 v1, v56, v1 :: v_dual_fmac_f32 v64, v49, v52
	v_add_f32_e32 v9, v9, v48
	v_mul_f32_e32 v49, v57, v53
	s_delay_alu instid0(VALU_DEP_4) | instskip(NEXT) | instid1(VALU_DEP_4)
	v_fma_f32 v48, v56, v0, -v65
	v_dual_fmac_f32 v1, v57, v0 :: v_dual_mul_f32 v0, v56, v53
	v_mul_f32_e32 v53, v51, v3
	s_delay_alu instid0(VALU_DEP_4) | instskip(NEXT) | instid1(VALU_DEP_4)
	v_fma_f32 v49, v56, v52, -v49
	v_add_f32_e32 v48, v74, v48
	v_mul_f32_e32 v74, v59, v3
	v_fmac_f32_e32 v0, v57, v52
	v_mul_f32_e32 v52, v50, v3
	v_mul_f32_e32 v57, v50, v55
	v_mul_f32_e32 v56, v51, v55
	v_mul_f32_e32 v3, v58, v3
	s_delay_alu instid0(VALU_DEP_4) | instskip(NEXT) | instid1(VALU_DEP_4)
	v_dual_add_f32 v77, v69, v64 :: v_dual_fmac_f32 v52, v51, v2
	v_fmac_f32_e32 v57, v51, v54
	v_fma_f32 v51, v58, v2, -v74
	v_add_f32_e32 v1, v66, v1
	v_fma_f32 v53, v50, v2, -v53
	ds_load_2addr_b64 v[64:67], v72 offset0:64 offset1:96
	v_dual_fmac_f32 v3, v59, v2 :: v_dual_add_f32 v2, v48, v51
	v_mul_f32_e32 v48, v58, v55
	v_dual_add_f32 v49, v70, v49 :: v_dual_add_f32 v0, v71, v0
	v_fma_f32 v50, v50, v54, -v56
	s_delay_alu instid0(VALU_DEP_3) | instskip(SKIP_4) | instid1(VALU_DEP_2)
	v_dual_add_f32 v1, v1, v3 :: v_dual_fmac_f32 v48, v59, v54
	ds_load_2addr_b64 v[68:71], v73 offset0:64 offset1:96
	v_dual_add_f32 v52, v76, v52 :: v_dual_add_f32 v9, v9, v50
	v_dual_mul_f32 v50, v59, v55 :: v_dual_add_f32 v55, v0, v48
	v_add_f32_e32 v56, v77, v57
	v_fma_f32 v50, v58, v54, -v50
	s_waitcnt lgkmcnt(1)
	v_mul_f32_e32 v51, v61, v65
	v_mul_f32_e32 v3, v60, v65
	s_delay_alu instid0(VALU_DEP_3) | instskip(SKIP_1) | instid1(VALU_DEP_4)
	v_dual_add_f32 v49, v49, v50 :: v_dual_mul_f32 v48, v44, v65
	v_mul_f32_e32 v58, v62, v67
	v_fma_f32 v50, v60, v64, -v51
	s_delay_alu instid0(VALU_DEP_4) | instskip(NEXT) | instid1(VALU_DEP_4)
	v_fmac_f32_e32 v3, v61, v64
	v_dual_add_f32 v53, v75, v53 :: v_dual_fmac_f32 v48, v45, v64
	s_waitcnt lgkmcnt(0)
	v_mul_f32_e32 v51, v61, v69
	v_mul_f32_e32 v54, v60, v69
	v_add_f32_e32 v57, v52, v3
	v_mul_f32_e32 v3, v45, v65
	v_mul_f32_e32 v52, v44, v69
	v_fma_f32 v0, v60, v68, -v51
	v_fmac_f32_e32 v54, v61, v68
	v_add_f32_e32 v53, v53, v50
	v_fma_f32 v3, v44, v64, -v3
	v_fmac_f32_e32 v52, v45, v68
	v_add_f32_e32 v9, v9, v0
	v_mul_f32_e32 v0, v45, v69
	v_add_f32_e32 v56, v56, v54
	v_mul_f32_e32 v54, v63, v71
	v_mul_f32_e32 v59, v62, v71
	v_add_f32_e32 v60, v2, v3
	v_fma_f32 v0, v44, v68, -v0
	v_mul_f32_e32 v44, v63, v67
	v_add_f32_e32 v64, v1, v48
	v_add_f32_e32 v65, v55, v52
	s_delay_alu instid0(VALU_DEP_4) | instskip(NEXT) | instid1(VALU_DEP_4)
	v_dual_fmac_f32 v58, v63, v66 :: v_dual_add_f32 v45, v49, v0
	v_fma_f32 v44, v62, v66, -v44
	ds_load_2addr_b64 v[0:3], v72 offset0:128 offset1:160
	ds_load_b128 v[48:51], v37 offset:160
	v_fma_f32 v61, v62, v70, -v54
	v_fmac_f32_e32 v59, v63, v70
	v_mul_f32_e32 v62, v47, v67
	v_add_f32_e32 v44, v53, v44
	ds_load_2addr_b64 v[52:55], v73 offset0:128 offset1:160
	v_dual_add_f32 v68, v57, v58 :: v_dual_mul_f32 v67, v46, v67
	v_add_f32_e32 v69, v56, v59
	ds_load_b128 v[56:59], v37 offset:4256
	v_add_f32_e32 v9, v9, v61
	v_fma_f32 v61, v46, v66, -v62
	v_fmac_f32_e32 v67, v47, v66
	v_mul_f32_e32 v66, v47, v71
	s_delay_alu instid0(VALU_DEP_3)
	v_dual_mul_f32 v71, v46, v71 :: v_dual_add_f32 v74, v60, v61
	ds_load_b128 v[60:63], v37 offset:176
	v_fma_f32 v46, v46, v70, -v66
	v_fmac_f32_e32 v71, v47, v70
	s_waitcnt lgkmcnt(3)
	v_mul_f32_e32 v75, v49, v1
	v_mul_f32_e32 v66, v48, v1
	v_dual_add_f32 v64, v64, v67 :: v_dual_add_f32 v67, v45, v46
	s_waitcnt lgkmcnt(2)
	v_dual_add_f32 v70, v65, v71 :: v_dual_mul_f32 v65, v48, v53
	v_fma_f32 v47, v48, v0, -v75
	v_mul_f32_e32 v45, v49, v53
	v_fmac_f32_e32 v66, v49, v0
	s_waitcnt lgkmcnt(1)
	v_mul_f32_e32 v75, v57, v1
	v_fmac_f32_e32 v65, v49, v52
	v_mul_f32_e32 v1, v56, v1
	v_mul_f32_e32 v49, v57, v53
	v_fma_f32 v48, v48, v52, -v45
	s_delay_alu instid0(VALU_DEP_3) | instskip(NEXT) | instid1(VALU_DEP_3)
	v_dual_add_f32 v76, v68, v66 :: v_dual_fmac_f32 v1, v57, v0
	v_fma_f32 v49, v56, v52, -v49
	s_delay_alu instid0(VALU_DEP_3)
	v_add_f32_e32 v9, v9, v48
	v_fma_f32 v48, v56, v0, -v75
	v_add_f32_e32 v75, v69, v65
	v_add_f32_e32 v1, v64, v1
	;; [unrolled: 1-line block ×3, first 2 shown]
	ds_load_2addr_b64 v[64:67], v72 offset0:192 offset1:224
	v_dual_mul_f32 v0, v56, v53 :: v_dual_mul_f32 v53, v51, v3
	v_mul_f32_e32 v56, v51, v55
	v_mul_f32_e32 v72, v59, v3
	v_add_f32_e32 v48, v74, v48
	s_delay_alu instid0(VALU_DEP_4)
	v_fmac_f32_e32 v0, v57, v52
	v_mul_f32_e32 v52, v50, v3
	v_mul_f32_e32 v3, v58, v3
	v_fma_f32 v53, v50, v2, -v53
	v_mul_f32_e32 v57, v50, v55
	v_fma_f32 v50, v50, v54, -v56
	v_fmac_f32_e32 v52, v51, v2
	v_dual_fmac_f32 v3, v59, v2 :: v_dual_add_f32 v0, v70, v0
	s_delay_alu instid0(VALU_DEP_4) | instskip(SKIP_2) | instid1(VALU_DEP_4)
	v_fmac_f32_e32 v57, v51, v54
	v_fma_f32 v51, v58, v2, -v72
	v_dual_add_f32 v9, v9, v50 :: v_dual_mul_f32 v50, v59, v55
	v_add_f32_e32 v1, v1, v3
	s_waitcnt lgkmcnt(0)
	v_mul_f32_e32 v3, v60, v65
	v_add_f32_e32 v52, v76, v52
	v_add_f32_e32 v2, v48, v51
	v_mul_f32_e32 v48, v58, v55
	v_fma_f32 v50, v58, v54, -v50
	v_dual_fmac_f32 v3, v61, v64 :: v_dual_mul_f32 v58, v62, v67
	v_add_f32_e32 v56, v75, v57
	v_mul_f32_e32 v51, v61, v65
	s_delay_alu instid0(VALU_DEP_4) | instskip(NEXT) | instid1(VALU_DEP_4)
	v_add_f32_e32 v49, v49, v50
	v_dual_add_f32 v57, v52, v3 :: v_dual_fmac_f32 v58, v63, v66
	v_add_f32_e32 v71, v44, v47
	ds_load_b128 v[44:47], v37 offset:4272
	v_fma_f32 v50, v60, v64, -v51
	v_fmac_f32_e32 v48, v59, v54
	v_dual_add_f32 v53, v71, v53 :: v_dual_add_nc_u32 v72, 0x1800, v39
	ds_load_2addr_b64 v[68:71], v73 offset0:192 offset1:224
	v_dual_add_f32 v0, v0, v48 :: v_dual_add_nc_u32 v73, 0x1800, v41
	v_add_f32_e32 v53, v53, v50
	s_waitcnt lgkmcnt(1)
	v_mul_f32_e32 v3, v45, v65
	s_waitcnt lgkmcnt(0)
	v_mul_f32_e32 v51, v61, v69
	v_mul_f32_e32 v52, v44, v69
	;; [unrolled: 1-line block ×4, first 2 shown]
	v_fma_f32 v3, v44, v64, -v3
	v_fma_f32 v50, v60, v68, -v51
	v_dual_mul_f32 v51, v44, v65 :: v_dual_fmac_f32 v52, v45, v68
	v_dual_fmac_f32 v48, v61, v68 :: v_dual_mul_f32 v59, v62, v71
	s_delay_alu instid0(VALU_DEP_3) | instskip(NEXT) | instid1(VALU_DEP_3)
	v_add_f32_e32 v9, v9, v50
	v_fmac_f32_e32 v51, v45, v64
	v_mul_f32_e32 v50, v45, v69
	v_add_f32_e32 v64, v0, v52
	v_fma_f32 v61, v62, v70, -v54
	s_delay_alu instid0(VALU_DEP_4) | instskip(SKIP_4) | instid1(VALU_DEP_4)
	v_dual_add_f32 v56, v56, v48 :: v_dual_add_f32 v45, v1, v51
	v_mul_f32_e32 v1, v63, v67
	v_fma_f32 v44, v44, v68, -v50
	v_dual_add_f32 v60, v2, v3 :: v_dual_fmac_f32 v59, v63, v70
	v_add_f32_e32 v9, v9, v61
	v_fma_f32 v52, v62, v66, -v1
	v_mul_f32_e32 v62, v47, v67
	v_add_f32_e32 v44, v49, v44
	ds_load_2addr_b64 v[0:3], v72 offset1:32
	ds_load_b128 v[48:51], v37 offset:192
	v_dual_add_f32 v68, v57, v58 :: v_dual_add_f32 v69, v56, v59
	v_fma_f32 v61, v46, v66, -v62
	ds_load_b128 v[56:59], v37 offset:4288
	v_dual_mul_f32 v67, v46, v67 :: v_dual_add_f32 v74, v60, v61
	ds_load_b128 v[60:63], v37 offset:208
	v_add_f32_e32 v65, v53, v52
	ds_load_2addr_b64 v[52:55], v73 offset1:32
	v_fmac_f32_e32 v67, v47, v66
	v_mul_f32_e32 v66, v47, v71
	v_mul_f32_e32 v71, v46, v71
	s_delay_alu instid0(VALU_DEP_2) | instskip(NEXT) | instid1(VALU_DEP_4)
	v_fma_f32 v46, v46, v70, -v66
	v_add_f32_e32 v66, v45, v67
	s_waitcnt lgkmcnt(3)
	v_mul_f32_e32 v75, v49, v1
	v_fmac_f32_e32 v71, v47, v70
	v_mul_f32_e32 v67, v48, v1
	v_add_f32_e32 v70, v44, v46
	s_delay_alu instid0(VALU_DEP_4) | instskip(NEXT) | instid1(VALU_DEP_4)
	v_fma_f32 v45, v48, v0, -v75
	v_add_f32_e32 v71, v64, v71
	s_delay_alu instid0(VALU_DEP_4) | instskip(NEXT) | instid1(VALU_DEP_3)
	v_fmac_f32_e32 v67, v49, v0
	v_add_f32_e32 v75, v65, v45
	s_waitcnt lgkmcnt(0)
	v_mul_f32_e32 v44, v49, v53
	v_mul_f32_e32 v64, v48, v53
	;; [unrolled: 1-line block ×4, first 2 shown]
	v_add_f32_e32 v76, v68, v67
	v_fma_f32 v48, v48, v52, -v44
	v_fmac_f32_e32 v64, v49, v52
	v_mul_f32_e32 v49, v57, v53
	v_fmac_f32_e32 v1, v57, v0
	ds_load_b128 v[44:47], v37 offset:4304
	v_add_f32_e32 v9, v9, v48
	v_fma_f32 v48, v56, v0, -v65
	v_dual_mul_f32 v0, v56, v53 :: v_dual_add_f32 v77, v69, v64
	v_fma_f32 v49, v56, v52, -v49
	v_add_f32_e32 v1, v66, v1
	ds_load_2addr_b64 v[64:67], v72 offset0:64 offset1:96
	v_dual_fmac_f32 v0, v57, v52 :: v_dual_mul_f32 v53, v51, v3
	v_dual_add_f32 v49, v70, v49 :: v_dual_mul_f32 v56, v51, v55
	v_add_f32_e32 v48, v74, v48
	s_delay_alu instid0(VALU_DEP_3)
	v_add_f32_e32 v0, v71, v0
	ds_load_2addr_b64 v[68:71], v73 offset0:64 offset1:96
	v_mul_f32_e32 v52, v50, v3
	v_fma_f32 v53, v50, v2, -v53
	v_mul_f32_e32 v57, v50, v55
	v_mul_f32_e32 v74, v59, v3
	v_fma_f32 v50, v50, v54, -v56
	v_dual_fmac_f32 v52, v51, v2 :: v_dual_mul_f32 v3, v58, v3
	s_delay_alu instid0(VALU_DEP_4) | instskip(NEXT) | instid1(VALU_DEP_4)
	v_fmac_f32_e32 v57, v51, v54
	v_fma_f32 v51, v58, v2, -v74
	s_delay_alu instid0(VALU_DEP_4) | instskip(NEXT) | instid1(VALU_DEP_4)
	v_dual_add_f32 v9, v9, v50 :: v_dual_mul_f32 v50, v59, v55
	v_dual_fmac_f32 v3, v59, v2 :: v_dual_add_f32 v52, v76, v52
	s_delay_alu instid0(VALU_DEP_3) | instskip(SKIP_1) | instid1(VALU_DEP_4)
	v_add_f32_e32 v2, v48, v51
	v_mul_f32_e32 v48, v58, v55
	v_fma_f32 v50, v58, v54, -v50
	s_waitcnt lgkmcnt(1)
	v_mul_f32_e32 v51, v61, v65
	v_add_f32_e32 v1, v1, v3
	v_dual_mul_f32 v3, v60, v65 :: v_dual_fmac_f32 v48, v59, v54
	v_add_f32_e32 v49, v49, v50
	s_delay_alu instid0(VALU_DEP_4) | instskip(SKIP_4) | instid1(VALU_DEP_3)
	v_fma_f32 v50, v60, v64, -v51
	s_waitcnt lgkmcnt(0)
	v_mul_f32_e32 v51, v61, v69
	v_dual_fmac_f32 v3, v61, v64 :: v_dual_mul_f32 v54, v60, v69
	v_dual_add_f32 v55, v0, v48 :: v_dual_add_f32 v56, v77, v57
	v_fma_f32 v0, v60, v68, -v51
	s_delay_alu instid0(VALU_DEP_3) | instskip(SKIP_1) | instid1(VALU_DEP_3)
	v_dual_add_f32 v57, v52, v3 :: v_dual_fmac_f32 v54, v61, v68
	v_mul_f32_e32 v3, v45, v65
	v_dual_mul_f32 v48, v44, v65 :: v_dual_add_f32 v9, v9, v0
	v_mul_f32_e32 v0, v45, v69
	s_delay_alu instid0(VALU_DEP_4) | instskip(NEXT) | instid1(VALU_DEP_4)
	v_add_f32_e32 v56, v56, v54
	v_fma_f32 v3, v44, v64, -v3
	v_mul_f32_e32 v52, v44, v69
	v_mul_f32_e32 v54, v63, v71
	v_fma_f32 v0, v44, v68, -v0
	v_mul_f32_e32 v44, v63, v67
	v_mul_f32_e32 v58, v62, v67
	;; [unrolled: 1-line block ×3, first 2 shown]
	v_fma_f32 v61, v62, v70, -v54
	v_fmac_f32_e32 v48, v45, v64
	v_fma_f32 v44, v62, v66, -v44
	v_mul_f32_e32 v62, v47, v67
	v_dual_mul_f32 v67, v46, v67 :: v_dual_fmac_f32 v58, v63, v66
	v_add_f32_e32 v9, v9, v61
	v_fmac_f32_e32 v52, v45, v68
	s_delay_alu instid0(VALU_DEP_4) | instskip(NEXT) | instid1(VALU_DEP_4)
	v_fma_f32 v61, v46, v66, -v62
	v_fmac_f32_e32 v67, v47, v66
	v_dual_mul_f32 v66, v47, v71 :: v_dual_add_f32 v45, v49, v0
	v_mul_f32_e32 v71, v46, v71
	v_add_f32_e32 v60, v2, v3
	v_add_f32_e32 v64, v1, v48
	s_delay_alu instid0(VALU_DEP_4)
	v_fma_f32 v46, v46, v70, -v66
	v_add_f32_e32 v65, v55, v52
	v_fmac_f32_e32 v59, v63, v70
	v_add_f32_e32 v68, v57, v58
	v_fmac_f32_e32 v71, v47, v70
	v_add_f32_e32 v45, v45, v46
	v_dual_add_f32 v53, v75, v53 :: v_dual_add_f32 v76, v64, v67
	v_add_f32_e32 v74, v60, v61
	s_delay_alu instid0(VALU_DEP_4) | instskip(NEXT) | instid1(VALU_DEP_3)
	v_add_f32_e32 v70, v65, v71
	v_add_f32_e32 v53, v53, v50
	ds_load_2addr_b64 v[0:3], v72 offset0:128 offset1:160
	ds_load_b128 v[48:51], v37 offset:224
	ds_load_b128 v[60:63], v37 offset:240
	v_add_f32_e32 v44, v53, v44
	ds_load_2addr_b64 v[52:55], v73 offset0:128 offset1:160
	s_waitcnt lgkmcnt(2)
	v_mul_f32_e32 v66, v48, v1
	v_mul_f32_e32 v75, v49, v1
	s_delay_alu instid0(VALU_DEP_2) | instskip(NEXT) | instid1(VALU_DEP_2)
	v_fmac_f32_e32 v66, v49, v0
	v_fma_f32 v47, v48, v0, -v75
	s_waitcnt lgkmcnt(0)
	s_delay_alu instid0(VALU_DEP_2)
	v_dual_mul_f32 v46, v49, v53 :: v_dual_add_f32 v75, v68, v66
	ds_load_b128 v[64:67], v37 offset:4336
	v_add_f32_e32 v69, v56, v59
	ds_load_b128 v[56:59], v37 offset:4320
	v_add_f32_e32 v71, v44, v47
	v_mul_f32_e32 v44, v48, v53
	v_fma_f32 v46, v48, v52, -v46
	s_delay_alu instid0(VALU_DEP_2) | instskip(NEXT) | instid1(VALU_DEP_2)
	v_fmac_f32_e32 v44, v49, v52
	v_add_f32_e32 v9, v9, v46
	s_delay_alu instid0(VALU_DEP_2) | instskip(SKIP_4) | instid1(VALU_DEP_3)
	v_add_f32_e32 v48, v69, v44
	s_waitcnt lgkmcnt(0)
	v_mul_f32_e32 v47, v57, v1
	v_mul_f32_e32 v1, v56, v1
	;; [unrolled: 1-line block ×3, first 2 shown]
	v_fma_f32 v47, v56, v0, -v47
	s_delay_alu instid0(VALU_DEP_3) | instskip(NEXT) | instid1(VALU_DEP_3)
	v_dual_fmac_f32 v1, v57, v0 :: v_dual_mul_f32 v0, v56, v53
	v_fma_f32 v44, v56, v52, -v46
	v_mul_f32_e32 v46, v51, v3
	s_delay_alu instid0(VALU_DEP_4) | instskip(NEXT) | instid1(VALU_DEP_4)
	v_add_f32_e32 v49, v74, v47
	v_dual_mul_f32 v53, v50, v3 :: v_dual_fmac_f32 v0, v57, v52
	s_delay_alu instid0(VALU_DEP_4) | instskip(NEXT) | instid1(VALU_DEP_4)
	v_add_f32_e32 v52, v45, v44
	v_fma_f32 v56, v50, v2, -v46
	ds_load_2addr_b64 v[44:47], v72 offset0:192 offset1:224
	v_dual_mul_f32 v57, v51, v55 :: v_dual_add_f32 v0, v70, v0
	v_mul_f32_e32 v72, v50, v55
	v_add_f32_e32 v56, v71, v56
	ds_load_2addr_b64 v[68:71], v73 offset0:192 offset1:224
	v_fma_f32 v50, v50, v54, -v57
	v_mul_f32_e32 v57, v59, v3
	v_mul_f32_e32 v3, v58, v3
	v_add_f32_e32 v1, v76, v1
	v_fmac_f32_e32 v53, v51, v2
	v_fmac_f32_e32 v72, v51, v54
	v_add_f32_e32 v9, v9, v50
	v_fma_f32 v50, v58, v2, -v57
	v_mul_f32_e32 v51, v59, v55
	v_fmac_f32_e32 v3, v59, v2
	v_mul_f32_e32 v55, v58, v55
	s_delay_alu instid0(VALU_DEP_4) | instskip(NEXT) | instid1(VALU_DEP_4)
	v_dual_add_f32 v53, v75, v53 :: v_dual_add_f32 v2, v49, v50
	v_fma_f32 v49, v58, v54, -v51
	s_delay_alu instid0(VALU_DEP_4)
	v_add_f32_e32 v1, v1, v3
	s_waitcnt lgkmcnt(1)
	v_mul_f32_e32 v3, v60, v45
	v_dual_fmac_f32 v55, v59, v54 :: v_dual_mul_f32 v54, v65, v45
	v_add_f32_e32 v49, v52, v49
	s_waitcnt lgkmcnt(0)
	v_mul_f32_e32 v51, v61, v69
	v_dual_fmac_f32 v3, v61, v44 :: v_dual_mul_f32 v52, v60, v69
	v_add_f32_e32 v48, v48, v72
	v_mul_f32_e32 v50, v61, v45
	s_delay_alu instid0(VALU_DEP_4) | instskip(NEXT) | instid1(VALU_DEP_4)
	v_fma_f32 v51, v60, v68, -v51
	v_add_f32_e32 v3, v53, v3
	v_dual_fmac_f32 v52, v61, v68 :: v_dual_mul_f32 v45, v64, v45
	v_fma_f32 v53, v64, v44, -v54
	v_fma_f32 v50, v60, v44, -v50
	v_add_f32_e32 v9, v9, v51
	s_delay_alu instid0(VALU_DEP_4) | instskip(NEXT) | instid1(VALU_DEP_4)
	v_dual_mul_f32 v51, v65, v69 :: v_dual_add_f32 v48, v48, v52
	v_dual_fmac_f32 v45, v65, v44 :: v_dual_add_f32 v2, v2, v53
	v_mul_f32_e32 v44, v64, v69
	v_mul_f32_e32 v52, v63, v47
	;; [unrolled: 1-line block ×3, first 2 shown]
	v_add_f32_e32 v0, v0, v55
	v_add_f32_e32 v50, v56, v50
	v_fma_f32 v51, v64, v68, -v51
	v_add_f32_e32 v1, v1, v45
	v_fmac_f32_e32 v44, v65, v68
	v_fma_f32 v45, v62, v46, -v52
	v_fmac_f32_e32 v53, v63, v46
	v_mul_f32_e32 v52, v63, v71
	v_add_f32_e32 v51, v49, v51
	v_mul_f32_e32 v54, v62, v71
	v_dual_add_f32 v0, v0, v44 :: v_dual_add_f32 v49, v50, v45
	v_add_f32_e32 v50, v3, v53
	v_fma_f32 v3, v62, v70, -v52
	v_mul_f32_e32 v44, v67, v47
	v_mul_f32_e32 v52, v66, v47
	;; [unrolled: 1-line block ×3, first 2 shown]
	v_dual_mul_f32 v53, v66, v71 :: v_dual_fmac_f32 v54, v63, v70
	v_add_f32_e32 v47, v9, v3
	v_fma_f32 v3, v66, v46, -v44
	v_fmac_f32_e32 v52, v67, v46
	v_fma_f32 v9, v66, v70, -v45
	v_fmac_f32_e32 v53, v67, v70
	s_delay_alu instid0(VALU_DEP_4) | instskip(NEXT) | instid1(VALU_DEP_4)
	v_dual_add_f32 v48, v48, v54 :: v_dual_add_f32 v45, v2, v3
	v_add_f32_e32 v46, v1, v52
	s_delay_alu instid0(VALU_DEP_4) | instskip(NEXT) | instid1(VALU_DEP_4)
	v_add_f32_e32 v44, v51, v9
	v_add_f32_e32 v9, v0, v53
	s_barrier
	buffer_gl0_inv
	s_cbranch_scc1 .LBB87_55
.LBB87_7:                               ;   Parent Loop BB87_4 Depth=1
                                        ; =>  This Inner Loop Header: Depth=2
	v_add_co_u32 v0, s5, v34, s22
	s_delay_alu instid0(VALU_DEP_1) | instskip(SKIP_1) | instid1(VALU_DEP_2)
	v_add_co_ci_u32_e64 v1, null, 0, s23, s5
	v_cmp_eq_u64_e64 s6, s[22:23], v[26:27]
	v_cmp_gt_i64_e64 s5, v[0:1], v[18:19]
	s_delay_alu instid0(VALU_DEP_2) | instskip(SKIP_1) | instid1(VALU_DEP_2)
	s_and_b32 s25, s42, s6
	v_cmp_le_i64_e64 s6, s[12:13], v[0:1]
	s_or_b32 s7, s3, s5
	s_delay_alu instid0(SALU_CYCLE_1) | instskip(SKIP_1) | instid1(VALU_DEP_1)
	s_or_b32 s8, s7, s25
	v_add_co_u32 v2, s7, v20, v36
	v_add_co_ci_u32_e64 v3, s7, 0, v21, s7
	s_delay_alu instid0(VALU_DEP_3) | instskip(NEXT) | instid1(SALU_CYCLE_1)
	s_or_b32 s7, s6, s8
	s_xor_b32 s7, s7, -1
	s_delay_alu instid0(SALU_CYCLE_1) | instskip(NEXT) | instid1(SALU_CYCLE_1)
	s_and_saveexec_b32 s8, s7
	s_xor_b32 s7, exec_lo, s8
	s_cbranch_execz .LBB87_9
; %bb.8:                                ;   in Loop: Header=BB87_7 Depth=2
	global_load_b64 v[51:52], v[2:3], off
	s_waitcnt vmcnt(0)
	ds_store_b64 v38, v[51:52]
.LBB87_9:                               ;   in Loop: Header=BB87_7 Depth=2
	s_or_saveexec_b32 s7, s7
	s_xor_b32 s24, s25, -1
	s_xor_b32 exec_lo, exec_lo, s7
	s_cbranch_execz .LBB87_15
; %bb.10:                               ;   in Loop: Header=BB87_7 Depth=2
	s_and_saveexec_b32 s8, s24
	s_delay_alu instid0(SALU_CYCLE_1)
	s_xor_b32 s8, exec_lo, s8
	s_cbranch_execz .LBB87_12
; %bb.11:                               ;   in Loop: Header=BB87_7 Depth=2
	v_mov_b32_e32 v51, v5
	v_mov_b32_e32 v52, v5
	ds_store_b64 v38, v[51:52]
.LBB87_12:                              ;   in Loop: Header=BB87_7 Depth=2
	s_and_not1_saveexec_b32 s8, s8
	s_cbranch_execz .LBB87_14
; %bb.13:                               ;   in Loop: Header=BB87_7 Depth=2
	ds_store_b64 v38, v[4:5]
.LBB87_14:                              ;   in Loop: Header=BB87_7 Depth=2
	s_or_b32 exec_lo, exec_lo, s8
.LBB87_15:                              ;   in Loop: Header=BB87_7 Depth=2
	s_delay_alu instid0(SALU_CYCLE_1) | instskip(SKIP_1) | instid1(VALU_DEP_1)
	s_or_b32 exec_lo, exec_lo, s7
	v_add_co_u32 v51, s7, v0, 16
	v_add_co_ci_u32_e64 v52, s7, 0, v1, s7
	v_cmp_eq_u64_e64 s8, s[22:23], v[30:31]
	s_delay_alu instid0(VALU_DEP_2) | instskip(SKIP_1) | instid1(VALU_DEP_3)
	v_cmp_gt_i64_e64 s9, v[51:52], v[18:19]
	v_cmp_le_i64_e64 s7, s[12:13], v[51:52]
	s_and_b32 s26, s42, s8
	s_delay_alu instid0(VALU_DEP_2) | instskip(NEXT) | instid1(SALU_CYCLE_1)
	s_or_b32 s8, s3, s9
	s_or_b32 s8, s8, s26
	s_delay_alu instid0(VALU_DEP_1) | instid1(SALU_CYCLE_1)
	s_or_b32 s8, s7, s8
	s_delay_alu instid0(SALU_CYCLE_1) | instskip(NEXT) | instid1(SALU_CYCLE_1)
	s_xor_b32 s8, s8, -1
	s_and_saveexec_b32 s9, s8
	s_delay_alu instid0(SALU_CYCLE_1)
	s_xor_b32 s8, exec_lo, s9
	s_cbranch_execz .LBB87_17
; %bb.16:                               ;   in Loop: Header=BB87_7 Depth=2
	global_load_b64 v[2:3], v[2:3], off offset:128
	s_waitcnt vmcnt(0)
	ds_store_b64 v38, v[2:3] offset:128
.LBB87_17:                              ;   in Loop: Header=BB87_7 Depth=2
	s_and_not1_saveexec_b32 s8, s8
	s_cbranch_execz .LBB87_23
; %bb.18:                               ;   in Loop: Header=BB87_7 Depth=2
	s_xor_b32 s9, s26, -1
	s_delay_alu instid0(SALU_CYCLE_1) | instskip(NEXT) | instid1(SALU_CYCLE_1)
	s_and_saveexec_b32 s26, s9
	s_xor_b32 s9, exec_lo, s26
	s_cbranch_execz .LBB87_20
; %bb.19:                               ;   in Loop: Header=BB87_7 Depth=2
	v_mov_b32_e32 v2, v5
	v_mov_b32_e32 v3, v5
	ds_store_b64 v38, v[2:3] offset:128
.LBB87_20:                              ;   in Loop: Header=BB87_7 Depth=2
	s_and_not1_saveexec_b32 s9, s9
	s_cbranch_execz .LBB87_22
; %bb.21:                               ;   in Loop: Header=BB87_7 Depth=2
	ds_store_b64 v38, v[4:5] offset:128
.LBB87_22:                              ;   in Loop: Header=BB87_7 Depth=2
	s_or_b32 exec_lo, exec_lo, s9
.LBB87_23:                              ;   in Loop: Header=BB87_7 Depth=2
	s_delay_alu instid0(SALU_CYCLE_1) | instskip(SKIP_2) | instid1(VALU_DEP_2)
	s_or_b32 exec_lo, exec_lo, s8
	v_cmp_eq_u64_e64 s8, s[22:23], v[28:29]
	v_cmp_gt_i64_e64 s9, v[0:1], v[24:25]
	s_and_b32 s8, s42, s8
	s_delay_alu instid0(VALU_DEP_1) | instskip(NEXT) | instid1(SALU_CYCLE_1)
	s_or_b32 s9, s4, s9
	s_or_b32 s9, s9, s8
	s_delay_alu instid0(SALU_CYCLE_1) | instskip(NEXT) | instid1(SALU_CYCLE_1)
	s_or_b32 s6, s6, s9
	s_xor_b32 s6, s6, -1
	s_delay_alu instid0(SALU_CYCLE_1) | instskip(NEXT) | instid1(SALU_CYCLE_1)
	s_and_saveexec_b32 s9, s6
	s_xor_b32 s9, exec_lo, s9
	s_cbranch_execz .LBB87_25
; %bb.24:                               ;   in Loop: Header=BB87_7 Depth=2
	v_add_co_u32 v0, s6, v22, v36
	s_delay_alu instid0(VALU_DEP_1)
	v_add_co_ci_u32_e64 v1, s6, 0, v23, s6
	global_load_b64 v[0:1], v[0:1], off
	s_waitcnt vmcnt(0)
	ds_store_b64 v38, v[0:1] offset:4096
.LBB87_25:                              ;   in Loop: Header=BB87_7 Depth=2
	s_and_not1_saveexec_b32 s6, s9
	s_cbranch_execz .LBB87_31
; %bb.26:                               ;   in Loop: Header=BB87_7 Depth=2
	s_xor_b32 s8, s8, -1
	s_delay_alu instid0(SALU_CYCLE_1) | instskip(NEXT) | instid1(SALU_CYCLE_1)
	s_and_saveexec_b32 s9, s8
	s_xor_b32 s8, exec_lo, s9
	s_cbranch_execz .LBB87_28
; %bb.27:                               ;   in Loop: Header=BB87_7 Depth=2
	v_mov_b32_e32 v0, v5
	v_mov_b32_e32 v1, v5
	ds_store_b64 v38, v[0:1] offset:4096
.LBB87_28:                              ;   in Loop: Header=BB87_7 Depth=2
	s_and_not1_saveexec_b32 s8, s8
	s_cbranch_execz .LBB87_30
; %bb.29:                               ;   in Loop: Header=BB87_7 Depth=2
	ds_store_b64 v38, v[4:5] offset:4096
.LBB87_30:                              ;   in Loop: Header=BB87_7 Depth=2
	s_or_b32 exec_lo, exec_lo, s8
.LBB87_31:                              ;   in Loop: Header=BB87_7 Depth=2
	s_delay_alu instid0(SALU_CYCLE_1) | instskip(SKIP_1) | instid1(SALU_CYCLE_1)
	s_or_b32 exec_lo, exec_lo, s6
	s_or_b32 s5, s4, s5
	s_or_b32 s5, s5, s25
	s_delay_alu instid0(SALU_CYCLE_1) | instskip(NEXT) | instid1(SALU_CYCLE_1)
	s_or_b32 s5, s7, s5
	s_xor_b32 s5, s5, -1
	s_delay_alu instid0(SALU_CYCLE_1) | instskip(NEXT) | instid1(SALU_CYCLE_1)
	s_and_saveexec_b32 s6, s5
	s_xor_b32 s6, exec_lo, s6
	s_cbranch_execz .LBB87_33
; %bb.32:                               ;   in Loop: Header=BB87_7 Depth=2
	v_add_co_u32 v0, s5, v22, v36
	s_delay_alu instid0(VALU_DEP_1)
	v_add_co_ci_u32_e64 v1, s5, 0, v23, s5
	global_load_b64 v[0:1], v[0:1], off offset:128
	s_waitcnt vmcnt(0)
	ds_store_b64 v38, v[0:1] offset:4224
.LBB87_33:                              ;   in Loop: Header=BB87_7 Depth=2
	s_and_not1_saveexec_b32 s5, s6
	s_cbranch_execz .LBB87_39
; %bb.34:                               ;   in Loop: Header=BB87_7 Depth=2
	s_and_saveexec_b32 s6, s24
	s_delay_alu instid0(SALU_CYCLE_1)
	s_xor_b32 s6, exec_lo, s6
	s_cbranch_execz .LBB87_36
; %bb.35:                               ;   in Loop: Header=BB87_7 Depth=2
	v_mov_b32_e32 v0, v5
	v_mov_b32_e32 v1, v5
	ds_store_b64 v38, v[0:1] offset:4224
.LBB87_36:                              ;   in Loop: Header=BB87_7 Depth=2
	s_and_not1_saveexec_b32 s6, s6
	s_cbranch_execz .LBB87_38
; %bb.37:                               ;   in Loop: Header=BB87_7 Depth=2
	ds_store_b64 v38, v[4:5] offset:4224
.LBB87_38:                              ;   in Loop: Header=BB87_7 Depth=2
	s_or_b32 exec_lo, exec_lo, s6
.LBB87_39:                              ;   in Loop: Header=BB87_7 Depth=2
	s_delay_alu instid0(SALU_CYCLE_1) | instskip(SKIP_1) | instid1(VALU_DEP_1)
	s_or_b32 exec_lo, exec_lo, s5
	v_add_co_u32 v0, s5, v35, s22
	v_add_co_ci_u32_e64 v1, null, 0, s23, s5
	v_add_co_u32 v2, s6, v32, v10
	s_delay_alu instid0(VALU_DEP_1) | instskip(NEXT) | instid1(VALU_DEP_3)
	v_add_co_ci_u32_e64 v3, s6, v33, v11, s6
	v_cmp_le_i64_e64 s5, s[12:13], v[0:1]
	s_delay_alu instid0(VALU_DEP_1) | instskip(NEXT) | instid1(SALU_CYCLE_1)
	s_or_b32 s6, s5, s0
	s_xor_b32 s6, s6, -1
	s_delay_alu instid0(SALU_CYCLE_1) | instskip(NEXT) | instid1(SALU_CYCLE_1)
	s_and_saveexec_b32 s7, s6
	s_xor_b32 s6, exec_lo, s7
	s_cbranch_execz .LBB87_41
; %bb.40:                               ;   in Loop: Header=BB87_7 Depth=2
	global_load_b64 v[51:52], v[2:3], off offset:-128
	s_waitcnt vmcnt(0)
	ds_store_b64 v40, v[51:52]
.LBB87_41:                              ;   in Loop: Header=BB87_7 Depth=2
	s_and_not1_saveexec_b32 s6, s6
	s_cbranch_execz .LBB87_43
; %bb.42:                               ;   in Loop: Header=BB87_7 Depth=2
	v_mov_b32_e32 v51, v5
	v_mov_b32_e32 v52, v5
	ds_store_b64 v40, v[51:52]
.LBB87_43:                              ;   in Loop: Header=BB87_7 Depth=2
	s_or_b32 exec_lo, exec_lo, s6
	s_or_b32 s5, s5, s1
	s_delay_alu instid0(SALU_CYCLE_1) | instskip(NEXT) | instid1(SALU_CYCLE_1)
	s_xor_b32 s5, s5, -1
	s_and_saveexec_b32 s6, s5
	s_delay_alu instid0(SALU_CYCLE_1)
	s_xor_b32 s5, exec_lo, s6
	s_cbranch_execz .LBB87_45
; %bb.44:                               ;   in Loop: Header=BB87_7 Depth=2
	global_load_b64 v[2:3], v[2:3], off
	s_waitcnt vmcnt(0)
	ds_store_b64 v40, v[2:3] offset:128
.LBB87_45:                              ;   in Loop: Header=BB87_7 Depth=2
	s_and_not1_saveexec_b32 s5, s5
	s_cbranch_execz .LBB87_47
; %bb.46:                               ;   in Loop: Header=BB87_7 Depth=2
	v_mov_b32_e32 v2, v5
	v_mov_b32_e32 v3, v5
	ds_store_b64 v40, v[2:3] offset:128
.LBB87_47:                              ;   in Loop: Header=BB87_7 Depth=2
	s_or_b32 exec_lo, exec_lo, s5
	v_cmp_le_i64_e64 s5, s[36:37], v[0:1]
	s_delay_alu instid0(VALU_DEP_1) | instskip(NEXT) | instid1(SALU_CYCLE_1)
	s_or_b32 s6, s5, s0
	s_xor_b32 s6, s6, -1
	s_delay_alu instid0(SALU_CYCLE_1) | instskip(NEXT) | instid1(SALU_CYCLE_1)
	s_and_saveexec_b32 s7, s6
	s_xor_b32 s7, exec_lo, s7
	s_cbranch_execz .LBB87_49
; %bb.48:                               ;   in Loop: Header=BB87_7 Depth=2
	v_add_co_u32 v0, s6, v32, v12
	s_delay_alu instid0(VALU_DEP_1)
	v_add_co_ci_u32_e64 v1, s6, v33, v13, s6
	global_load_b64 v[0:1], v[0:1], off offset:-128
	s_waitcnt vmcnt(0)
	ds_store_b64 v40, v[0:1] offset:4096
.LBB87_49:                              ;   in Loop: Header=BB87_7 Depth=2
	s_and_not1_saveexec_b32 s6, s7
	s_cbranch_execz .LBB87_51
; %bb.50:                               ;   in Loop: Header=BB87_7 Depth=2
	v_mov_b32_e32 v0, v5
	v_mov_b32_e32 v1, v5
	ds_store_b64 v40, v[0:1] offset:4096
.LBB87_51:                              ;   in Loop: Header=BB87_7 Depth=2
	s_or_b32 exec_lo, exec_lo, s6
	s_or_b32 s5, s5, s1
	s_delay_alu instid0(SALU_CYCLE_1) | instskip(NEXT) | instid1(SALU_CYCLE_1)
	s_xor_b32 s5, s5, -1
	s_and_saveexec_b32 s6, s5
	s_delay_alu instid0(SALU_CYCLE_1)
	s_xor_b32 s6, exec_lo, s6
	s_cbranch_execz .LBB87_53
; %bb.52:                               ;   in Loop: Header=BB87_7 Depth=2
	v_add_co_u32 v0, s5, v32, v12
	s_delay_alu instid0(VALU_DEP_1)
	v_add_co_ci_u32_e64 v1, s5, v33, v13, s5
	global_load_b64 v[0:1], v[0:1], off
	s_waitcnt vmcnt(0)
	ds_store_b64 v40, v[0:1] offset:4224
.LBB87_53:                              ;   in Loop: Header=BB87_7 Depth=2
	s_and_not1_saveexec_b32 s5, s6
	s_cbranch_execz .LBB87_6
; %bb.54:                               ;   in Loop: Header=BB87_7 Depth=2
	v_mov_b32_e32 v0, v5
	v_mov_b32_e32 v1, v5
	ds_store_b64 v40, v[0:1] offset:4224
	s_branch .LBB87_6
.LBB87_55:                              ;   in Loop: Header=BB87_4 Depth=1
	v_mul_lo_u32 v2, v19, s40
	v_mul_lo_u32 v3, v18, s41
	v_mad_u64_u32 v[0:1], null, v18, s40, 0
	v_cmp_gt_i32_e64 s3, s10, v18
	s_delay_alu instid0(VALU_DEP_2) | instskip(NEXT) | instid1(VALU_DEP_1)
	v_add3_u32 v1, v1, v3, v2
	v_lshlrev_b64 v[0:1], 3, v[0:1]
	s_delay_alu instid0(VALU_DEP_1) | instskip(NEXT) | instid1(VALU_DEP_1)
	v_add_co_u32 v0, s4, s38, v0
	v_add_co_ci_u32_e64 v1, s4, s39, v1, s4
	s_and_b32 s4, vcc_lo, s3
	s_delay_alu instid0(SALU_CYCLE_1)
	s_and_saveexec_b32 s5, s4
	s_cbranch_execz .LBB87_57
; %bb.56:                               ;   in Loop: Header=BB87_4 Depth=1
	v_add_co_u32 v2, s4, v0, v14
	s_delay_alu instid0(VALU_DEP_1) | instskip(SKIP_2) | instid1(VALU_DEP_1)
	v_add_co_ci_u32_e64 v3, s4, v1, v15, s4
	global_load_b64 v[19:20], v[2:3], off
	v_mul_f32_e32 v22, s11, v50
	v_dual_mul_f32 v21, s33, v50 :: v_dual_fmac_f32 v22, s33, v49
	s_delay_alu instid0(VALU_DEP_1) | instskip(SKIP_1) | instid1(VALU_DEP_1)
	v_fma_f32 v21, v49, s11, -v21
	s_waitcnt vmcnt(0)
	v_dual_add_f32 v19, v19, v21 :: v_dual_add_f32 v20, v20, v22
	global_store_b64 v[2:3], v[19:20], off
.LBB87_57:                              ;   in Loop: Header=BB87_4 Depth=1
	s_or_b32 exec_lo, exec_lo, s5
	s_and_b32 s3, s2, s3
	s_delay_alu instid0(SALU_CYCLE_1)
	s_and_saveexec_b32 s4, s3
	s_cbranch_execz .LBB87_59
; %bb.58:                               ;   in Loop: Header=BB87_4 Depth=1
	v_lshlrev_b64 v[2:3], 3, v[6:7]
	v_mul_f32_e32 v20, s11, v48
	s_delay_alu instid0(VALU_DEP_1) | instskip(NEXT) | instid1(VALU_DEP_3)
	v_dual_mul_f32 v19, s33, v48 :: v_dual_fmac_f32 v20, s33, v47
	v_add_co_u32 v0, s3, v0, v2
	s_delay_alu instid0(VALU_DEP_1) | instskip(NEXT) | instid1(VALU_DEP_3)
	v_add_co_ci_u32_e64 v1, s3, v1, v3, s3
	v_fma_f32 v19, v47, s11, -v19
	global_load_b64 v[2:3], v[0:1], off
	s_waitcnt vmcnt(0)
	v_dual_add_f32 v2, v2, v19 :: v_dual_add_f32 v3, v3, v20
	global_store_b64 v[0:1], v[2:3], off
.LBB87_59:                              ;   in Loop: Header=BB87_4 Depth=1
	s_or_b32 exec_lo, exec_lo, s4
	v_add_nc_u32_e32 v2, 16, v18
	s_delay_alu instid0(VALU_DEP_1) | instskip(SKIP_3) | instid1(VALU_DEP_4)
	v_ashrrev_i32_e32 v3, 31, v2
	v_mul_lo_u32 v18, v2, s41
	v_mad_u64_u32 v[0:1], null, v2, s40, 0
	v_cmp_gt_i32_e64 s3, s10, v2
	v_mul_lo_u32 v3, v3, s40
	s_delay_alu instid0(VALU_DEP_1) | instskip(NEXT) | instid1(VALU_DEP_1)
	v_add3_u32 v1, v1, v18, v3
	v_lshlrev_b64 v[0:1], 3, v[0:1]
	s_delay_alu instid0(VALU_DEP_1) | instskip(NEXT) | instid1(VALU_DEP_1)
	v_add_co_u32 v0, s4, s38, v0
	v_add_co_ci_u32_e64 v1, s4, s39, v1, s4
	s_and_b32 s4, vcc_lo, s3
	s_delay_alu instid0(SALU_CYCLE_1)
	s_and_saveexec_b32 s5, s4
	s_cbranch_execz .LBB87_61
; %bb.60:                               ;   in Loop: Header=BB87_4 Depth=1
	v_add_co_u32 v2, s4, v0, v14
	s_delay_alu instid0(VALU_DEP_1) | instskip(SKIP_2) | instid1(VALU_DEP_1)
	v_add_co_ci_u32_e64 v3, s4, v1, v15, s4
	global_load_b64 v[18:19], v[2:3], off
	v_mul_f32_e32 v21, s11, v46
	v_dual_mul_f32 v20, s33, v46 :: v_dual_fmac_f32 v21, s33, v45
	s_delay_alu instid0(VALU_DEP_1) | instskip(SKIP_1) | instid1(VALU_DEP_1)
	v_fma_f32 v20, v45, s11, -v20
	s_waitcnt vmcnt(0)
	v_dual_add_f32 v18, v18, v20 :: v_dual_add_f32 v19, v19, v21
	global_store_b64 v[2:3], v[18:19], off
.LBB87_61:                              ;   in Loop: Header=BB87_4 Depth=1
	s_or_b32 exec_lo, exec_lo, s5
	s_and_b32 s3, s2, s3
	s_delay_alu instid0(SALU_CYCLE_1)
	s_and_saveexec_b32 s4, s3
	s_cbranch_execz .LBB87_3
; %bb.62:                               ;   in Loop: Header=BB87_4 Depth=1
	v_lshlrev_b64 v[2:3], 3, v[6:7]
	v_mul_f32_e32 v18, s33, v9
	s_delay_alu instid0(VALU_DEP_2) | instskip(NEXT) | instid1(VALU_DEP_1)
	v_add_co_u32 v0, s3, v0, v2
	v_add_co_ci_u32_e64 v1, s3, v1, v3, s3
	global_load_b64 v[2:3], v[0:1], off
	v_mul_f32_e32 v9, s11, v9
	s_delay_alu instid0(VALU_DEP_1) | instskip(SKIP_2) | instid1(VALU_DEP_1)
	v_fmac_f32_e32 v9, s33, v44
	v_fma_f32 v18, v44, s11, -v18
	s_waitcnt vmcnt(0)
	v_dual_add_f32 v2, v2, v18 :: v_dual_add_f32 v3, v3, v9
	global_store_b64 v[0:1], v[2:3], off
	s_branch .LBB87_3
.LBB87_63:
	s_nop 0
	s_sendmsg sendmsg(MSG_DEALLOC_VGPRS)
	s_endpgm
	.section	.rodata,"a",@progbits
	.p2align	6, 0x0
	.amdhsa_kernel _ZL30rocblas_trmm_outofplace_kernelI19rocblas_complex_numIfELi32ELi2ELb0ELb1ELb0ELb0ES1_KS1_S1_Ev17rocblas_diagonal_iiT6_lPT7_lllS6_lllPT8_llli
		.amdhsa_group_segment_fixed_size 16384
		.amdhsa_private_segment_fixed_size 0
		.amdhsa_kernarg_size 392
		.amdhsa_user_sgpr_count 13
		.amdhsa_user_sgpr_dispatch_ptr 0
		.amdhsa_user_sgpr_queue_ptr 0
		.amdhsa_user_sgpr_kernarg_segment_ptr 1
		.amdhsa_user_sgpr_dispatch_id 0
		.amdhsa_user_sgpr_private_segment_size 0
		.amdhsa_wavefront_size32 1
		.amdhsa_uses_dynamic_stack 0
		.amdhsa_enable_private_segment 0
		.amdhsa_system_sgpr_workgroup_id_x 1
		.amdhsa_system_sgpr_workgroup_id_y 1
		.amdhsa_system_sgpr_workgroup_id_z 1
		.amdhsa_system_sgpr_workgroup_info 0
		.amdhsa_system_vgpr_workitem_id 1
		.amdhsa_next_free_vgpr 85
		.amdhsa_next_free_sgpr 46
		.amdhsa_reserve_vcc 1
		.amdhsa_float_round_mode_32 0
		.amdhsa_float_round_mode_16_64 0
		.amdhsa_float_denorm_mode_32 3
		.amdhsa_float_denorm_mode_16_64 3
		.amdhsa_dx10_clamp 1
		.amdhsa_ieee_mode 1
		.amdhsa_fp16_overflow 0
		.amdhsa_workgroup_processor_mode 1
		.amdhsa_memory_ordered 1
		.amdhsa_forward_progress 0
		.amdhsa_shared_vgpr_count 0
		.amdhsa_exception_fp_ieee_invalid_op 0
		.amdhsa_exception_fp_denorm_src 0
		.amdhsa_exception_fp_ieee_div_zero 0
		.amdhsa_exception_fp_ieee_overflow 0
		.amdhsa_exception_fp_ieee_underflow 0
		.amdhsa_exception_fp_ieee_inexact 0
		.amdhsa_exception_int_div_zero 0
	.end_amdhsa_kernel
	.section	.text._ZL30rocblas_trmm_outofplace_kernelI19rocblas_complex_numIfELi32ELi2ELb0ELb1ELb0ELb0ES1_KS1_S1_Ev17rocblas_diagonal_iiT6_lPT7_lllS6_lllPT8_llli,"axG",@progbits,_ZL30rocblas_trmm_outofplace_kernelI19rocblas_complex_numIfELi32ELi2ELb0ELb1ELb0ELb0ES1_KS1_S1_Ev17rocblas_diagonal_iiT6_lPT7_lllS6_lllPT8_llli,comdat
.Lfunc_end87:
	.size	_ZL30rocblas_trmm_outofplace_kernelI19rocblas_complex_numIfELi32ELi2ELb0ELb1ELb0ELb0ES1_KS1_S1_Ev17rocblas_diagonal_iiT6_lPT7_lllS6_lllPT8_llli, .Lfunc_end87-_ZL30rocblas_trmm_outofplace_kernelI19rocblas_complex_numIfELi32ELi2ELb0ELb1ELb0ELb0ES1_KS1_S1_Ev17rocblas_diagonal_iiT6_lPT7_lllS6_lllPT8_llli
                                        ; -- End function
	.section	.AMDGPU.csdata,"",@progbits
; Kernel info:
; codeLenInByte = 7316
; NumSgprs: 48
; NumVgprs: 85
; ScratchSize: 0
; MemoryBound: 1
; FloatMode: 240
; IeeeMode: 1
; LDSByteSize: 16384 bytes/workgroup (compile time only)
; SGPRBlocks: 5
; VGPRBlocks: 10
; NumSGPRsForWavesPerEU: 48
; NumVGPRsForWavesPerEU: 85
; Occupancy: 16
; WaveLimiterHint : 0
; COMPUTE_PGM_RSRC2:SCRATCH_EN: 0
; COMPUTE_PGM_RSRC2:USER_SGPR: 13
; COMPUTE_PGM_RSRC2:TRAP_HANDLER: 0
; COMPUTE_PGM_RSRC2:TGID_X_EN: 1
; COMPUTE_PGM_RSRC2:TGID_Y_EN: 1
; COMPUTE_PGM_RSRC2:TGID_Z_EN: 1
; COMPUTE_PGM_RSRC2:TIDIG_COMP_CNT: 1
	.section	.text._ZL30rocblas_trmm_outofplace_kernelI19rocblas_complex_numIfELi32ELi2ELb0ELb0ELb1ELb0EPKS1_S2_S1_Ev17rocblas_diagonal_iiT6_lPT7_lllS7_lllPT8_llli,"axG",@progbits,_ZL30rocblas_trmm_outofplace_kernelI19rocblas_complex_numIfELi32ELi2ELb0ELb0ELb1ELb0EPKS1_S2_S1_Ev17rocblas_diagonal_iiT6_lPT7_lllS7_lllPT8_llli,comdat
	.globl	_ZL30rocblas_trmm_outofplace_kernelI19rocblas_complex_numIfELi32ELi2ELb0ELb0ELb1ELb0EPKS1_S2_S1_Ev17rocblas_diagonal_iiT6_lPT7_lllS7_lllPT8_llli ; -- Begin function _ZL30rocblas_trmm_outofplace_kernelI19rocblas_complex_numIfELi32ELi2ELb0ELb0ELb1ELb0EPKS1_S2_S1_Ev17rocblas_diagonal_iiT6_lPT7_lllS7_lllPT8_llli
	.p2align	8
	.type	_ZL30rocblas_trmm_outofplace_kernelI19rocblas_complex_numIfELi32ELi2ELb0ELb0ELb1ELb0EPKS1_S2_S1_Ev17rocblas_diagonal_iiT6_lPT7_lllS7_lllPT8_llli,@function
_ZL30rocblas_trmm_outofplace_kernelI19rocblas_complex_numIfELi32ELi2ELb0ELb0ELb1ELb0EPKS1_S2_S1_Ev17rocblas_diagonal_iiT6_lPT7_lllS7_lllPT8_llli: ; @_ZL30rocblas_trmm_outofplace_kernelI19rocblas_complex_numIfELi32ELi2ELb0ELb0ELb1ELb0EPKS1_S2_S1_Ev17rocblas_diagonal_iiT6_lPT7_lllS7_lllPT8_llli
; %bb.0:
	s_load_b512 s[16:31], s[0:1], 0x10
	s_waitcnt lgkmcnt(0)
	s_mul_i32 s2, s15, s19
	s_mul_hi_u32 s3, s15, s18
	s_delay_alu instid0(SALU_CYCLE_1) | instskip(SKIP_1) | instid1(SALU_CYCLE_1)
	s_add_i32 s3, s3, s2
	s_mul_i32 s2, s15, s18
	s_lshl_b64 s[2:3], s[2:3], 3
	s_delay_alu instid0(SALU_CYCLE_1) | instskip(SKIP_4) | instid1(SALU_CYCLE_1)
	s_add_u32 s2, s16, s2
	s_addc_u32 s3, s17, s3
	s_load_b64 s[34:35], s[2:3], 0x0
	s_waitcnt lgkmcnt(0)
	s_or_b32 s2, s34, s35
	s_bitset0_b32 s2, 31
	s_delay_alu instid0(SALU_CYCLE_1)
	s_cmp_eq_u32 s2, 0
	s_cbranch_scc1 .LBB88_63
; %bb.1:
	s_load_b128 s[16:19], s[0:1], 0x0
	s_waitcnt lgkmcnt(0)
	s_add_i32 s2, s18, -1
	s_delay_alu instid0(SALU_CYCLE_1) | instskip(NEXT) | instid1(SALU_CYCLE_1)
	s_ashr_i32 s3, s2, 31
	s_lshr_b32 s3, s3, 27
	s_delay_alu instid0(SALU_CYCLE_1) | instskip(NEXT) | instid1(SALU_CYCLE_1)
	s_add_i32 s2, s2, s3
	s_ashr_i32 s33, s2, 5
	s_delay_alu instid0(SALU_CYCLE_1)
	s_cmp_gt_i32 s14, s33
	s_cbranch_scc1 .LBB88_63
; %bb.2:
	s_mul_i32 s3, s15, s27
	s_mul_hi_u32 s4, s15, s26
	v_dual_mov_b32 v5, 0 :: v_dual_and_b32 v40, 0x3ff, v0
	s_add_i32 s3, s4, s3
	s_clause 0x2
	s_load_b256 s[4:11], s[0:1], 0x50
	s_load_b128 s[36:39], s[0:1], 0x70
	s_load_b32 s42, s[0:1], 0x8c
	v_bfe_u32 v41, v0, 10, 10
	v_mad_u64_u32 v[1:2], null, v40, s24, 0
	v_lshlrev_b32_e32 v4, 3, v40
	s_mul_i32 s2, s15, s26
	s_delay_alu instid0(VALU_DEP_3)
	v_lshl_add_u32 v19, v41, 3, 0x80
	s_lshl_b64 s[26:27], s[2:3], 3
	v_lshl_add_u32 v14, s14, 5, v41
	v_or_b32_e32 v43, 0x2000, v4
	s_add_u32 s2, s20, s26
	s_addc_u32 s3, s21, s27
	s_lshl_b64 s[40:41], s[22:23], 3
	s_delay_alu instid0(SALU_CYCLE_1)
	s_add_u32 s2, s2, s40
	s_addc_u32 s3, s3, s41
	s_waitcnt lgkmcnt(0)
	v_mad_u64_u32 v[12:13], null, s4, v19, 0
	v_lshlrev_b32_e32 v42, 8, v41
	v_mov_b32_e32 v0, v2
	s_mul_i32 s1, s15, s39
	s_mul_hi_u32 s12, s15, s38
	s_mul_i32 s0, s15, s38
	v_add_nc_u32_e32 v45, v43, v42
	v_mad_u64_u32 v[2:3], null, v40, s25, v[0:1]
	s_add_i32 s1, s12, s1
	v_lshl_add_u32 v0, s13, 5, v40
	s_lshl_b64 s[0:1], s[0:1], 3
	s_delay_alu instid0(SALU_CYCLE_1) | instskip(SKIP_1) | instid1(VALU_DEP_2)
	s_add_u32 s8, s8, s0
	s_addc_u32 s9, s9, s1
	v_lshlrev_b64 v[2:3], 3, v[1:2]
	s_lshl_b64 s[0:1], s[10:11], 3
	v_ashrrev_i32_e32 v1, 31, v0
	s_add_u32 s38, s8, s0
	s_addc_u32 s39, s9, s1
	s_cmpk_eq_i32 s16, 0x84
	v_add_co_u32 v6, vcc_lo, s2, v2
	v_add_co_ci_u32_e32 v7, vcc_lo, s3, v3, vcc_lo
	s_cselect_b32 s43, -1, 0
	s_ashr_i32 s0, s17, 31
	v_sub_co_u32 v2, vcc_lo, s17, v0
	v_sub_co_ci_u32_e32 v3, vcc_lo, s0, v1, vcc_lo
	s_ashr_i32 s19, s18, 31
	s_lshl_b64 s[10:11], s[24:25], 8
	s_lshl_b64 s[12:13], s[4:5], 8
	s_delay_alu instid0(VALU_DEP_1)
	v_cmp_gt_i64_e32 vcc_lo, 1, v[2:3]
	v_cmp_gt_i64_e64 s0, 17, v[2:3]
	v_mad_u64_u32 v[2:3], null, s4, v41, 0
	s_mul_i32 s3, s7, s15
	s_mul_hi_u32 s7, s6, s15
	s_add_u32 s22, s18, -16
	s_addc_u32 s23, s19, -1
	s_add_i32 s7, s7, s3
	s_mul_i32 s6, s6, s15
	s_delay_alu instid0(VALU_DEP_1)
	v_mad_u64_u32 v[15:16], null, s5, v41, v[3:4]
	s_lshl_b64 s[6:7], s[6:7], 3
	s_lshl_b64 s[8:9], s[30:31], 3
	s_lshl_b32 s15, s42, 5
	s_add_u32 s3, s6, s8
	s_addc_u32 s6, s7, s9
	s_add_u32 s3, s28, s3
	s_addc_u32 s8, s29, s6
	s_add_u32 s6, s20, s40
	v_dual_mov_b32 v3, v15 :: v_dual_add_nc_u32 v18, 0x80, v4
	s_addc_u32 s7, s21, s41
	s_add_u32 s6, s6, s26
	s_addc_u32 s7, s7, s27
	v_add_nc_u32_e32 v44, v42, v4
	v_mad_u64_u32 v[10:11], null, s24, v18, s[6:7]
	v_add_nc_u32_e32 v46, 0x2080, v4
	v_lshlrev_b64 v[16:17], 3, v[0:1]
	v_cmp_gt_i32_e64 s1, s17, v0
	v_sub_co_u32 v47, s4, 0, v40
	s_delay_alu instid0(VALU_DEP_1) | instskip(SKIP_1) | instid1(VALU_DEP_1)
	v_sub_co_ci_u32_e64 v48, null, 0, 0, s4
	v_dual_mov_b32 v4, v11 :: v_dual_mov_b32 v11, v13
	v_mad_u64_u32 v[22:23], null, s5, v19, v[11:12]
	v_add_nc_u32_e32 v8, 16, v0
	s_delay_alu instid0(VALU_DEP_3) | instskip(SKIP_1) | instid1(VALU_DEP_1)
	v_mad_u64_u32 v[0:1], null, s25, v18, v[4:5]
	v_add_co_u32 v1, s3, s3, v16
	v_add_co_ci_u32_e64 v4, s3, s8, v17, s3
	v_mov_b32_e32 v13, v22
	s_delay_alu instid0(VALU_DEP_3)
	v_add_co_u32 v20, s3, 0x80, v1
	v_lshlrev_b64 v[18:19], 3, v[2:3]
	v_cmp_gt_i32_e64 s2, s17, v8
	v_ashrrev_i32_e32 v9, 31, v8
	v_add_co_ci_u32_e64 v21, s3, 0, v4, s3
	v_dual_mov_b32 v11, v0 :: v_dual_mov_b32 v4, 1.0
	s_branch .LBB88_4
.LBB88_3:                               ;   in Loop: Header=BB88_4 Depth=1
	s_or_b32 exec_lo, exec_lo, s4
	v_add_nc_u32_e32 v14, s15, v14
	s_add_i32 s14, s42, s14
	s_delay_alu instid0(SALU_CYCLE_1)
	s_cmp_le_i32 s14, s33
	s_cbranch_scc0 .LBB88_63
.LBB88_4:                               ; =>This Loop Header: Depth=1
                                        ;     Child Loop BB88_7 Depth 2
	s_lshl_b32 s20, s14, 5
	v_mov_b32_e32 v54, v5
	v_dual_mov_b32 v55, v5 :: v_dual_add_nc_u32 v22, s20, v41
	v_mov_b32_e32 v52, v5
	v_mov_b32_e32 v53, v5
	;; [unrolled: 1-line block ×3, first 2 shown]
	s_delay_alu instid0(VALU_DEP_4)
	v_ashrrev_i32_e32 v23, 31, v22
	v_mov_b32_e32 v51, v5
	v_mov_b32_e32 v49, v5
	;; [unrolled: 1-line block ×3, first 2 shown]
	s_cmp_lt_i32 s14, 0
	s_cbranch_scc1 .LBB88_55
; %bb.5:                                ;   in Loop: Header=BB88_4 Depth=1
	v_ashrrev_i32_e32 v15, 31, v14
	v_add_co_u32 v24, s3, v22, 16
	s_delay_alu instid0(VALU_DEP_1) | instskip(SKIP_1) | instid1(VALU_DEP_1)
	v_add_co_ci_u32_e64 v25, s3, 0, v23, s3
	v_add_co_u32 v26, s3, v47, v14
	v_add_co_ci_u32_e64 v27, s3, v48, v15, s3
	v_lshlrev_b64 v[28:29], 3, v[14:15]
	s_delay_alu instid0(VALU_DEP_3) | instskip(NEXT) | instid1(VALU_DEP_1)
	v_add_co_u32 v30, s5, v26, 16
	v_add_co_ci_u32_e64 v31, s5, 0, v27, s5
	v_add_co_u32 v32, s5, v26, -16
	v_cmp_le_i64_e64 s4, s[18:19], v[24:25]
	v_mov_b32_e32 v35, v7
	v_mov_b32_e32 v37, v11
	v_dual_mov_b32 v39, v21 :: v_dual_mov_b32 v50, 0
	v_cmp_le_i32_e64 s3, s18, v22
	v_add_co_ci_u32_e64 v33, s5, -1, v27, s5
	v_dual_mov_b32 v15, 0 :: v_dual_mov_b32 v34, v6
	v_mov_b32_e32 v36, v10
	v_dual_mov_b32 v38, v20 :: v_dual_mov_b32 v49, 0
	v_dual_mov_b32 v52, 0 :: v_dual_mov_b32 v51, 0
	;; [unrolled: 1-line block ×3, first 2 shown]
	v_mov_b32_e32 v55, 0
	s_mov_b64 s[16:17], 0
	s_branch .LBB88_7
.LBB88_6:                               ;   in Loop: Header=BB88_7 Depth=2
	s_or_b32 exec_lo, exec_lo, s5
	s_waitcnt lgkmcnt(0)
	s_waitcnt_vscnt null, 0x0
	s_barrier
	buffer_gl0_inv
	ds_load_2addr_b64 v[56:59], v43 offset1:32
	ds_load_b128 v[60:63], v42
	ds_load_2addr_b64 v[64:67], v46 offset1:32
	ds_load_b128 v[68:71], v42 offset:4096
	ds_load_b128 v[72:75], v42 offset:16
	;; [unrolled: 1-line block ×5, first 2 shown]
	v_add_co_u32 v38, s5, v38, s12
	s_delay_alu instid0(VALU_DEP_1) | instskip(SKIP_1) | instid1(VALU_DEP_1)
	v_add_co_ci_u32_e64 v39, s5, s13, v39, s5
	v_add_co_u32 v36, s5, v36, s10
	v_add_co_ci_u32_e64 v37, s5, s11, v37, s5
	v_add_co_u32 v34, s5, v34, s10
	s_add_u32 s16, s16, 32
	v_add_co_ci_u32_e64 v35, s5, s11, v35, s5
	s_waitcnt lgkmcnt(6)
	v_mul_f32_e32 v84, v61, v57
	s_waitcnt lgkmcnt(5)
	v_mul_f32_e32 v86, v61, v65
	v_mul_f32_e32 v87, v60, v65
	s_waitcnt lgkmcnt(4)
	v_mul_f32_e32 v89, v69, v65
	v_mul_f32_e32 v65, v68, v65
	;; [unrolled: 1-line block ×3, first 2 shown]
	s_addc_u32 s17, s17, 0
	s_sub_i32 s6, s16, 32
	s_delay_alu instid0(VALU_DEP_2) | instskip(SKIP_1) | instid1(VALU_DEP_1)
	v_fmac_f32_e32 v65, v69, v64
	s_cmp_ge_i32 s6, s20
	v_add_f32_e32 v15, v15, v65
	v_mul_f32_e32 v65, v63, v67
	v_fma_f32 v84, v60, v56, -v84
	s_delay_alu instid0(VALU_DEP_1) | instskip(NEXT) | instid1(VALU_DEP_1)
	v_dual_mul_f32 v85, v60, v57 :: v_dual_add_f32 v54, v54, v84
	v_fmac_f32_e32 v85, v61, v56
	v_fmac_f32_e32 v87, v61, v64
	v_mul_f32_e32 v57, v68, v57
	v_fma_f32 v61, v68, v56, -v88
	s_delay_alu instid0(VALU_DEP_3) | instskip(SKIP_3) | instid1(VALU_DEP_2)
	v_add_f32_e32 v84, v53, v87
	v_mul_f32_e32 v87, v71, v59
	v_fma_f32 v60, v60, v64, -v86
	v_dual_fmac_f32 v57, v69, v56 :: v_dual_mul_f32 v86, v62, v67
	v_add_f32_e32 v60, v52, v60
	v_fma_f32 v56, v68, v64, -v89
	v_mul_f32_e32 v64, v62, v59
	s_delay_alu instid0(VALU_DEP_2) | instskip(NEXT) | instid1(VALU_DEP_2)
	v_dual_fmac_f32 v86, v63, v66 :: v_dual_add_f32 v69, v49, v56
	v_fmac_f32_e32 v64, v63, v58
	v_add_f32_e32 v68, v55, v85
	v_dual_add_f32 v61, v50, v61 :: v_dual_mul_f32 v50, v63, v59
	v_mul_f32_e32 v59, v70, v59
	v_fma_f32 v63, v70, v58, -v87
	s_delay_alu instid0(VALU_DEP_4) | instskip(NEXT) | instid1(VALU_DEP_4)
	v_add_f32_e32 v64, v68, v64
	v_fma_f32 v53, v62, v58, -v50
	v_fma_f32 v62, v62, v66, -v65
	v_add_f32_e32 v57, v51, v57
	ds_load_2addr_b64 v[49:52], v43 offset0:64 offset1:96
	v_dual_fmac_f32 v59, v71, v58 :: v_dual_add_f32 v58, v61, v63
	v_add_f32_e32 v60, v60, v62
	v_mul_f32_e32 v62, v71, v67
	s_delay_alu instid0(VALU_DEP_3) | instskip(NEXT) | instid1(VALU_DEP_2)
	v_add_f32_e32 v57, v57, v59
	v_fma_f32 v62, v70, v66, -v62
	v_add_f32_e32 v85, v54, v53
	ds_load_2addr_b64 v[53:56], v46 offset0:64 offset1:96
	v_dual_mul_f32 v61, v70, v67 :: v_dual_add_f32 v62, v69, v62
	s_delay_alu instid0(VALU_DEP_1) | instskip(SKIP_3) | instid1(VALU_DEP_2)
	v_fmac_f32_e32 v61, v71, v66
	s_waitcnt lgkmcnt(1)
	v_dual_mul_f32 v59, v72, v50 :: v_dual_mul_f32 v68, v83, v52
	s_waitcnt lgkmcnt(0)
	v_dual_add_f32 v15, v15, v61 :: v_dual_mul_f32 v66, v73, v54
	v_mul_f32_e32 v61, v72, v54
	s_delay_alu instid0(VALU_DEP_2) | instskip(NEXT) | instid1(VALU_DEP_1)
	v_fma_f32 v66, v72, v53, -v66
	v_dual_fmac_f32 v59, v73, v49 :: v_dual_add_f32 v66, v60, v66
	s_delay_alu instid0(VALU_DEP_1) | instskip(SKIP_2) | instid1(VALU_DEP_2)
	v_add_f32_e32 v67, v64, v59
	v_mul_f32_e32 v59, v81, v50
	v_mul_f32_e32 v60, v81, v54
	v_fma_f32 v59, v80, v49, -v59
	v_mul_f32_e32 v63, v73, v50
	v_mul_f32_e32 v50, v80, v50
	s_delay_alu instid0(VALU_DEP_3) | instskip(NEXT) | instid1(VALU_DEP_3)
	v_dual_add_f32 v65, v84, v86 :: v_dual_add_f32 v70, v58, v59
	v_fma_f32 v63, v72, v49, -v63
	s_delay_alu instid0(VALU_DEP_3) | instskip(SKIP_1) | instid1(VALU_DEP_3)
	v_dual_fmac_f32 v50, v81, v49 :: v_dual_mul_f32 v49, v80, v54
	v_fma_f32 v54, v80, v53, -v60
	v_dual_mul_f32 v58, v75, v52 :: v_dual_add_f32 v63, v85, v63
	s_delay_alu instid0(VALU_DEP_3)
	v_add_f32_e32 v50, v57, v50
	v_fmac_f32_e32 v61, v73, v53
	v_fmac_f32_e32 v49, v81, v53
	v_add_f32_e32 v53, v62, v54
	v_mul_f32_e32 v54, v74, v52
	v_mul_f32_e32 v62, v75, v56
	v_fma_f32 v73, v82, v51, -v68
	v_mul_f32_e32 v52, v82, v52
	s_delay_alu instid0(VALU_DEP_4) | instskip(NEXT) | instid1(VALU_DEP_2)
	v_fmac_f32_e32 v54, v75, v51
	v_fmac_f32_e32 v52, v83, v51
	s_delay_alu instid0(VALU_DEP_2)
	v_dual_add_f32 v54, v67, v54 :: v_dual_add_f32 v69, v65, v61
	v_fma_f32 v61, v74, v51, -v58
	ds_load_2addr_b64 v[57:60], v43 offset0:128 offset1:160
	v_add_f32_e32 v15, v15, v49
	v_fma_f32 v65, v74, v55, -v62
	v_mul_f32_e32 v51, v82, v56
	v_add_f32_e32 v49, v63, v61
	v_mul_f32_e32 v71, v74, v56
	ds_load_2addr_b64 v[61:64], v46 offset0:128 offset1:160
	v_add_f32_e32 v72, v66, v65
	ds_load_b128 v[65:68], v42 offset:4128
	v_fmac_f32_e32 v51, v83, v55
	v_fmac_f32_e32 v71, v75, v55
	s_delay_alu instid0(VALU_DEP_1) | instskip(SKIP_3) | instid1(VALU_DEP_2)
	v_add_f32_e32 v69, v69, v71
	v_dual_mul_f32 v71, v83, v56 :: v_dual_add_f32 v56, v70, v73
	s_waitcnt lgkmcnt(2)
	v_mul_f32_e32 v70, v77, v58
	v_fma_f32 v71, v82, v55, -v71
	v_add_f32_e32 v15, v15, v51
	s_delay_alu instid0(VALU_DEP_2)
	v_add_f32_e32 v53, v53, v71
	v_add_f32_e32 v73, v50, v52
	v_fma_f32 v50, v76, v57, -v70
	s_waitcnt lgkmcnt(1)
	v_mul_f32_e32 v52, v77, v62
	v_mul_f32_e32 v71, v76, v62
	s_delay_alu instid0(VALU_DEP_3) | instskip(NEXT) | instid1(VALU_DEP_3)
	v_add_f32_e32 v70, v49, v50
	v_fma_f32 v74, v76, v61, -v52
	ds_load_b128 v[49:52], v42 offset:4144
	v_mul_f32_e32 v55, v76, v58
	s_waitcnt lgkmcnt(1)
	v_mul_f32_e32 v75, v66, v58
	v_fmac_f32_e32 v71, v77, v61
	s_delay_alu instid0(VALU_DEP_3) | instskip(NEXT) | instid1(VALU_DEP_1)
	v_fmac_f32_e32 v55, v77, v57
	v_dual_mul_f32 v77, v68, v60 :: v_dual_add_f32 v76, v54, v55
	v_mul_f32_e32 v54, v65, v58
	v_add_f32_e32 v58, v72, v74
	v_fma_f32 v55, v65, v57, -v75
	v_mul_f32_e32 v72, v66, v62
	v_add_f32_e32 v74, v69, v71
	v_dual_fmac_f32 v54, v66, v57 :: v_dual_mul_f32 v57, v65, v62
	s_delay_alu instid0(VALU_DEP_4) | instskip(NEXT) | instid1(VALU_DEP_4)
	v_add_f32_e32 v62, v56, v55
	v_fma_f32 v55, v65, v61, -v72
	s_delay_alu instid0(VALU_DEP_3) | instskip(NEXT) | instid1(VALU_DEP_2)
	v_dual_mul_f32 v56, v79, v60 :: v_dual_fmac_f32 v57, v66, v61
	v_dual_mul_f32 v61, v78, v60 :: v_dual_add_f32 v66, v53, v55
	s_delay_alu instid0(VALU_DEP_2) | instskip(SKIP_1) | instid1(VALU_DEP_3)
	v_fma_f32 v69, v78, v59, -v56
	v_mul_f32_e32 v60, v67, v60
	v_fmac_f32_e32 v61, v79, v59
	s_delay_alu instid0(VALU_DEP_2) | instskip(NEXT) | instid1(VALU_DEP_2)
	v_fmac_f32_e32 v60, v68, v59
	v_add_f32_e32 v61, v76, v61
	v_fma_f32 v76, v67, v59, -v77
	s_delay_alu instid0(VALU_DEP_1)
	v_add_f32_e32 v59, v62, v76
	v_add_f32_e32 v65, v73, v54
	;; [unrolled: 1-line block ×3, first 2 shown]
	ds_load_2addr_b64 v[69:72], v46 offset0:192 offset1:224
	ds_load_2addr_b64 v[53:56], v43 offset0:192 offset1:224
	v_mul_f32_e32 v62, v67, v64
	v_dual_add_f32 v15, v15, v57 :: v_dual_add_f32 v60, v65, v60
	v_mul_f32_e32 v57, v79, v64
	s_delay_alu instid0(VALU_DEP_3) | instskip(NEXT) | instid1(VALU_DEP_1)
	v_dual_mul_f32 v75, v78, v64 :: v_dual_fmac_f32 v62, v68, v63
	v_fmac_f32_e32 v75, v79, v63
	s_delay_alu instid0(VALU_DEP_2)
	v_add_f32_e32 v15, v15, v62
	s_waitcnt lgkmcnt(1)
	v_mul_f32_e32 v62, v0, v70
	v_fma_f32 v57, v78, v63, -v57
	s_waitcnt lgkmcnt(0)
	v_mul_f32_e32 v65, v0, v54
	v_add_nc_u32_e32 v78, 0x800, v46
	v_mul_f32_e32 v76, v52, v72
	v_fmac_f32_e32 v62, v1, v69
	v_dual_add_f32 v57, v58, v57 :: v_dual_mul_f32 v58, v68, v64
	v_mul_f32_e32 v64, v1, v54
	v_fmac_f32_e32 v65, v1, v53
	s_delay_alu instid0(VALU_DEP_3) | instskip(NEXT) | instid1(VALU_DEP_3)
	v_fma_f32 v58, v67, v63, -v58
	v_fma_f32 v63, v0, v53, -v64
	v_mul_f32_e32 v64, v1, v70
	v_mul_f32_e32 v1, v49, v54
	s_delay_alu instid0(VALU_DEP_4) | instskip(NEXT) | instid1(VALU_DEP_3)
	v_add_f32_e32 v58, v66, v58
	v_fma_f32 v0, v0, v69, -v64
	s_delay_alu instid0(VALU_DEP_1) | instskip(SKIP_4) | instid1(VALU_DEP_2)
	v_add_f32_e32 v0, v57, v0
	v_add_f32_e32 v66, v73, v63
	;; [unrolled: 1-line block ×3, first 2 shown]
	v_mul_f32_e32 v61, v50, v54
	v_dual_mul_f32 v54, v50, v70 :: v_dual_mul_f32 v65, v3, v72
	v_fma_f32 v57, v49, v53, -v61
	v_dual_mul_f32 v61, v49, v70 :: v_dual_mul_f32 v70, v2, v72
	v_mul_f32_e32 v72, v51, v72
	s_delay_alu instid0(VALU_DEP_4) | instskip(NEXT) | instid1(VALU_DEP_3)
	v_fma_f32 v49, v49, v69, -v54
	v_dual_fmac_f32 v61, v50, v69 :: v_dual_fmac_f32 v70, v3, v71
	s_delay_alu instid0(VALU_DEP_3) | instskip(NEXT) | instid1(VALU_DEP_3)
	v_dual_fmac_f32 v72, v52, v71 :: v_dual_fmac_f32 v1, v50, v53
	v_add_f32_e32 v49, v58, v49
	v_add_f32_e32 v54, v59, v57
	s_delay_alu instid0(VALU_DEP_3) | instskip(SKIP_1) | instid1(VALU_DEP_2)
	v_dual_add_f32 v50, v60, v1 :: v_dual_mul_f32 v1, v3, v56
	v_add_f32_e32 v74, v74, v75
	v_fma_f32 v1, v2, v55, -v1
	s_delay_alu instid0(VALU_DEP_2) | instskip(NEXT) | instid1(VALU_DEP_2)
	v_add_f32_e32 v53, v74, v62
	v_dual_add_f32 v74, v66, v1 :: v_dual_add_nc_u32 v77, 0x800, v43
	v_add_f32_e32 v15, v15, v61
	ds_load_2addr_b64 v[57:60], v77 offset1:32
	ds_load_b128 v[61:64], v42 offset:64
	v_fma_f32 v1, v2, v71, -v65
	ds_load_2addr_b64 v[65:68], v78 offset1:32
	v_mul_f32_e32 v69, v2, v56
	v_add_f32_e32 v15, v15, v72
	v_mul_f32_e32 v2, v52, v56
	s_waitcnt lgkmcnt(1)
	v_dual_add_f32 v75, v0, v1 :: v_dual_mul_f32 v80, v62, v58
	s_waitcnt lgkmcnt(0)
	v_mul_f32_e32 v72, v61, v66
	s_delay_alu instid0(VALU_DEP_1) | instskip(NEXT) | instid1(VALU_DEP_1)
	v_dual_fmac_f32 v72, v62, v65 :: v_dual_fmac_f32 v69, v3, v55
	v_add_f32_e32 v69, v73, v69
	v_mul_f32_e32 v73, v51, v56
	v_fma_f32 v56, v51, v55, -v2
	ds_load_b128 v[0:3], v42 offset:4160
	v_fma_f32 v51, v51, v71, -v76
	v_fmac_f32_e32 v73, v52, v55
	s_delay_alu instid0(VALU_DEP_2)
	v_dual_add_f32 v79, v54, v56 :: v_dual_add_f32 v76, v49, v51
	v_add_f32_e32 v70, v53, v70
	ds_load_b128 v[53:56], v42 offset:80
	v_add_f32_e32 v73, v50, v73
	v_mul_f32_e32 v71, v61, v58
	v_fma_f32 v50, v61, v57, -v80
	v_mul_f32_e32 v49, v62, v66
	s_delay_alu instid0(VALU_DEP_3) | instskip(NEXT) | instid1(VALU_DEP_3)
	v_fmac_f32_e32 v71, v62, v57
	v_add_f32_e32 v74, v74, v50
	s_waitcnt lgkmcnt(1)
	v_mul_f32_e32 v80, v1, v58
	v_mul_f32_e32 v58, v0, v58
	s_delay_alu instid0(VALU_DEP_2) | instskip(SKIP_1) | instid1(VALU_DEP_3)
	v_fma_f32 v62, v0, v57, -v80
	v_add_f32_e32 v80, v70, v72
	v_dual_fmac_f32 v58, v1, v57 :: v_dual_mul_f32 v57, v0, v66
	s_delay_alu instid0(VALU_DEP_3) | instskip(SKIP_1) | instid1(VALU_DEP_3)
	v_dual_add_f32 v62, v79, v62 :: v_dual_add_f32 v81, v69, v71
	v_dual_mul_f32 v69, v1, v66 :: v_dual_mul_f32 v66, v64, v60
	v_dual_mul_f32 v79, v3, v60 :: v_dual_add_f32 v58, v73, v58
	s_delay_alu instid0(VALU_DEP_2) | instskip(SKIP_4) | instid1(VALU_DEP_1)
	v_fma_f32 v0, v0, v65, -v69
	ds_load_2addr_b64 v[69:72], v77 offset0:64 offset1:96
	v_dual_add_f32 v0, v76, v0 :: v_dual_fmac_f32 v57, v1, v65
	v_mul_f32_e32 v1, v63, v60
	v_mul_f32_e32 v60, v2, v60
	v_fmac_f32_e32 v60, v3, v59
	v_fma_f32 v61, v61, v65, -v49
	v_fma_f32 v65, v63, v59, -v66
	v_mul_f32_e32 v66, v63, v68
	ds_load_b128 v[49:52], v42 offset:4176
	v_dual_add_f32 v58, v58, v60 :: v_dual_add_f32 v61, v75, v61
	v_add_f32_e32 v65, v74, v65
	ds_load_2addr_b64 v[73:76], v78 offset0:64 offset1:96
	s_waitcnt lgkmcnt(2)
	v_dual_mul_f32 v60, v53, v70 :: v_dual_add_f32 v15, v15, v57
	v_mul_f32_e32 v57, v64, v68
	v_fmac_f32_e32 v1, v64, v59
	v_fmac_f32_e32 v66, v64, v67
	s_delay_alu instid0(VALU_DEP_4) | instskip(NEXT) | instid1(VALU_DEP_4)
	v_fmac_f32_e32 v60, v54, v69
	v_fma_f32 v57, v63, v67, -v57
	v_fma_f32 v63, v2, v59, -v79
	s_delay_alu instid0(VALU_DEP_2) | instskip(SKIP_1) | instid1(VALU_DEP_3)
	v_dual_add_f32 v64, v80, v66 :: v_dual_add_f32 v57, v61, v57
	v_mul_f32_e32 v61, v3, v68
	v_add_f32_e32 v59, v62, v63
	v_mul_f32_e32 v62, v2, v68
	s_delay_alu instid0(VALU_DEP_3) | instskip(NEXT) | instid1(VALU_DEP_2)
	v_fma_f32 v2, v2, v67, -v61
	v_dual_mul_f32 v61, v54, v70 :: v_dual_fmac_f32 v62, v3, v67
	s_waitcnt lgkmcnt(0)
	v_mul_f32_e32 v3, v54, v74
	s_delay_alu instid0(VALU_DEP_3) | instskip(NEXT) | instid1(VALU_DEP_3)
	v_dual_mul_f32 v67, v55, v72 :: v_dual_add_f32 v0, v0, v2
	v_fma_f32 v2, v53, v69, -v61
	v_mul_f32_e32 v61, v53, v74
	v_add_f32_e32 v15, v15, v62
	s_delay_alu instid0(VALU_DEP_4) | instskip(NEXT) | instid1(VALU_DEP_4)
	v_dual_mul_f32 v68, v55, v76 :: v_dual_fmac_f32 v67, v56, v71
	v_add_f32_e32 v62, v65, v2
	v_fma_f32 v2, v53, v73, -v3
	v_fmac_f32_e32 v61, v54, v73
	v_mul_f32_e32 v3, v49, v70
	v_mul_f32_e32 v63, v56, v76
	v_fmac_f32_e32 v68, v56, v75
	v_add_f32_e32 v54, v57, v2
	v_dual_mul_f32 v2, v50, v74 :: v_dual_add_f32 v1, v81, v1
	v_add_f32_e32 v65, v64, v61
	v_mul_f32_e32 v61, v49, v74
	v_fmac_f32_e32 v3, v50, v69
	s_delay_alu instid0(VALU_DEP_4) | instskip(SKIP_2) | instid1(VALU_DEP_3)
	v_fma_f32 v2, v49, v73, -v2
	v_add_f32_e32 v53, v1, v60
	v_dual_mul_f32 v1, v50, v70 :: v_dual_mul_f32 v70, v52, v72
	v_dual_fmac_f32 v61, v50, v73 :: v_dual_add_f32 v50, v0, v2
	s_delay_alu instid0(VALU_DEP_3) | instskip(NEXT) | instid1(VALU_DEP_3)
	v_add_f32_e32 v73, v53, v67
	v_fma_f32 v1, v49, v69, -v1
	v_mul_f32_e32 v49, v56, v72
	v_mul_f32_e32 v72, v51, v72
	v_fma_f32 v67, v51, v71, -v70
	s_delay_alu instid0(VALU_DEP_4) | instskip(NEXT) | instid1(VALU_DEP_4)
	v_add_f32_e32 v66, v59, v1
	v_fma_f32 v49, v55, v71, -v49
	s_delay_alu instid0(VALU_DEP_4)
	v_fmac_f32_e32 v72, v52, v71
	v_mul_f32_e32 v71, v52, v76
	v_mul_f32_e32 v76, v51, v76
	v_fma_f32 v55, v55, v75, -v63
	v_add_f32_e32 v79, v66, v67
	v_add_f32_e32 v69, v58, v3
	ds_load_2addr_b64 v[0:3], v77 offset0:128 offset1:160
	ds_load_b128 v[57:60], v42 offset:96
	v_dual_add_f32 v49, v62, v49 :: v_dual_fmac_f32 v76, v52, v75
	v_add_f32_e32 v15, v15, v61
	ds_load_2addr_b64 v[61:64], v78 offset0:128 offset1:160
	v_add_f32_e32 v74, v54, v55
	ds_load_b128 v[53:56], v42 offset:4192
	v_fma_f32 v51, v51, v75, -v71
	s_delay_alu instid0(VALU_DEP_1)
	v_dual_add_f32 v69, v69, v72 :: v_dual_add_f32 v72, v50, v51
	s_waitcnt lgkmcnt(2)
	v_mul_f32_e32 v80, v58, v1
	s_waitcnt lgkmcnt(1)
	v_mul_f32_e32 v50, v58, v62
	v_add_f32_e32 v70, v65, v68
	ds_load_b128 v[65:68], v42 offset:112
	v_mul_f32_e32 v71, v57, v1
	v_fma_f32 v52, v57, v0, -v80
	v_dual_add_f32 v15, v15, v76 :: v_dual_mul_f32 v76, v57, v62
	s_waitcnt lgkmcnt(1)
	v_mul_f32_e32 v80, v54, v1
	v_fmac_f32_e32 v71, v58, v0
	v_mul_f32_e32 v1, v53, v1
	v_fma_f32 v57, v57, v61, -v50
	v_fmac_f32_e32 v76, v58, v61
	v_fma_f32 v58, v53, v0, -v80
	v_add_f32_e32 v81, v73, v71
	v_mul_f32_e32 v71, v54, v62
	v_dual_fmac_f32 v1, v54, v0 :: v_dual_mul_f32 v0, v53, v62
	v_mul_f32_e32 v62, v60, v3
	v_add_f32_e32 v80, v70, v76
	s_delay_alu instid0(VALU_DEP_4) | instskip(SKIP_3) | instid1(VALU_DEP_4)
	v_fma_f32 v53, v53, v61, -v71
	v_add_f32_e32 v58, v79, v58
	v_fmac_f32_e32 v0, v54, v61
	v_fma_f32 v61, v59, v2, -v62
	v_dual_mul_f32 v62, v59, v64 :: v_dual_add_f32 v53, v72, v53
	v_mul_f32_e32 v54, v59, v3
	s_delay_alu instid0(VALU_DEP_4) | instskip(NEXT) | instid1(VALU_DEP_3)
	v_add_f32_e32 v0, v15, v0
	v_dual_fmac_f32 v62, v60, v63 :: v_dual_add_f32 v1, v69, v1
	ds_load_2addr_b64 v[69:72], v77 offset0:192 offset1:224
	v_add_f32_e32 v75, v49, v52
	ds_load_b128 v[49:52], v42 offset:4208
	v_mul_f32_e32 v77, v56, v3
	v_dual_mul_f32 v3, v55, v3 :: v_dual_fmac_f32 v54, v60, v2
	v_add_f32_e32 v61, v75, v61
	v_add_f32_e32 v57, v74, v57
	ds_load_2addr_b64 v[73:76], v78 offset0:192 offset1:224
	v_mul_f32_e32 v15, v60, v64
	v_fmac_f32_e32 v3, v56, v2
	v_add_f32_e32 v60, v80, v62
	v_add_nc_u32_e32 v78, 0x1000, v46
	s_delay_alu instid0(VALU_DEP_4) | instskip(SKIP_2) | instid1(VALU_DEP_3)
	v_fma_f32 v15, v59, v63, -v15
	v_fma_f32 v59, v55, v2, -v77
	v_add_nc_u32_e32 v77, 0x1000, v43
	v_add_f32_e32 v15, v57, v15
	s_delay_alu instid0(VALU_DEP_3) | instskip(SKIP_1) | instid1(VALU_DEP_2)
	v_dual_mul_f32 v57, v56, v64 :: v_dual_add_f32 v2, v58, v59
	v_mul_f32_e32 v58, v55, v64
	v_fma_f32 v55, v55, v63, -v57
	s_waitcnt lgkmcnt(2)
	s_delay_alu instid0(VALU_DEP_2) | instskip(SKIP_3) | instid1(VALU_DEP_3)
	v_dual_mul_f32 v57, v66, v70 :: v_dual_fmac_f32 v58, v56, v63
	s_waitcnt lgkmcnt(0)
	v_mul_f32_e32 v64, v67, v76
	v_dual_mul_f32 v56, v66, v74 :: v_dual_add_f32 v53, v53, v55
	v_fma_f32 v55, v65, v69, -v57
	s_delay_alu instid0(VALU_DEP_3) | instskip(SKIP_2) | instid1(VALU_DEP_3)
	v_dual_mul_f32 v57, v65, v74 :: v_dual_fmac_f32 v64, v68, v75
	v_add_f32_e32 v1, v1, v3
	v_mul_f32_e32 v3, v65, v70
	v_dual_add_f32 v0, v0, v58 :: v_dual_fmac_f32 v57, v66, v73
	v_add_f32_e32 v58, v61, v55
	v_fma_f32 v55, v65, v73, -v56
	s_delay_alu instid0(VALU_DEP_4) | instskip(NEXT) | instid1(VALU_DEP_4)
	v_dual_fmac_f32 v3, v66, v69 :: v_dual_mul_f32 v56, v49, v74
	v_add_f32_e32 v62, v60, v57
	s_delay_alu instid0(VALU_DEP_3) | instskip(SKIP_1) | instid1(VALU_DEP_4)
	v_dual_add_f32 v54, v81, v54 :: v_dual_add_f32 v15, v15, v55
	v_mul_f32_e32 v55, v50, v74
	v_dual_fmac_f32 v56, v50, v73 :: v_dual_mul_f32 v59, v68, v76
	s_delay_alu instid0(VALU_DEP_3)
	v_dual_add_f32 v61, v54, v3 :: v_dual_mul_f32 v54, v49, v70
	v_mul_f32_e32 v3, v50, v70
	v_add_f32_e32 v74, v62, v64
	v_mul_f32_e32 v63, v67, v72
	v_fma_f32 v66, v67, v75, -v59
	v_fmac_f32_e32 v54, v50, v69
	v_fma_f32 v3, v49, v69, -v3
	v_fma_f32 v49, v49, v73, -v55
	v_fmac_f32_e32 v63, v68, v71
	v_add_f32_e32 v15, v15, v66
	v_dual_add_f32 v50, v1, v54 :: v_dual_mul_f32 v1, v68, v72
	s_delay_alu instid0(VALU_DEP_4) | instskip(SKIP_1) | instid1(VALU_DEP_3)
	v_add_f32_e32 v49, v53, v49
	v_add_f32_e32 v69, v0, v56
	v_fma_f32 v57, v67, v71, -v1
	v_mul_f32_e32 v67, v52, v72
	v_mul_f32_e32 v72, v51, v72
	s_delay_alu instid0(VALU_DEP_3) | instskip(NEXT) | instid1(VALU_DEP_3)
	v_add_f32_e32 v70, v58, v57
	v_fma_f32 v66, v51, v71, -v67
	s_delay_alu instid0(VALU_DEP_3) | instskip(SKIP_2) | instid1(VALU_DEP_2)
	v_fmac_f32_e32 v72, v52, v71
	v_mul_f32_e32 v71, v52, v76
	v_mul_f32_e32 v76, v51, v76
	v_fma_f32 v51, v51, v75, -v71
	s_delay_alu instid0(VALU_DEP_2) | instskip(NEXT) | instid1(VALU_DEP_2)
	v_dual_fmac_f32 v76, v52, v75 :: v_dual_add_f32 v71, v50, v72
	v_add_f32_e32 v75, v49, v51
	v_add_f32_e32 v65, v2, v3
	ds_load_2addr_b64 v[0:3], v77 offset1:32
	ds_load_b128 v[53:56], v42 offset:128
	ds_load_2addr_b64 v[57:60], v78 offset1:32
	v_add_f32_e32 v76, v69, v76
	v_add_f32_e32 v79, v65, v66
	ds_load_b128 v[65:68], v42 offset:144
	s_waitcnt lgkmcnt(2)
	v_mul_f32_e32 v72, v53, v1
	v_add_f32_e32 v73, v61, v63
	ds_load_b128 v[61:64], v42 offset:4224
	v_mul_f32_e32 v80, v54, v1
	s_waitcnt lgkmcnt(2)
	v_mul_f32_e32 v49, v54, v58
	v_dual_mul_f32 v69, v53, v58 :: v_dual_fmac_f32 v72, v54, v0
	s_delay_alu instid0(VALU_DEP_3) | instskip(NEXT) | instid1(VALU_DEP_3)
	v_fma_f32 v50, v53, v0, -v80
	v_fma_f32 v53, v53, v57, -v49
	s_delay_alu instid0(VALU_DEP_2) | instskip(SKIP_3) | instid1(VALU_DEP_2)
	v_add_f32_e32 v80, v70, v50
	ds_load_b128 v[49:52], v42 offset:4240
	v_fmac_f32_e32 v69, v54, v57
	v_add_f32_e32 v15, v15, v53
	v_add_f32_e32 v82, v74, v69
	s_waitcnt lgkmcnt(1)
	v_mul_f32_e32 v70, v62, v1
	v_dual_mul_f32 v1, v61, v1 :: v_dual_mul_f32 v54, v62, v58
	s_delay_alu instid0(VALU_DEP_2) | instskip(NEXT) | instid1(VALU_DEP_2)
	v_fma_f32 v53, v61, v0, -v70
	v_dual_fmac_f32 v1, v62, v0 :: v_dual_mul_f32 v0, v61, v58
	s_delay_alu instid0(VALU_DEP_3) | instskip(NEXT) | instid1(VALU_DEP_3)
	v_fma_f32 v54, v61, v57, -v54
	v_dual_mul_f32 v58, v56, v3 :: v_dual_add_f32 v53, v79, v53
	s_delay_alu instid0(VALU_DEP_3)
	v_dual_mul_f32 v79, v64, v3 :: v_dual_fmac_f32 v0, v62, v57
	v_mul_f32_e32 v57, v55, v3
	v_mul_f32_e32 v62, v55, v60
	;; [unrolled: 1-line block ×4, first 2 shown]
	v_fma_f32 v58, v55, v2, -v58
	v_fmac_f32_e32 v57, v56, v2
	v_fmac_f32_e32 v62, v56, v59
	v_fma_f32 v56, v63, v2, -v79
	v_fmac_f32_e32 v3, v64, v2
	v_add_f32_e32 v0, v76, v0
	v_fma_f32 v55, v55, v59, -v61
	s_delay_alu instid0(VALU_DEP_4) | instskip(SKIP_2) | instid1(VALU_DEP_4)
	v_dual_add_f32 v1, v71, v1 :: v_dual_add_f32 v2, v53, v56
	v_mul_f32_e32 v53, v63, v60
	v_add_f32_e32 v54, v75, v54
	v_add_f32_e32 v15, v15, v55
	v_mul_f32_e32 v55, v64, v60
	v_add_f32_e32 v1, v1, v3
	v_fmac_f32_e32 v53, v64, v59
	v_add_f32_e32 v61, v82, v62
	v_add_f32_e32 v58, v80, v58
	v_fma_f32 v55, v63, v59, -v55
	s_delay_alu instid0(VALU_DEP_4)
	v_dual_add_f32 v60, v0, v53 :: v_dual_add_f32 v81, v73, v72
	ds_load_2addr_b64 v[69:72], v77 offset0:64 offset1:96
	ds_load_2addr_b64 v[73:76], v78 offset0:64 offset1:96
	v_add_f32_e32 v54, v54, v55
	s_waitcnt lgkmcnt(1)
	v_mul_f32_e32 v56, v66, v70
	s_waitcnt lgkmcnt(0)
	v_dual_mul_f32 v3, v65, v70 :: v_dual_mul_f32 v64, v67, v76
	v_mul_f32_e32 v59, v65, v74
	v_mul_f32_e32 v53, v49, v70
	v_fma_f32 v55, v65, v69, -v56
	v_mul_f32_e32 v56, v66, v74
	v_dual_fmac_f32 v3, v66, v69 :: v_dual_fmac_f32 v64, v68, v75
	v_add_f32_e32 v57, v81, v57
	v_fmac_f32_e32 v59, v66, v73
	s_delay_alu instid0(VALU_DEP_4) | instskip(SKIP_1) | instid1(VALU_DEP_4)
	v_fma_f32 v0, v65, v73, -v56
	v_dual_mul_f32 v63, v67, v72 :: v_dual_add_f32 v58, v58, v55
	v_dual_add_f32 v62, v57, v3 :: v_dual_mul_f32 v3, v50, v70
	s_delay_alu instid0(VALU_DEP_3) | instskip(SKIP_2) | instid1(VALU_DEP_4)
	v_dual_add_f32 v15, v15, v0 :: v_dual_mul_f32 v0, v50, v74
	v_add_f32_e32 v61, v61, v59
	v_mul_f32_e32 v57, v49, v74
	v_fma_f32 v3, v49, v69, -v3
	v_mul_f32_e32 v59, v68, v76
	v_fma_f32 v0, v49, v73, -v0
	v_mul_f32_e32 v49, v68, v72
	v_fmac_f32_e32 v53, v50, v69
	v_add_f32_e32 v65, v2, v3
	v_fma_f32 v66, v67, v75, -v59
	v_fmac_f32_e32 v57, v50, v73
	v_fma_f32 v49, v67, v71, -v49
	v_mul_f32_e32 v67, v52, v72
	v_fmac_f32_e32 v63, v68, v71
	v_add_f32_e32 v15, v15, v66
	v_dual_add_f32 v69, v1, v53 :: v_dual_add_f32 v50, v54, v0
	s_delay_alu instid0(VALU_DEP_4)
	v_fma_f32 v66, v51, v71, -v67
	ds_load_2addr_b64 v[0:3], v77 offset0:128 offset1:160
	ds_load_b128 v[53:56], v42 offset:160
	v_dual_add_f32 v70, v60, v57 :: v_dual_add_f32 v73, v62, v63
	v_add_f32_e32 v74, v61, v64
	ds_load_b128 v[61:64], v42 offset:4256
	v_add_f32_e32 v79, v65, v66
	ds_load_b128 v[65:68], v42 offset:176
	v_add_f32_e32 v49, v58, v49
	ds_load_2addr_b64 v[57:60], v78 offset0:128 offset1:160
	v_mul_f32_e32 v72, v51, v72
	s_delay_alu instid0(VALU_DEP_1) | instskip(SKIP_2) | instid1(VALU_DEP_3)
	v_fmac_f32_e32 v72, v52, v71
	v_mul_f32_e32 v71, v52, v76
	v_mul_f32_e32 v76, v51, v76
	v_add_f32_e32 v69, v69, v72
	s_delay_alu instid0(VALU_DEP_3) | instskip(NEXT) | instid1(VALU_DEP_3)
	v_fma_f32 v51, v51, v75, -v71
	v_fmac_f32_e32 v76, v52, v75
	s_waitcnt lgkmcnt(3)
	v_mul_f32_e32 v80, v54, v1
	s_delay_alu instid0(VALU_DEP_3) | instskip(NEXT) | instid1(VALU_DEP_3)
	v_dual_mul_f32 v71, v53, v1 :: v_dual_add_f32 v72, v50, v51
	v_add_f32_e32 v75, v70, v76
	s_delay_alu instid0(VALU_DEP_3)
	v_fma_f32 v52, v53, v0, -v80
	s_waitcnt lgkmcnt(0)
	v_mul_f32_e32 v50, v54, v58
	v_dual_mul_f32 v70, v53, v58 :: v_dual_fmac_f32 v71, v54, v0
	v_mul_f32_e32 v80, v62, v1
	v_mul_f32_e32 v1, v61, v1
	s_delay_alu instid0(VALU_DEP_4) | instskip(NEXT) | instid1(VALU_DEP_4)
	v_fma_f32 v53, v53, v57, -v50
	v_fmac_f32_e32 v70, v54, v57
	v_mul_f32_e32 v54, v62, v58
	v_add_f32_e32 v76, v49, v52
	v_fmac_f32_e32 v1, v62, v0
	v_add_f32_e32 v15, v15, v53
	v_fma_f32 v53, v61, v0, -v80
	v_mul_f32_e32 v0, v61, v58
	v_fma_f32 v54, v61, v57, -v54
	v_mul_f32_e32 v58, v56, v3
	v_dual_add_f32 v81, v73, v71 :: v_dual_add_f32 v80, v74, v70
	v_add_f32_e32 v1, v69, v1
	v_fmac_f32_e32 v0, v62, v57
	v_add_f32_e32 v54, v72, v54
	v_fma_f32 v58, v55, v2, -v58
	ds_load_2addr_b64 v[69:72], v77 offset0:192 offset1:224
	v_mul_f32_e32 v61, v56, v60
	v_add_f32_e32 v0, v75, v0
	ds_load_b128 v[49:52], v42 offset:4272
	v_add_f32_e32 v58, v76, v58
	ds_load_2addr_b64 v[73:76], v78 offset0:192 offset1:224
	v_mul_f32_e32 v57, v55, v3
	v_dual_mul_f32 v62, v55, v60 :: v_dual_mul_f32 v77, v64, v3
	v_fma_f32 v55, v55, v59, -v61
	v_add_f32_e32 v53, v79, v53
	s_delay_alu instid0(VALU_DEP_4) | instskip(NEXT) | instid1(VALU_DEP_4)
	v_fmac_f32_e32 v57, v56, v2
	v_fmac_f32_e32 v62, v56, v59
	v_mul_f32_e32 v3, v63, v3
	v_fma_f32 v56, v63, v2, -v77
	v_add_f32_e32 v15, v15, v55
	v_mul_f32_e32 v55, v64, v60
	v_add_f32_e32 v57, v81, v57
	s_delay_alu instid0(VALU_DEP_4)
	v_dual_fmac_f32 v3, v64, v2 :: v_dual_add_f32 v2, v53, v56
	s_waitcnt lgkmcnt(2)
	v_mul_f32_e32 v56, v66, v70
	v_fma_f32 v55, v63, v59, -v55
	v_mul_f32_e32 v53, v63, v60
	v_add_f32_e32 v1, v1, v3
	v_mul_f32_e32 v3, v65, v70
	s_delay_alu instid0(VALU_DEP_4)
	v_dual_add_f32 v61, v80, v62 :: v_dual_add_f32 v54, v54, v55
	v_fma_f32 v55, v65, v69, -v56
	s_waitcnt lgkmcnt(0)
	v_dual_mul_f32 v56, v66, v74 :: v_dual_fmac_f32 v53, v64, v59
	v_fmac_f32_e32 v3, v66, v69
	v_add_nc_u32_e32 v77, 0x1800, v43
	v_add_f32_e32 v58, v58, v55
	s_delay_alu instid0(VALU_DEP_4) | instskip(SKIP_3) | instid1(VALU_DEP_4)
	v_fma_f32 v55, v65, v73, -v56
	v_mul_f32_e32 v56, v49, v70
	v_dual_add_f32 v0, v0, v53 :: v_dual_mul_f32 v53, v65, v74
	v_dual_add_f32 v62, v57, v3 :: v_dual_mul_f32 v3, v50, v70
	v_add_f32_e32 v15, v15, v55
	v_mul_f32_e32 v55, v50, v74
	v_dual_mul_f32 v57, v49, v74 :: v_dual_fmac_f32 v56, v50, v69
	v_fmac_f32_e32 v53, v66, v73
	v_fma_f32 v3, v49, v69, -v3
	s_delay_alu instid0(VALU_DEP_4) | instskip(NEXT) | instid1(VALU_DEP_4)
	v_fma_f32 v49, v49, v73, -v55
	v_dual_fmac_f32 v57, v50, v73 :: v_dual_add_f32 v50, v1, v56
	v_mul_f32_e32 v1, v68, v72
	v_add_f32_e32 v61, v61, v53
	v_add_f32_e32 v65, v2, v3
	;; [unrolled: 1-line block ×4, first 2 shown]
	v_mul_f32_e32 v63, v67, v72
	v_fma_f32 v57, v67, v71, -v1
	v_mul_f32_e32 v59, v68, v76
	ds_load_2addr_b64 v[0:3], v77 offset1:32
	ds_load_b128 v[53:56], v42 offset:192
	v_add_nc_u32_e32 v78, 0x1800, v46
	v_dual_mul_f32 v64, v67, v76 :: v_dual_fmac_f32 v63, v68, v71
	v_add_f32_e32 v70, v58, v57
	v_fma_f32 v66, v67, v75, -v59
	ds_load_2addr_b64 v[57:60], v78 offset1:32
	v_fmac_f32_e32 v64, v68, v75
	v_mul_f32_e32 v67, v52, v72
	v_dual_add_f32 v73, v62, v63 :: v_dual_mul_f32 v72, v51, v72
	s_delay_alu instid0(VALU_DEP_3) | instskip(SKIP_4) | instid1(VALU_DEP_3)
	v_dual_add_f32 v15, v15, v66 :: v_dual_add_f32 v74, v61, v64
	ds_load_b128 v[61:64], v42 offset:4288
	v_fma_f32 v66, v51, v71, -v67
	v_fmac_f32_e32 v72, v52, v71
	v_mul_f32_e32 v71, v52, v76
	v_dual_mul_f32 v76, v51, v76 :: v_dual_add_f32 v79, v65, v66
	s_waitcnt lgkmcnt(2)
	v_mul_f32_e32 v80, v54, v1
	s_delay_alu instid0(VALU_DEP_3) | instskip(NEXT) | instid1(VALU_DEP_3)
	v_fma_f32 v51, v51, v75, -v71
	v_dual_add_f32 v71, v50, v72 :: v_dual_fmac_f32 v76, v52, v75
	ds_load_b128 v[65:68], v42 offset:208
	v_fma_f32 v50, v53, v0, -v80
	v_add_f32_e32 v75, v49, v51
	s_waitcnt lgkmcnt(2)
	v_dual_mul_f32 v49, v54, v58 :: v_dual_mul_f32 v72, v53, v1
	v_add_f32_e32 v76, v69, v76
	v_add_f32_e32 v80, v70, v50
	v_mul_f32_e32 v69, v53, v58
	s_delay_alu instid0(VALU_DEP_4)
	v_fma_f32 v53, v53, v57, -v49
	s_waitcnt lgkmcnt(1)
	v_mul_f32_e32 v70, v62, v1
	v_dual_mul_f32 v1, v61, v1 :: v_dual_fmac_f32 v72, v54, v0
	v_fmac_f32_e32 v69, v54, v57
	v_add_f32_e32 v15, v15, v53
	s_delay_alu instid0(VALU_DEP_4) | instskip(SKIP_3) | instid1(VALU_DEP_3)
	v_fma_f32 v53, v61, v0, -v70
	v_mul_f32_e32 v54, v62, v58
	v_dual_fmac_f32 v1, v62, v0 :: v_dual_mul_f32 v0, v61, v58
	v_dual_add_f32 v81, v73, v72 :: v_dual_add_f32 v82, v74, v69
	v_fma_f32 v54, v61, v57, -v54
	s_delay_alu instid0(VALU_DEP_3) | instskip(NEXT) | instid1(VALU_DEP_4)
	v_add_f32_e32 v1, v71, v1
	v_fmac_f32_e32 v0, v62, v57
	ds_load_2addr_b64 v[69:72], v77 offset0:64 offset1:96
	v_mul_f32_e32 v58, v56, v3
	v_dual_add_f32 v54, v75, v54 :: v_dual_mul_f32 v61, v56, v60
	v_add_f32_e32 v0, v76, v0
	ds_load_2addr_b64 v[73:76], v78 offset0:64 offset1:96
	v_add_f32_e32 v53, v79, v53
	v_mul_f32_e32 v57, v55, v3
	v_fma_f32 v58, v55, v2, -v58
	v_dual_mul_f32 v62, v55, v60 :: v_dual_mul_f32 v79, v64, v3
	v_fma_f32 v55, v55, v59, -v61
	ds_load_b128 v[49:52], v42 offset:4304
	v_fmac_f32_e32 v57, v56, v2
	v_fmac_f32_e32 v62, v56, v59
	v_mul_f32_e32 v3, v63, v3
	v_fma_f32 v56, v63, v2, -v79
	v_add_f32_e32 v15, v15, v55
	v_mul_f32_e32 v55, v64, v60
	v_add_f32_e32 v57, v81, v57
	s_delay_alu instid0(VALU_DEP_4) | instskip(SKIP_1) | instid1(VALU_DEP_4)
	v_dual_fmac_f32 v3, v64, v2 :: v_dual_add_f32 v2, v53, v56
	v_mul_f32_e32 v53, v63, v60
	v_fma_f32 v55, v63, v59, -v55
	s_waitcnt lgkmcnt(2)
	s_delay_alu instid0(VALU_DEP_3) | instskip(SKIP_3) | instid1(VALU_DEP_4)
	v_dual_mul_f32 v56, v66, v70 :: v_dual_add_f32 v1, v1, v3
	v_mul_f32_e32 v3, v65, v70
	v_fmac_f32_e32 v53, v64, v59
	v_add_f32_e32 v54, v54, v55
	v_fma_f32 v55, v65, v69, -v56
	s_waitcnt lgkmcnt(1)
	v_mul_f32_e32 v56, v66, v74
	v_fmac_f32_e32 v3, v66, v69
	v_dual_add_f32 v60, v0, v53 :: v_dual_add_f32 v61, v82, v62
	v_mul_f32_e32 v59, v65, v74
	s_delay_alu instid0(VALU_DEP_4) | instskip(SKIP_3) | instid1(VALU_DEP_3)
	v_fma_f32 v0, v65, v73, -v56
	s_waitcnt lgkmcnt(0)
	v_dual_add_f32 v62, v57, v3 :: v_dual_mul_f32 v3, v50, v70
	v_mul_f32_e32 v53, v49, v70
	v_dual_add_f32 v58, v80, v58 :: v_dual_add_f32 v15, v15, v0
	v_mul_f32_e32 v0, v50, v74
	v_fmac_f32_e32 v59, v66, v73
	v_fma_f32 v3, v49, v69, -v3
	v_fmac_f32_e32 v53, v50, v69
	v_mul_f32_e32 v57, v49, v74
	v_fma_f32 v0, v49, v73, -v0
	v_dual_mul_f32 v49, v68, v72 :: v_dual_add_f32 v58, v58, v55
	v_add_f32_e32 v61, v61, v59
	v_add_f32_e32 v65, v2, v3
	;; [unrolled: 1-line block ×3, first 2 shown]
	v_fmac_f32_e32 v57, v50, v73
	v_add_f32_e32 v50, v54, v0
	v_fma_f32 v49, v67, v71, -v49
	v_mul_f32_e32 v59, v68, v76
	ds_load_2addr_b64 v[0:3], v77 offset0:128 offset1:160
	ds_load_b128 v[53:56], v42 offset:224
	v_mul_f32_e32 v63, v67, v72
	v_mul_f32_e32 v64, v67, v76
	v_add_f32_e32 v70, v60, v57
	v_add_f32_e32 v49, v58, v49
	v_fma_f32 v66, v67, v75, -v59
	ds_load_2addr_b64 v[57:60], v78 offset0:128 offset1:160
	v_fmac_f32_e32 v63, v68, v71
	v_fmac_f32_e32 v64, v68, v75
	v_mul_f32_e32 v67, v52, v72
	v_mul_f32_e32 v72, v51, v72
	v_add_f32_e32 v15, v15, v66
	s_delay_alu instid0(VALU_DEP_4) | instskip(NEXT) | instid1(VALU_DEP_4)
	v_dual_add_f32 v73, v62, v63 :: v_dual_add_f32 v74, v61, v64
	v_fma_f32 v66, v51, v71, -v67
	s_delay_alu instid0(VALU_DEP_4)
	v_fmac_f32_e32 v72, v52, v71
	ds_load_b128 v[61:64], v42 offset:4320
	v_mul_f32_e32 v71, v52, v76
	v_dual_mul_f32 v76, v51, v76 :: v_dual_add_f32 v79, v65, v66
	ds_load_b128 v[65:68], v42 offset:240
	s_waitcnt lgkmcnt(3)
	v_mul_f32_e32 v80, v54, v1
	v_fma_f32 v51, v51, v75, -v71
	v_dual_fmac_f32 v76, v52, v75 :: v_dual_mul_f32 v71, v53, v1
	v_add_f32_e32 v81, v69, v72
	s_delay_alu instid0(VALU_DEP_4) | instskip(NEXT) | instid1(VALU_DEP_4)
	v_fma_f32 v52, v53, v0, -v80
	v_add_f32_e32 v50, v50, v51
	s_waitcnt lgkmcnt(2)
	v_mul_f32_e32 v51, v54, v58
	v_add_f32_e32 v75, v70, v76
	v_fmac_f32_e32 v71, v54, v0
	v_add_f32_e32 v76, v49, v52
	v_mul_f32_e32 v49, v53, v58
	v_fma_f32 v51, v53, v57, -v51
	s_delay_alu instid0(VALU_DEP_4)
	v_add_f32_e32 v80, v73, v71
	s_waitcnt lgkmcnt(1)
	v_mul_f32_e32 v52, v62, v1
	v_fmac_f32_e32 v49, v54, v57
	v_mul_f32_e32 v1, v61, v1
	v_add_f32_e32 v15, v15, v51
	v_mul_f32_e32 v51, v62, v58
	v_fma_f32 v52, v61, v0, -v52
	v_add_f32_e32 v53, v74, v49
	v_dual_fmac_f32 v1, v62, v0 :: v_dual_mul_f32 v0, v61, v58
	s_delay_alu instid0(VALU_DEP_4) | instskip(NEXT) | instid1(VALU_DEP_4)
	v_fma_f32 v49, v61, v57, -v51
	v_dual_mul_f32 v51, v56, v3 :: v_dual_add_f32 v54, v79, v52
	ds_load_b128 v[69:72], v42 offset:4336
	v_fmac_f32_e32 v0, v62, v57
	v_add_f32_e32 v57, v50, v49
	v_fma_f32 v61, v55, v2, -v51
	ds_load_2addr_b64 v[49:52], v77 offset0:192 offset1:224
	v_mul_f32_e32 v62, v56, v60
	v_add_f32_e32 v0, v75, v0
	v_dual_mul_f32 v58, v55, v3 :: v_dual_add_f32 v61, v76, v61
	ds_load_2addr_b64 v[73:76], v78 offset0:192 offset1:224
	v_mul_f32_e32 v77, v55, v60
	v_fma_f32 v55, v55, v59, -v62
	v_mul_f32_e32 v62, v64, v3
	v_mul_f32_e32 v3, v63, v3
	v_dual_add_f32 v1, v81, v1 :: v_dual_fmac_f32 v58, v56, v2
	v_fmac_f32_e32 v77, v56, v59
	v_add_f32_e32 v15, v15, v55
	v_fma_f32 v55, v63, v2, -v62
	v_mul_f32_e32 v56, v64, v60
	v_dual_fmac_f32 v3, v64, v2 :: v_dual_mul_f32 v60, v63, v60
	v_add_f32_e32 v58, v80, v58
	s_delay_alu instid0(VALU_DEP_4) | instskip(NEXT) | instid1(VALU_DEP_4)
	v_add_f32_e32 v2, v54, v55
	v_fma_f32 v54, v63, v59, -v56
	s_delay_alu instid0(VALU_DEP_4)
	v_add_f32_e32 v1, v1, v3
	s_waitcnt lgkmcnt(1)
	v_dual_mul_f32 v3, v65, v50 :: v_dual_fmac_f32 v60, v64, v59
	v_mul_f32_e32 v59, v70, v50
	v_add_f32_e32 v54, v57, v54
	s_waitcnt lgkmcnt(0)
	v_mul_f32_e32 v56, v66, v74
	v_fmac_f32_e32 v3, v66, v49
	v_mul_f32_e32 v57, v65, v74
	v_add_f32_e32 v53, v53, v77
	v_mul_f32_e32 v55, v66, v50
	v_fma_f32 v56, v65, v73, -v56
	v_add_f32_e32 v3, v58, v3
	v_dual_fmac_f32 v57, v66, v73 :: v_dual_mul_f32 v50, v69, v50
	v_fma_f32 v58, v69, v49, -v59
	v_fma_f32 v55, v65, v49, -v55
	v_dual_add_f32 v15, v15, v56 :: v_dual_mul_f32 v56, v70, v74
	s_delay_alu instid0(VALU_DEP_4)
	v_add_f32_e32 v53, v53, v57
	v_fmac_f32_e32 v50, v70, v49
	v_add_f32_e32 v2, v2, v58
	v_mul_f32_e32 v49, v69, v74
	v_mul_f32_e32 v57, v68, v52
	;; [unrolled: 1-line block ×3, first 2 shown]
	v_dual_add_f32 v0, v0, v60 :: v_dual_add_f32 v55, v61, v55
	v_fma_f32 v56, v69, v73, -v56
	v_add_f32_e32 v1, v1, v50
	v_fmac_f32_e32 v49, v70, v73
	v_fma_f32 v50, v67, v51, -v57
	v_fmac_f32_e32 v58, v68, v51
	v_mul_f32_e32 v57, v68, v76
	v_add_f32_e32 v56, v54, v56
	v_dual_mul_f32 v59, v67, v76 :: v_dual_add_f32 v0, v0, v49
	v_add_f32_e32 v54, v55, v50
	v_add_f32_e32 v55, v3, v58
	v_fma_f32 v3, v67, v75, -v57
	v_mul_f32_e32 v49, v72, v52
	v_mul_f32_e32 v57, v71, v52
	;; [unrolled: 1-line block ×3, first 2 shown]
	v_dual_mul_f32 v58, v71, v76 :: v_dual_fmac_f32 v59, v68, v75
	v_add_f32_e32 v52, v15, v3
	v_fma_f32 v3, v71, v51, -v49
	v_fmac_f32_e32 v57, v72, v51
	v_fma_f32 v15, v71, v75, -v50
	v_fmac_f32_e32 v58, v72, v75
	v_add_f32_e32 v53, v53, v59
	s_delay_alu instid0(VALU_DEP_4) | instskip(NEXT) | instid1(VALU_DEP_4)
	v_dual_add_f32 v50, v2, v3 :: v_dual_add_f32 v51, v1, v57
	v_add_f32_e32 v49, v56, v15
	s_delay_alu instid0(VALU_DEP_4)
	v_add_f32_e32 v15, v0, v58
	s_barrier
	buffer_gl0_inv
	s_cbranch_scc1 .LBB88_55
.LBB88_7:                               ;   Parent Loop BB88_4 Depth=1
                                        ; =>  This Inner Loop Header: Depth=2
	v_add_co_u32 v0, s5, v40, s16
	s_delay_alu instid0(VALU_DEP_1) | instskip(SKIP_1) | instid1(VALU_DEP_2)
	v_add_co_ci_u32_e64 v1, null, 0, s17, s5
	v_cmp_eq_u64_e64 s6, s[16:17], v[26:27]
	v_cmp_gt_i64_e64 s5, v[0:1], v[22:23]
	s_delay_alu instid0(VALU_DEP_2) | instskip(SKIP_1) | instid1(VALU_DEP_2)
	s_and_b32 s24, s43, s6
	v_cmp_le_i64_e64 s6, s[18:19], v[0:1]
	s_or_b32 s7, s3, s5
	s_delay_alu instid0(SALU_CYCLE_1) | instskip(SKIP_1) | instid1(VALU_DEP_1)
	s_or_b32 s8, s7, s24
	v_add_co_u32 v2, s7, v34, v28
	v_add_co_ci_u32_e64 v3, s7, v35, v29, s7
	s_delay_alu instid0(VALU_DEP_3) | instskip(NEXT) | instid1(SALU_CYCLE_1)
	s_or_b32 s7, s6, s8
	s_xor_b32 s7, s7, -1
	s_delay_alu instid0(SALU_CYCLE_1) | instskip(NEXT) | instid1(SALU_CYCLE_1)
	s_and_saveexec_b32 s8, s7
	s_xor_b32 s7, exec_lo, s8
	s_cbranch_execz .LBB88_9
; %bb.8:                                ;   in Loop: Header=BB88_7 Depth=2
	global_load_b64 v[56:57], v[2:3], off
	s_waitcnt vmcnt(0)
	ds_store_b64 v44, v[56:57]
.LBB88_9:                               ;   in Loop: Header=BB88_7 Depth=2
	s_or_saveexec_b32 s7, s7
	s_xor_b32 s21, s24, -1
	s_xor_b32 exec_lo, exec_lo, s7
	s_cbranch_execz .LBB88_15
; %bb.10:                               ;   in Loop: Header=BB88_7 Depth=2
	s_and_saveexec_b32 s8, s21
	s_delay_alu instid0(SALU_CYCLE_1)
	s_xor_b32 s8, exec_lo, s8
	s_cbranch_execz .LBB88_12
; %bb.11:                               ;   in Loop: Header=BB88_7 Depth=2
	v_mov_b32_e32 v56, v5
	v_mov_b32_e32 v57, v5
	ds_store_b64 v44, v[56:57]
.LBB88_12:                              ;   in Loop: Header=BB88_7 Depth=2
	s_and_not1_saveexec_b32 s8, s8
	s_cbranch_execz .LBB88_14
; %bb.13:                               ;   in Loop: Header=BB88_7 Depth=2
	ds_store_b64 v44, v[4:5]
.LBB88_14:                              ;   in Loop: Header=BB88_7 Depth=2
	s_or_b32 exec_lo, exec_lo, s8
.LBB88_15:                              ;   in Loop: Header=BB88_7 Depth=2
	s_delay_alu instid0(SALU_CYCLE_1) | instskip(SKIP_1) | instid1(VALU_DEP_1)
	s_or_b32 exec_lo, exec_lo, s7
	v_add_co_u32 v56, s7, v0, 16
	v_add_co_ci_u32_e64 v57, s7, 0, v1, s7
	v_cmp_eq_u64_e64 s8, s[16:17], v[32:33]
	s_delay_alu instid0(VALU_DEP_2) | instskip(SKIP_1) | instid1(VALU_DEP_3)
	v_cmp_gt_i64_e64 s9, v[56:57], v[22:23]
	v_cmp_le_i64_e64 s7, s[18:19], v[56:57]
	s_and_b32 s25, s43, s8
	s_delay_alu instid0(VALU_DEP_2) | instskip(NEXT) | instid1(SALU_CYCLE_1)
	s_or_b32 s8, s3, s9
	s_or_b32 s8, s8, s25
	s_delay_alu instid0(VALU_DEP_1) | instid1(SALU_CYCLE_1)
	s_or_b32 s8, s7, s8
	s_delay_alu instid0(SALU_CYCLE_1) | instskip(NEXT) | instid1(SALU_CYCLE_1)
	s_xor_b32 s8, s8, -1
	s_and_saveexec_b32 s9, s8
	s_delay_alu instid0(SALU_CYCLE_1)
	s_xor_b32 s9, exec_lo, s9
	s_cbranch_execz .LBB88_17
; %bb.16:                               ;   in Loop: Header=BB88_7 Depth=2
	v_add_co_u32 v56, s8, v36, v28
	s_delay_alu instid0(VALU_DEP_1)
	v_add_co_ci_u32_e64 v57, s8, v37, v29, s8
	global_load_b64 v[56:57], v[56:57], off
	s_waitcnt vmcnt(0)
	ds_store_b64 v44, v[56:57] offset:128
.LBB88_17:                              ;   in Loop: Header=BB88_7 Depth=2
	s_and_not1_saveexec_b32 s8, s9
	s_cbranch_execz .LBB88_23
; %bb.18:                               ;   in Loop: Header=BB88_7 Depth=2
	s_xor_b32 s9, s25, -1
	s_delay_alu instid0(SALU_CYCLE_1) | instskip(NEXT) | instid1(SALU_CYCLE_1)
	s_and_saveexec_b32 s25, s9
	s_xor_b32 s9, exec_lo, s25
	s_cbranch_execz .LBB88_20
; %bb.19:                               ;   in Loop: Header=BB88_7 Depth=2
	v_mov_b32_e32 v56, v5
	v_mov_b32_e32 v57, v5
	ds_store_b64 v44, v[56:57] offset:128
.LBB88_20:                              ;   in Loop: Header=BB88_7 Depth=2
	s_and_not1_saveexec_b32 s9, s9
	s_cbranch_execz .LBB88_22
; %bb.21:                               ;   in Loop: Header=BB88_7 Depth=2
	ds_store_b64 v44, v[4:5] offset:128
.LBB88_22:                              ;   in Loop: Header=BB88_7 Depth=2
	s_or_b32 exec_lo, exec_lo, s9
.LBB88_23:                              ;   in Loop: Header=BB88_7 Depth=2
	s_delay_alu instid0(SALU_CYCLE_1) | instskip(SKIP_2) | instid1(VALU_DEP_2)
	s_or_b32 exec_lo, exec_lo, s8
	v_cmp_eq_u64_e64 s8, s[16:17], v[30:31]
	v_cmp_gt_i64_e64 s9, v[0:1], v[24:25]
	s_and_b32 s8, s43, s8
	s_delay_alu instid0(VALU_DEP_1) | instskip(NEXT) | instid1(SALU_CYCLE_1)
	s_or_b32 s9, s4, s9
	s_or_b32 s9, s9, s8
	s_delay_alu instid0(SALU_CYCLE_1) | instskip(NEXT) | instid1(SALU_CYCLE_1)
	s_or_b32 s6, s6, s9
	s_xor_b32 s6, s6, -1
	s_delay_alu instid0(SALU_CYCLE_1) | instskip(NEXT) | instid1(SALU_CYCLE_1)
	s_and_saveexec_b32 s9, s6
	s_xor_b32 s6, exec_lo, s9
	s_cbranch_execz .LBB88_25
; %bb.24:                               ;   in Loop: Header=BB88_7 Depth=2
	global_load_b64 v[0:1], v[2:3], off offset:128
	s_waitcnt vmcnt(0)
	ds_store_b64 v44, v[0:1] offset:4096
.LBB88_25:                              ;   in Loop: Header=BB88_7 Depth=2
	s_and_not1_saveexec_b32 s6, s6
	s_cbranch_execz .LBB88_31
; %bb.26:                               ;   in Loop: Header=BB88_7 Depth=2
	s_xor_b32 s8, s8, -1
	s_delay_alu instid0(SALU_CYCLE_1) | instskip(NEXT) | instid1(SALU_CYCLE_1)
	s_and_saveexec_b32 s9, s8
	s_xor_b32 s8, exec_lo, s9
	s_cbranch_execz .LBB88_28
; %bb.27:                               ;   in Loop: Header=BB88_7 Depth=2
	v_mov_b32_e32 v0, v5
	v_mov_b32_e32 v1, v5
	ds_store_b64 v44, v[0:1] offset:4096
.LBB88_28:                              ;   in Loop: Header=BB88_7 Depth=2
	s_and_not1_saveexec_b32 s8, s8
	s_cbranch_execz .LBB88_30
; %bb.29:                               ;   in Loop: Header=BB88_7 Depth=2
	ds_store_b64 v44, v[4:5] offset:4096
.LBB88_30:                              ;   in Loop: Header=BB88_7 Depth=2
	s_or_b32 exec_lo, exec_lo, s8
.LBB88_31:                              ;   in Loop: Header=BB88_7 Depth=2
	s_delay_alu instid0(SALU_CYCLE_1) | instskip(SKIP_1) | instid1(SALU_CYCLE_1)
	s_or_b32 exec_lo, exec_lo, s6
	s_or_b32 s5, s4, s5
	s_or_b32 s5, s5, s24
	s_delay_alu instid0(SALU_CYCLE_1) | instskip(NEXT) | instid1(SALU_CYCLE_1)
	s_or_b32 s5, s7, s5
	s_xor_b32 s5, s5, -1
	s_delay_alu instid0(SALU_CYCLE_1) | instskip(NEXT) | instid1(SALU_CYCLE_1)
	s_and_saveexec_b32 s6, s5
	s_xor_b32 s6, exec_lo, s6
	s_cbranch_execz .LBB88_33
; %bb.32:                               ;   in Loop: Header=BB88_7 Depth=2
	v_add_co_u32 v0, s5, v36, v28
	s_delay_alu instid0(VALU_DEP_1)
	v_add_co_ci_u32_e64 v1, s5, v37, v29, s5
	global_load_b64 v[0:1], v[0:1], off offset:128
	s_waitcnt vmcnt(0)
	ds_store_b64 v44, v[0:1] offset:4224
.LBB88_33:                              ;   in Loop: Header=BB88_7 Depth=2
	s_and_not1_saveexec_b32 s5, s6
	s_cbranch_execz .LBB88_39
; %bb.34:                               ;   in Loop: Header=BB88_7 Depth=2
	s_and_saveexec_b32 s6, s21
	s_delay_alu instid0(SALU_CYCLE_1)
	s_xor_b32 s6, exec_lo, s6
	s_cbranch_execz .LBB88_36
; %bb.35:                               ;   in Loop: Header=BB88_7 Depth=2
	v_mov_b32_e32 v0, v5
	v_mov_b32_e32 v1, v5
	ds_store_b64 v44, v[0:1] offset:4224
.LBB88_36:                              ;   in Loop: Header=BB88_7 Depth=2
	s_and_not1_saveexec_b32 s6, s6
	s_cbranch_execz .LBB88_38
; %bb.37:                               ;   in Loop: Header=BB88_7 Depth=2
	ds_store_b64 v44, v[4:5] offset:4224
.LBB88_38:                              ;   in Loop: Header=BB88_7 Depth=2
	s_or_b32 exec_lo, exec_lo, s6
.LBB88_39:                              ;   in Loop: Header=BB88_7 Depth=2
	s_delay_alu instid0(SALU_CYCLE_1) | instskip(SKIP_1) | instid1(VALU_DEP_1)
	s_or_b32 exec_lo, exec_lo, s5
	v_add_co_u32 v0, s5, v41, s16
	v_add_co_ci_u32_e64 v1, null, 0, s17, s5
	v_add_co_u32 v2, s6, v38, v18
	s_delay_alu instid0(VALU_DEP_1) | instskip(NEXT) | instid1(VALU_DEP_3)
	v_add_co_ci_u32_e64 v3, s6, v39, v19, s6
	v_cmp_le_i64_e64 s5, s[18:19], v[0:1]
	s_delay_alu instid0(VALU_DEP_1) | instskip(NEXT) | instid1(SALU_CYCLE_1)
	s_or_b32 s6, s5, vcc_lo
	s_xor_b32 s6, s6, -1
	s_delay_alu instid0(SALU_CYCLE_1) | instskip(NEXT) | instid1(SALU_CYCLE_1)
	s_and_saveexec_b32 s7, s6
	s_xor_b32 s6, exec_lo, s7
	s_cbranch_execz .LBB88_41
; %bb.40:                               ;   in Loop: Header=BB88_7 Depth=2
	global_load_b64 v[56:57], v[2:3], off offset:-128
	s_waitcnt vmcnt(0)
	ds_store_b64 v45, v[56:57]
.LBB88_41:                              ;   in Loop: Header=BB88_7 Depth=2
	s_and_not1_saveexec_b32 s6, s6
	s_cbranch_execz .LBB88_43
; %bb.42:                               ;   in Loop: Header=BB88_7 Depth=2
	v_mov_b32_e32 v56, v5
	v_mov_b32_e32 v57, v5
	ds_store_b64 v45, v[56:57]
.LBB88_43:                              ;   in Loop: Header=BB88_7 Depth=2
	s_or_b32 exec_lo, exec_lo, s6
	s_or_b32 s5, s5, s0
	s_delay_alu instid0(SALU_CYCLE_1) | instskip(NEXT) | instid1(SALU_CYCLE_1)
	s_xor_b32 s5, s5, -1
	s_and_saveexec_b32 s6, s5
	s_delay_alu instid0(SALU_CYCLE_1)
	s_xor_b32 s5, exec_lo, s6
	s_cbranch_execz .LBB88_45
; %bb.44:                               ;   in Loop: Header=BB88_7 Depth=2
	global_load_b64 v[2:3], v[2:3], off
	s_waitcnt vmcnt(0)
	ds_store_b64 v45, v[2:3] offset:128
.LBB88_45:                              ;   in Loop: Header=BB88_7 Depth=2
	s_and_not1_saveexec_b32 s5, s5
	s_cbranch_execz .LBB88_47
; %bb.46:                               ;   in Loop: Header=BB88_7 Depth=2
	v_mov_b32_e32 v2, v5
	v_mov_b32_e32 v3, v5
	ds_store_b64 v45, v[2:3] offset:128
.LBB88_47:                              ;   in Loop: Header=BB88_7 Depth=2
	s_or_b32 exec_lo, exec_lo, s5
	v_cmp_le_i64_e64 s5, s[22:23], v[0:1]
	s_delay_alu instid0(VALU_DEP_1) | instskip(NEXT) | instid1(SALU_CYCLE_1)
	s_or_b32 s6, s5, vcc_lo
	s_xor_b32 s6, s6, -1
	s_delay_alu instid0(SALU_CYCLE_1) | instskip(NEXT) | instid1(SALU_CYCLE_1)
	s_and_saveexec_b32 s7, s6
	s_xor_b32 s7, exec_lo, s7
	s_cbranch_execz .LBB88_49
; %bb.48:                               ;   in Loop: Header=BB88_7 Depth=2
	v_add_co_u32 v0, s6, v38, v12
	s_delay_alu instid0(VALU_DEP_1)
	v_add_co_ci_u32_e64 v1, s6, v39, v13, s6
	global_load_b64 v[0:1], v[0:1], off offset:-128
	s_waitcnt vmcnt(0)
	ds_store_b64 v45, v[0:1] offset:4096
.LBB88_49:                              ;   in Loop: Header=BB88_7 Depth=2
	s_and_not1_saveexec_b32 s6, s7
	s_cbranch_execz .LBB88_51
; %bb.50:                               ;   in Loop: Header=BB88_7 Depth=2
	v_mov_b32_e32 v0, v5
	v_mov_b32_e32 v1, v5
	ds_store_b64 v45, v[0:1] offset:4096
.LBB88_51:                              ;   in Loop: Header=BB88_7 Depth=2
	s_or_b32 exec_lo, exec_lo, s6
	s_or_b32 s5, s5, s0
	s_delay_alu instid0(SALU_CYCLE_1) | instskip(NEXT) | instid1(SALU_CYCLE_1)
	s_xor_b32 s5, s5, -1
	s_and_saveexec_b32 s6, s5
	s_delay_alu instid0(SALU_CYCLE_1)
	s_xor_b32 s6, exec_lo, s6
	s_cbranch_execz .LBB88_53
; %bb.52:                               ;   in Loop: Header=BB88_7 Depth=2
	v_add_co_u32 v0, s5, v38, v12
	s_delay_alu instid0(VALU_DEP_1)
	v_add_co_ci_u32_e64 v1, s5, v39, v13, s5
	global_load_b64 v[0:1], v[0:1], off
	s_waitcnt vmcnt(0)
	ds_store_b64 v45, v[0:1] offset:4224
.LBB88_53:                              ;   in Loop: Header=BB88_7 Depth=2
	s_and_not1_saveexec_b32 s5, s6
	s_cbranch_execz .LBB88_6
; %bb.54:                               ;   in Loop: Header=BB88_7 Depth=2
	v_mov_b32_e32 v0, v5
	v_mov_b32_e32 v1, v5
	ds_store_b64 v45, v[0:1] offset:4224
	s_branch .LBB88_6
.LBB88_55:                              ;   in Loop: Header=BB88_4 Depth=1
	v_mul_lo_u32 v2, v23, s36
	v_mul_lo_u32 v3, v22, s37
	v_mad_u64_u32 v[0:1], null, v22, s36, 0
	v_cmp_gt_i32_e64 s3, s18, v22
	s_delay_alu instid0(VALU_DEP_2) | instskip(NEXT) | instid1(VALU_DEP_1)
	v_add3_u32 v1, v1, v3, v2
	v_lshlrev_b64 v[0:1], 3, v[0:1]
	s_delay_alu instid0(VALU_DEP_1) | instskip(NEXT) | instid1(VALU_DEP_1)
	v_add_co_u32 v0, s4, s38, v0
	v_add_co_ci_u32_e64 v1, s4, s39, v1, s4
	s_and_b32 s4, s1, s3
	s_delay_alu instid0(SALU_CYCLE_1)
	s_and_saveexec_b32 s5, s4
	s_cbranch_execz .LBB88_57
; %bb.56:                               ;   in Loop: Header=BB88_4 Depth=1
	v_add_co_u32 v2, s4, v0, v16
	s_delay_alu instid0(VALU_DEP_1) | instskip(SKIP_2) | instid1(VALU_DEP_1)
	v_add_co_ci_u32_e64 v3, s4, v1, v17, s4
	global_load_b64 v[23:24], v[2:3], off
	v_mul_f32_e32 v26, s34, v55
	v_dual_mul_f32 v25, s35, v55 :: v_dual_fmac_f32 v26, s35, v54
	s_delay_alu instid0(VALU_DEP_1) | instskip(SKIP_1) | instid1(VALU_DEP_1)
	v_fma_f32 v25, v54, s34, -v25
	s_waitcnt vmcnt(0)
	v_dual_add_f32 v23, v23, v25 :: v_dual_add_f32 v24, v24, v26
	global_store_b64 v[2:3], v[23:24], off
.LBB88_57:                              ;   in Loop: Header=BB88_4 Depth=1
	s_or_b32 exec_lo, exec_lo, s5
	s_and_b32 s3, s2, s3
	s_delay_alu instid0(SALU_CYCLE_1)
	s_and_saveexec_b32 s4, s3
	s_cbranch_execz .LBB88_59
; %bb.58:                               ;   in Loop: Header=BB88_4 Depth=1
	v_lshlrev_b64 v[2:3], 3, v[8:9]
	v_mul_f32_e32 v24, s34, v53
	s_delay_alu instid0(VALU_DEP_1) | instskip(NEXT) | instid1(VALU_DEP_3)
	v_dual_mul_f32 v23, s35, v53 :: v_dual_fmac_f32 v24, s35, v52
	v_add_co_u32 v0, s3, v0, v2
	s_delay_alu instid0(VALU_DEP_1) | instskip(NEXT) | instid1(VALU_DEP_3)
	v_add_co_ci_u32_e64 v1, s3, v1, v3, s3
	v_fma_f32 v23, v52, s34, -v23
	global_load_b64 v[2:3], v[0:1], off
	s_waitcnt vmcnt(0)
	v_dual_add_f32 v2, v2, v23 :: v_dual_add_f32 v3, v3, v24
	global_store_b64 v[0:1], v[2:3], off
.LBB88_59:                              ;   in Loop: Header=BB88_4 Depth=1
	s_or_b32 exec_lo, exec_lo, s4
	v_add_nc_u32_e32 v2, 16, v22
	s_delay_alu instid0(VALU_DEP_1) | instskip(SKIP_3) | instid1(VALU_DEP_4)
	v_ashrrev_i32_e32 v3, 31, v2
	v_mul_lo_u32 v22, v2, s37
	v_mad_u64_u32 v[0:1], null, v2, s36, 0
	v_cmp_gt_i32_e64 s3, s18, v2
	v_mul_lo_u32 v3, v3, s36
	s_delay_alu instid0(VALU_DEP_1) | instskip(NEXT) | instid1(VALU_DEP_1)
	v_add3_u32 v1, v1, v22, v3
	v_lshlrev_b64 v[0:1], 3, v[0:1]
	s_delay_alu instid0(VALU_DEP_1) | instskip(NEXT) | instid1(VALU_DEP_1)
	v_add_co_u32 v0, s4, s38, v0
	v_add_co_ci_u32_e64 v1, s4, s39, v1, s4
	s_and_b32 s4, s1, s3
	s_delay_alu instid0(SALU_CYCLE_1)
	s_and_saveexec_b32 s5, s4
	s_cbranch_execz .LBB88_61
; %bb.60:                               ;   in Loop: Header=BB88_4 Depth=1
	v_add_co_u32 v2, s4, v0, v16
	s_delay_alu instid0(VALU_DEP_1) | instskip(SKIP_2) | instid1(VALU_DEP_1)
	v_add_co_ci_u32_e64 v3, s4, v1, v17, s4
	global_load_b64 v[22:23], v[2:3], off
	v_mul_f32_e32 v25, s34, v51
	v_dual_mul_f32 v24, s35, v51 :: v_dual_fmac_f32 v25, s35, v50
	s_delay_alu instid0(VALU_DEP_1) | instskip(SKIP_1) | instid1(VALU_DEP_1)
	v_fma_f32 v24, v50, s34, -v24
	s_waitcnt vmcnt(0)
	v_dual_add_f32 v22, v22, v24 :: v_dual_add_f32 v23, v23, v25
	global_store_b64 v[2:3], v[22:23], off
.LBB88_61:                              ;   in Loop: Header=BB88_4 Depth=1
	s_or_b32 exec_lo, exec_lo, s5
	s_and_b32 s3, s2, s3
	s_delay_alu instid0(SALU_CYCLE_1)
	s_and_saveexec_b32 s4, s3
	s_cbranch_execz .LBB88_3
; %bb.62:                               ;   in Loop: Header=BB88_4 Depth=1
	v_lshlrev_b64 v[2:3], 3, v[8:9]
	v_mul_f32_e32 v22, s35, v15
	s_delay_alu instid0(VALU_DEP_2) | instskip(NEXT) | instid1(VALU_DEP_1)
	v_add_co_u32 v0, s3, v0, v2
	v_add_co_ci_u32_e64 v1, s3, v1, v3, s3
	global_load_b64 v[2:3], v[0:1], off
	v_mul_f32_e32 v15, s34, v15
	s_delay_alu instid0(VALU_DEP_1) | instskip(SKIP_2) | instid1(VALU_DEP_1)
	v_fmac_f32_e32 v15, s35, v49
	v_fma_f32 v22, v49, s34, -v22
	s_waitcnt vmcnt(0)
	v_dual_add_f32 v2, v2, v22 :: v_dual_add_f32 v3, v3, v15
	global_store_b64 v[0:1], v[2:3], off
	s_branch .LBB88_3
.LBB88_63:
	s_nop 0
	s_sendmsg sendmsg(MSG_DEALLOC_VGPRS)
	s_endpgm
	.section	.rodata,"a",@progbits
	.p2align	6, 0x0
	.amdhsa_kernel _ZL30rocblas_trmm_outofplace_kernelI19rocblas_complex_numIfELi32ELi2ELb0ELb0ELb1ELb0EPKS1_S2_S1_Ev17rocblas_diagonal_iiT6_lPT7_lllS7_lllPT8_llli
		.amdhsa_group_segment_fixed_size 16384
		.amdhsa_private_segment_fixed_size 0
		.amdhsa_kernarg_size 392
		.amdhsa_user_sgpr_count 13
		.amdhsa_user_sgpr_dispatch_ptr 0
		.amdhsa_user_sgpr_queue_ptr 0
		.amdhsa_user_sgpr_kernarg_segment_ptr 1
		.amdhsa_user_sgpr_dispatch_id 0
		.amdhsa_user_sgpr_private_segment_size 0
		.amdhsa_wavefront_size32 1
		.amdhsa_uses_dynamic_stack 0
		.amdhsa_enable_private_segment 0
		.amdhsa_system_sgpr_workgroup_id_x 1
		.amdhsa_system_sgpr_workgroup_id_y 1
		.amdhsa_system_sgpr_workgroup_id_z 1
		.amdhsa_system_sgpr_workgroup_info 0
		.amdhsa_system_vgpr_workitem_id 1
		.amdhsa_next_free_vgpr 90
		.amdhsa_next_free_sgpr 44
		.amdhsa_reserve_vcc 1
		.amdhsa_float_round_mode_32 0
		.amdhsa_float_round_mode_16_64 0
		.amdhsa_float_denorm_mode_32 3
		.amdhsa_float_denorm_mode_16_64 3
		.amdhsa_dx10_clamp 1
		.amdhsa_ieee_mode 1
		.amdhsa_fp16_overflow 0
		.amdhsa_workgroup_processor_mode 1
		.amdhsa_memory_ordered 1
		.amdhsa_forward_progress 0
		.amdhsa_shared_vgpr_count 0
		.amdhsa_exception_fp_ieee_invalid_op 0
		.amdhsa_exception_fp_denorm_src 0
		.amdhsa_exception_fp_ieee_div_zero 0
		.amdhsa_exception_fp_ieee_overflow 0
		.amdhsa_exception_fp_ieee_underflow 0
		.amdhsa_exception_fp_ieee_inexact 0
		.amdhsa_exception_int_div_zero 0
	.end_amdhsa_kernel
	.section	.text._ZL30rocblas_trmm_outofplace_kernelI19rocblas_complex_numIfELi32ELi2ELb0ELb0ELb1ELb0EPKS1_S2_S1_Ev17rocblas_diagonal_iiT6_lPT7_lllS7_lllPT8_llli,"axG",@progbits,_ZL30rocblas_trmm_outofplace_kernelI19rocblas_complex_numIfELi32ELi2ELb0ELb0ELb1ELb0EPKS1_S2_S1_Ev17rocblas_diagonal_iiT6_lPT7_lllS7_lllPT8_llli,comdat
.Lfunc_end88:
	.size	_ZL30rocblas_trmm_outofplace_kernelI19rocblas_complex_numIfELi32ELi2ELb0ELb0ELb1ELb0EPKS1_S2_S1_Ev17rocblas_diagonal_iiT6_lPT7_lllS7_lllPT8_llli, .Lfunc_end88-_ZL30rocblas_trmm_outofplace_kernelI19rocblas_complex_numIfELi32ELi2ELb0ELb0ELb1ELb0EPKS1_S2_S1_Ev17rocblas_diagonal_iiT6_lPT7_lllS7_lllPT8_llli
                                        ; -- End function
	.section	.AMDGPU.csdata,"",@progbits
; Kernel info:
; codeLenInByte = 7396
; NumSgprs: 46
; NumVgprs: 90
; ScratchSize: 0
; MemoryBound: 1
; FloatMode: 240
; IeeeMode: 1
; LDSByteSize: 16384 bytes/workgroup (compile time only)
; SGPRBlocks: 5
; VGPRBlocks: 11
; NumSGPRsForWavesPerEU: 46
; NumVGPRsForWavesPerEU: 90
; Occupancy: 16
; WaveLimiterHint : 0
; COMPUTE_PGM_RSRC2:SCRATCH_EN: 0
; COMPUTE_PGM_RSRC2:USER_SGPR: 13
; COMPUTE_PGM_RSRC2:TRAP_HANDLER: 0
; COMPUTE_PGM_RSRC2:TGID_X_EN: 1
; COMPUTE_PGM_RSRC2:TGID_Y_EN: 1
; COMPUTE_PGM_RSRC2:TGID_Z_EN: 1
; COMPUTE_PGM_RSRC2:TIDIG_COMP_CNT: 1
	.section	.text._ZL30rocblas_trmm_outofplace_kernelI19rocblas_complex_numIfELi32ELi2ELb0ELb0ELb1ELb0ES1_KS1_S1_Ev17rocblas_diagonal_iiT6_lPT7_lllS6_lllPT8_llli,"axG",@progbits,_ZL30rocblas_trmm_outofplace_kernelI19rocblas_complex_numIfELi32ELi2ELb0ELb0ELb1ELb0ES1_KS1_S1_Ev17rocblas_diagonal_iiT6_lPT7_lllS6_lllPT8_llli,comdat
	.globl	_ZL30rocblas_trmm_outofplace_kernelI19rocblas_complex_numIfELi32ELi2ELb0ELb0ELb1ELb0ES1_KS1_S1_Ev17rocblas_diagonal_iiT6_lPT7_lllS6_lllPT8_llli ; -- Begin function _ZL30rocblas_trmm_outofplace_kernelI19rocblas_complex_numIfELi32ELi2ELb0ELb0ELb1ELb0ES1_KS1_S1_Ev17rocblas_diagonal_iiT6_lPT7_lllS6_lllPT8_llli
	.p2align	8
	.type	_ZL30rocblas_trmm_outofplace_kernelI19rocblas_complex_numIfELi32ELi2ELb0ELb0ELb1ELb0ES1_KS1_S1_Ev17rocblas_diagonal_iiT6_lPT7_lllS6_lllPT8_llli,@function
_ZL30rocblas_trmm_outofplace_kernelI19rocblas_complex_numIfELi32ELi2ELb0ELb0ELb1ELb0ES1_KS1_S1_Ev17rocblas_diagonal_iiT6_lPT7_lllS6_lllPT8_llli: ; @_ZL30rocblas_trmm_outofplace_kernelI19rocblas_complex_numIfELi32ELi2ELb0ELb0ELb1ELb0ES1_KS1_S1_Ev17rocblas_diagonal_iiT6_lPT7_lllS6_lllPT8_llli
; %bb.0:
	s_clause 0x1
	s_load_b128 s[8:11], s[0:1], 0x0
	s_load_b32 s33, s[0:1], 0x10
	s_waitcnt lgkmcnt(0)
	s_or_b32 s2, s11, s33
	s_delay_alu instid0(SALU_CYCLE_1) | instskip(NEXT) | instid1(SALU_CYCLE_1)
	s_bitset0_b32 s2, 31
	s_cmp_eq_u32 s2, 0
	s_cbranch_scc1 .LBB89_63
; %bb.1:
	s_add_i32 s2, s10, -1
	s_delay_alu instid0(SALU_CYCLE_1) | instskip(NEXT) | instid1(SALU_CYCLE_1)
	s_ashr_i32 s3, s2, 31
	s_lshr_b32 s3, s3, 27
	s_delay_alu instid0(SALU_CYCLE_1) | instskip(NEXT) | instid1(SALU_CYCLE_1)
	s_add_i32 s2, s2, s3
	s_ashr_i32 s44, s2, 5
	s_delay_alu instid0(SALU_CYCLE_1)
	s_cmp_gt_i32 s14, s44
	s_cbranch_scc1 .LBB89_63
; %bb.2:
	s_clause 0x1
	s_load_b512 s[16:31], s[0:1], 0x20
	s_load_b256 s[36:43], s[0:1], 0x60
	v_dual_mov_b32 v5, 0 :: v_dual_and_b32 v40, 0x3ff, v0
	s_load_b32 s45, s[0:1], 0x8c
	v_bfe_u32 v41, v0, 10, 10
	s_delay_alu instid0(VALU_DEP_2) | instskip(SKIP_1) | instid1(VALU_DEP_3)
	v_lshlrev_b32_e32 v4, 3, v40
	v_lshl_add_u32 v0, s13, 5, v40
	v_lshl_add_u32 v19, v41, 3, 0x80
	;; [unrolled: 1-line block ×3, first 2 shown]
	s_delay_alu instid0(VALU_DEP_3)
	v_ashrrev_i32_e32 v1, 31, v0
	v_sub_co_u32 v8, vcc_lo, s9, v0
	s_waitcnt lgkmcnt(0)
	v_mad_u64_u32 v[2:3], null, v40, s20, 0
	s_mul_i32 s1, s15, s23
	s_mul_hi_u32 s2, s15, s22
	s_mul_i32 s0, s15, s22
	s_add_i32 s1, s2, s1
	s_mul_i32 s3, s15, s43
	s_lshl_b64 s[4:5], s[0:1], 3
	s_delay_alu instid0(VALU_DEP_1)
	v_mad_u64_u32 v[6:7], null, v40, s21, v[3:4]
	s_add_u32 s1, s16, s4
	s_addc_u32 s12, s17, s5
	s_lshl_b64 s[6:7], s[18:19], 3
	s_mul_hi_u32 s2, s15, s42
	s_add_u32 s34, s1, s6
	s_mul_i32 s0, s15, s42
	s_delay_alu instid0(VALU_DEP_1)
	v_mov_b32_e32 v3, v6
	s_addc_u32 s12, s12, s7
	s_add_i32 s1, s2, s3
	v_mad_u64_u32 v[12:13], null, s28, v19, 0
	s_lshl_b64 s[0:1], s[0:1], 3
	v_lshlrev_b64 v[2:3], 3, v[2:3]
	s_add_u32 s2, s36, s0
	s_addc_u32 s3, s37, s1
	s_lshl_b64 s[0:1], s[38:39], 3
	v_add_nc_u32_e32 v18, 0x80, v4
	s_add_u32 s36, s2, s0
	s_addc_u32 s37, s3, s1
	s_cmpk_eq_i32 s8, 0x84
	s_mul_i32 s3, s31, s15
	s_cselect_b32 s38, -1, 0
	s_ashr_i32 s0, s9, 31
	s_ashr_i32 s13, s10, 31
	v_sub_co_ci_u32_e32 v9, vcc_lo, s0, v1, vcc_lo
	v_add_co_u32 v6, vcc_lo, s34, v2
	v_add_co_ci_u32_e32 v7, vcc_lo, s12, v3, vcc_lo
	s_delay_alu instid0(VALU_DEP_3)
	v_cmp_gt_i64_e32 vcc_lo, 1, v[8:9]
	v_cmp_gt_i64_e64 s0, 17, v[8:9]
	v_add_nc_u32_e32 v8, 16, v0
	s_lshl_b64 s[18:19], s[20:21], 8
	s_lshl_b64 s[22:23], s[28:29], 8
	s_mul_hi_u32 s8, s30, s15
	s_add_u32 s34, s10, -16
	s_addc_u32 s35, s13, -1
	v_cmp_gt_i32_e64 s1, s9, v0
	v_cmp_gt_i32_e64 s2, s9, v8
	s_add_i32 s9, s8, s3
	s_mul_i32 s8, s30, s15
	s_lshl_b64 s[26:27], s[26:27], 3
	s_lshl_b64 s[8:9], s[8:9], 3
	s_lshl_b32 s15, s45, 5
	s_add_u32 s3, s8, s26
	v_mad_u64_u32 v[2:3], null, s28, v41, 0
	s_addc_u32 s8, s9, s27
	s_add_u32 s3, s24, s3
	s_addc_u32 s8, s25, s8
	s_add_u32 s6, s16, s6
	;; [unrolled: 2-line block ×3, first 2 shown]
	s_addc_u32 s5, s7, s5
	v_mad_u64_u32 v[15:16], null, s29, v41, v[3:4]
	v_mad_u64_u32 v[10:11], null, s20, v18, s[4:5]
	v_lshlrev_b32_e32 v42, 8, v41
	v_or_b32_e32 v44, 0x2000, v4
	v_add_nc_u32_e32 v46, 0x2080, v4
	v_lshlrev_b64 v[16:17], 3, v[0:1]
	v_mov_b32_e32 v3, v15
	v_dual_mov_b32 v4, v11 :: v_dual_add_nc_u32 v43, v42, v4
	v_mov_b32_e32 v11, v13
	v_sub_co_u32 v47, s4, 0, v40
	v_add_nc_u32_e32 v45, v44, v42
	v_ashrrev_i32_e32 v9, 31, v8
	s_delay_alu instid0(VALU_DEP_4) | instskip(SKIP_2) | instid1(VALU_DEP_2)
	v_mad_u64_u32 v[22:23], null, s29, v19, v[11:12]
	v_sub_co_ci_u32_e64 v48, null, 0, 0, s4
	s_mov_b32 s12, s10
	v_mov_b32_e32 v13, v22
	v_mad_u64_u32 v[0:1], null, s21, v18, v[4:5]
	v_add_co_u32 v1, s3, s3, v16
	s_delay_alu instid0(VALU_DEP_1) | instskip(SKIP_1) | instid1(VALU_DEP_3)
	v_add_co_ci_u32_e64 v4, s3, s8, v17, s3
	v_lshlrev_b64 v[18:19], 3, v[2:3]
	v_add_co_u32 v20, s3, 0x80, v1
	s_delay_alu instid0(VALU_DEP_1)
	v_add_co_ci_u32_e64 v21, s3, 0, v4, s3
	v_dual_mov_b32 v4, 1.0 :: v_dual_mov_b32 v11, v0
	s_branch .LBB89_4
.LBB89_3:                               ;   in Loop: Header=BB89_4 Depth=1
	s_or_b32 exec_lo, exec_lo, s4
	v_add_nc_u32_e32 v14, s15, v14
	s_add_i32 s14, s45, s14
	s_delay_alu instid0(SALU_CYCLE_1)
	s_cmp_le_i32 s14, s44
	s_cbranch_scc0 .LBB89_63
.LBB89_4:                               ; =>This Loop Header: Depth=1
                                        ;     Child Loop BB89_7 Depth 2
	s_lshl_b32 s20, s14, 5
	v_mov_b32_e32 v54, v5
	v_dual_mov_b32 v55, v5 :: v_dual_add_nc_u32 v22, s20, v41
	v_mov_b32_e32 v52, v5
	v_mov_b32_e32 v53, v5
	;; [unrolled: 1-line block ×3, first 2 shown]
	s_delay_alu instid0(VALU_DEP_4)
	v_ashrrev_i32_e32 v23, 31, v22
	v_mov_b32_e32 v51, v5
	v_mov_b32_e32 v49, v5
	;; [unrolled: 1-line block ×3, first 2 shown]
	s_cmp_lt_i32 s14, 0
	s_cbranch_scc1 .LBB89_55
; %bb.5:                                ;   in Loop: Header=BB89_4 Depth=1
	v_ashrrev_i32_e32 v15, 31, v14
	v_add_co_u32 v24, s3, v22, 16
	s_delay_alu instid0(VALU_DEP_1) | instskip(SKIP_1) | instid1(VALU_DEP_1)
	v_add_co_ci_u32_e64 v25, s3, 0, v23, s3
	v_add_co_u32 v26, s3, v47, v14
	v_add_co_ci_u32_e64 v27, s3, v48, v15, s3
	v_lshlrev_b64 v[28:29], 3, v[14:15]
	s_delay_alu instid0(VALU_DEP_3) | instskip(NEXT) | instid1(VALU_DEP_1)
	v_add_co_u32 v30, s5, v26, 16
	v_add_co_ci_u32_e64 v31, s5, 0, v27, s5
	v_add_co_u32 v32, s5, v26, -16
	v_cmp_le_i64_e64 s4, s[12:13], v[24:25]
	v_mov_b32_e32 v35, v7
	v_mov_b32_e32 v37, v11
	v_dual_mov_b32 v39, v21 :: v_dual_mov_b32 v50, 0
	v_cmp_le_i32_e64 s3, s10, v22
	v_add_co_ci_u32_e64 v33, s5, -1, v27, s5
	v_dual_mov_b32 v15, 0 :: v_dual_mov_b32 v34, v6
	v_mov_b32_e32 v36, v10
	v_dual_mov_b32 v38, v20 :: v_dual_mov_b32 v49, 0
	v_dual_mov_b32 v52, 0 :: v_dual_mov_b32 v51, 0
	;; [unrolled: 1-line block ×3, first 2 shown]
	v_mov_b32_e32 v55, 0
	s_mov_b64 s[16:17], 0
	s_branch .LBB89_7
.LBB89_6:                               ;   in Loop: Header=BB89_7 Depth=2
	s_or_b32 exec_lo, exec_lo, s5
	s_waitcnt lgkmcnt(0)
	s_waitcnt_vscnt null, 0x0
	s_barrier
	buffer_gl0_inv
	ds_load_2addr_b64 v[56:59], v44 offset1:32
	ds_load_b128 v[60:63], v42
	ds_load_2addr_b64 v[64:67], v46 offset1:32
	ds_load_b128 v[68:71], v42 offset:4096
	ds_load_b128 v[72:75], v42 offset:16
	;; [unrolled: 1-line block ×5, first 2 shown]
	v_add_co_u32 v38, s5, v38, s22
	s_delay_alu instid0(VALU_DEP_1) | instskip(SKIP_1) | instid1(VALU_DEP_1)
	v_add_co_ci_u32_e64 v39, s5, s23, v39, s5
	v_add_co_u32 v36, s5, v36, s18
	v_add_co_ci_u32_e64 v37, s5, s19, v37, s5
	v_add_co_u32 v34, s5, v34, s18
	s_add_u32 s16, s16, 32
	v_add_co_ci_u32_e64 v35, s5, s19, v35, s5
	s_waitcnt lgkmcnt(6)
	v_mul_f32_e32 v84, v61, v57
	s_waitcnt lgkmcnt(5)
	v_mul_f32_e32 v86, v61, v65
	v_mul_f32_e32 v87, v60, v65
	s_waitcnt lgkmcnt(4)
	v_mul_f32_e32 v89, v69, v65
	v_mul_f32_e32 v65, v68, v65
	;; [unrolled: 1-line block ×3, first 2 shown]
	s_addc_u32 s17, s17, 0
	s_sub_i32 s6, s16, 32
	s_delay_alu instid0(VALU_DEP_2) | instskip(SKIP_1) | instid1(VALU_DEP_1)
	v_fmac_f32_e32 v65, v69, v64
	s_cmp_ge_i32 s6, s20
	v_add_f32_e32 v15, v15, v65
	v_mul_f32_e32 v65, v63, v67
	v_fma_f32 v84, v60, v56, -v84
	s_delay_alu instid0(VALU_DEP_1) | instskip(NEXT) | instid1(VALU_DEP_1)
	v_dual_mul_f32 v85, v60, v57 :: v_dual_add_f32 v54, v54, v84
	v_fmac_f32_e32 v85, v61, v56
	v_fmac_f32_e32 v87, v61, v64
	v_mul_f32_e32 v57, v68, v57
	v_fma_f32 v61, v68, v56, -v88
	s_delay_alu instid0(VALU_DEP_3) | instskip(SKIP_3) | instid1(VALU_DEP_2)
	v_add_f32_e32 v84, v53, v87
	v_mul_f32_e32 v87, v71, v59
	v_fma_f32 v60, v60, v64, -v86
	v_dual_fmac_f32 v57, v69, v56 :: v_dual_mul_f32 v86, v62, v67
	v_add_f32_e32 v60, v52, v60
	v_fma_f32 v56, v68, v64, -v89
	v_mul_f32_e32 v64, v62, v59
	s_delay_alu instid0(VALU_DEP_2) | instskip(NEXT) | instid1(VALU_DEP_2)
	v_dual_fmac_f32 v86, v63, v66 :: v_dual_add_f32 v69, v49, v56
	v_fmac_f32_e32 v64, v63, v58
	v_add_f32_e32 v68, v55, v85
	v_dual_add_f32 v61, v50, v61 :: v_dual_mul_f32 v50, v63, v59
	v_mul_f32_e32 v59, v70, v59
	v_fma_f32 v63, v70, v58, -v87
	s_delay_alu instid0(VALU_DEP_4) | instskip(NEXT) | instid1(VALU_DEP_4)
	v_add_f32_e32 v64, v68, v64
	v_fma_f32 v53, v62, v58, -v50
	v_fma_f32 v62, v62, v66, -v65
	v_add_f32_e32 v57, v51, v57
	ds_load_2addr_b64 v[49:52], v44 offset0:64 offset1:96
	v_dual_fmac_f32 v59, v71, v58 :: v_dual_add_f32 v58, v61, v63
	v_add_f32_e32 v60, v60, v62
	v_mul_f32_e32 v62, v71, v67
	s_delay_alu instid0(VALU_DEP_3) | instskip(NEXT) | instid1(VALU_DEP_2)
	v_add_f32_e32 v57, v57, v59
	v_fma_f32 v62, v70, v66, -v62
	v_add_f32_e32 v85, v54, v53
	ds_load_2addr_b64 v[53:56], v46 offset0:64 offset1:96
	v_dual_mul_f32 v61, v70, v67 :: v_dual_add_f32 v62, v69, v62
	s_delay_alu instid0(VALU_DEP_1) | instskip(SKIP_3) | instid1(VALU_DEP_2)
	v_fmac_f32_e32 v61, v71, v66
	s_waitcnt lgkmcnt(1)
	v_dual_mul_f32 v59, v72, v50 :: v_dual_mul_f32 v68, v83, v52
	s_waitcnt lgkmcnt(0)
	v_dual_add_f32 v15, v15, v61 :: v_dual_mul_f32 v66, v73, v54
	v_mul_f32_e32 v61, v72, v54
	s_delay_alu instid0(VALU_DEP_2) | instskip(NEXT) | instid1(VALU_DEP_1)
	v_fma_f32 v66, v72, v53, -v66
	v_dual_fmac_f32 v59, v73, v49 :: v_dual_add_f32 v66, v60, v66
	s_delay_alu instid0(VALU_DEP_1) | instskip(SKIP_2) | instid1(VALU_DEP_2)
	v_add_f32_e32 v67, v64, v59
	v_mul_f32_e32 v59, v81, v50
	v_mul_f32_e32 v60, v81, v54
	v_fma_f32 v59, v80, v49, -v59
	v_mul_f32_e32 v63, v73, v50
	v_mul_f32_e32 v50, v80, v50
	s_delay_alu instid0(VALU_DEP_3) | instskip(NEXT) | instid1(VALU_DEP_3)
	v_dual_add_f32 v65, v84, v86 :: v_dual_add_f32 v70, v58, v59
	v_fma_f32 v63, v72, v49, -v63
	s_delay_alu instid0(VALU_DEP_3) | instskip(SKIP_1) | instid1(VALU_DEP_3)
	v_dual_fmac_f32 v50, v81, v49 :: v_dual_mul_f32 v49, v80, v54
	v_fma_f32 v54, v80, v53, -v60
	v_dual_mul_f32 v58, v75, v52 :: v_dual_add_f32 v63, v85, v63
	s_delay_alu instid0(VALU_DEP_3)
	v_add_f32_e32 v50, v57, v50
	v_fmac_f32_e32 v61, v73, v53
	v_fmac_f32_e32 v49, v81, v53
	v_add_f32_e32 v53, v62, v54
	v_mul_f32_e32 v54, v74, v52
	v_mul_f32_e32 v62, v75, v56
	v_fma_f32 v73, v82, v51, -v68
	v_mul_f32_e32 v52, v82, v52
	s_delay_alu instid0(VALU_DEP_4) | instskip(NEXT) | instid1(VALU_DEP_2)
	v_fmac_f32_e32 v54, v75, v51
	v_fmac_f32_e32 v52, v83, v51
	s_delay_alu instid0(VALU_DEP_2)
	v_dual_add_f32 v54, v67, v54 :: v_dual_add_f32 v69, v65, v61
	v_fma_f32 v61, v74, v51, -v58
	ds_load_2addr_b64 v[57:60], v44 offset0:128 offset1:160
	v_add_f32_e32 v15, v15, v49
	v_fma_f32 v65, v74, v55, -v62
	v_mul_f32_e32 v51, v82, v56
	v_add_f32_e32 v49, v63, v61
	v_mul_f32_e32 v71, v74, v56
	ds_load_2addr_b64 v[61:64], v46 offset0:128 offset1:160
	v_add_f32_e32 v72, v66, v65
	ds_load_b128 v[65:68], v42 offset:4128
	v_fmac_f32_e32 v51, v83, v55
	v_fmac_f32_e32 v71, v75, v55
	s_delay_alu instid0(VALU_DEP_1) | instskip(SKIP_3) | instid1(VALU_DEP_2)
	v_add_f32_e32 v69, v69, v71
	v_dual_mul_f32 v71, v83, v56 :: v_dual_add_f32 v56, v70, v73
	s_waitcnt lgkmcnt(2)
	v_mul_f32_e32 v70, v77, v58
	v_fma_f32 v71, v82, v55, -v71
	v_add_f32_e32 v15, v15, v51
	s_delay_alu instid0(VALU_DEP_2)
	v_add_f32_e32 v53, v53, v71
	v_add_f32_e32 v73, v50, v52
	v_fma_f32 v50, v76, v57, -v70
	s_waitcnt lgkmcnt(1)
	v_mul_f32_e32 v52, v77, v62
	v_mul_f32_e32 v71, v76, v62
	s_delay_alu instid0(VALU_DEP_3) | instskip(NEXT) | instid1(VALU_DEP_3)
	v_add_f32_e32 v70, v49, v50
	v_fma_f32 v74, v76, v61, -v52
	ds_load_b128 v[49:52], v42 offset:4144
	v_mul_f32_e32 v55, v76, v58
	s_waitcnt lgkmcnt(1)
	v_mul_f32_e32 v75, v66, v58
	v_fmac_f32_e32 v71, v77, v61
	s_delay_alu instid0(VALU_DEP_3) | instskip(NEXT) | instid1(VALU_DEP_1)
	v_fmac_f32_e32 v55, v77, v57
	v_dual_mul_f32 v77, v68, v60 :: v_dual_add_f32 v76, v54, v55
	v_mul_f32_e32 v54, v65, v58
	v_add_f32_e32 v58, v72, v74
	v_fma_f32 v55, v65, v57, -v75
	v_mul_f32_e32 v72, v66, v62
	v_add_f32_e32 v74, v69, v71
	v_dual_fmac_f32 v54, v66, v57 :: v_dual_mul_f32 v57, v65, v62
	s_delay_alu instid0(VALU_DEP_4) | instskip(NEXT) | instid1(VALU_DEP_4)
	v_add_f32_e32 v62, v56, v55
	v_fma_f32 v55, v65, v61, -v72
	s_delay_alu instid0(VALU_DEP_3) | instskip(NEXT) | instid1(VALU_DEP_2)
	v_dual_mul_f32 v56, v79, v60 :: v_dual_fmac_f32 v57, v66, v61
	v_dual_mul_f32 v61, v78, v60 :: v_dual_add_f32 v66, v53, v55
	s_delay_alu instid0(VALU_DEP_2) | instskip(SKIP_1) | instid1(VALU_DEP_3)
	v_fma_f32 v69, v78, v59, -v56
	v_mul_f32_e32 v60, v67, v60
	v_fmac_f32_e32 v61, v79, v59
	s_delay_alu instid0(VALU_DEP_2) | instskip(NEXT) | instid1(VALU_DEP_2)
	v_fmac_f32_e32 v60, v68, v59
	v_add_f32_e32 v61, v76, v61
	v_fma_f32 v76, v67, v59, -v77
	s_delay_alu instid0(VALU_DEP_1)
	v_add_f32_e32 v59, v62, v76
	v_add_f32_e32 v65, v73, v54
	;; [unrolled: 1-line block ×3, first 2 shown]
	ds_load_2addr_b64 v[69:72], v46 offset0:192 offset1:224
	ds_load_2addr_b64 v[53:56], v44 offset0:192 offset1:224
	v_mul_f32_e32 v62, v67, v64
	v_dual_add_f32 v15, v15, v57 :: v_dual_add_f32 v60, v65, v60
	v_mul_f32_e32 v57, v79, v64
	s_delay_alu instid0(VALU_DEP_3) | instskip(NEXT) | instid1(VALU_DEP_1)
	v_dual_mul_f32 v75, v78, v64 :: v_dual_fmac_f32 v62, v68, v63
	v_fmac_f32_e32 v75, v79, v63
	s_delay_alu instid0(VALU_DEP_2)
	v_add_f32_e32 v15, v15, v62
	s_waitcnt lgkmcnt(1)
	v_mul_f32_e32 v62, v0, v70
	v_fma_f32 v57, v78, v63, -v57
	s_waitcnt lgkmcnt(0)
	v_mul_f32_e32 v65, v0, v54
	v_add_nc_u32_e32 v78, 0x800, v46
	v_mul_f32_e32 v76, v52, v72
	v_fmac_f32_e32 v62, v1, v69
	v_dual_add_f32 v57, v58, v57 :: v_dual_mul_f32 v58, v68, v64
	v_mul_f32_e32 v64, v1, v54
	v_fmac_f32_e32 v65, v1, v53
	s_delay_alu instid0(VALU_DEP_3) | instskip(NEXT) | instid1(VALU_DEP_3)
	v_fma_f32 v58, v67, v63, -v58
	v_fma_f32 v63, v0, v53, -v64
	v_mul_f32_e32 v64, v1, v70
	v_mul_f32_e32 v1, v49, v54
	s_delay_alu instid0(VALU_DEP_4) | instskip(NEXT) | instid1(VALU_DEP_3)
	v_add_f32_e32 v58, v66, v58
	v_fma_f32 v0, v0, v69, -v64
	s_delay_alu instid0(VALU_DEP_1) | instskip(SKIP_4) | instid1(VALU_DEP_2)
	v_add_f32_e32 v0, v57, v0
	v_add_f32_e32 v66, v73, v63
	;; [unrolled: 1-line block ×3, first 2 shown]
	v_mul_f32_e32 v61, v50, v54
	v_dual_mul_f32 v54, v50, v70 :: v_dual_mul_f32 v65, v3, v72
	v_fma_f32 v57, v49, v53, -v61
	v_dual_mul_f32 v61, v49, v70 :: v_dual_mul_f32 v70, v2, v72
	v_mul_f32_e32 v72, v51, v72
	s_delay_alu instid0(VALU_DEP_4) | instskip(NEXT) | instid1(VALU_DEP_3)
	v_fma_f32 v49, v49, v69, -v54
	v_dual_fmac_f32 v61, v50, v69 :: v_dual_fmac_f32 v70, v3, v71
	s_delay_alu instid0(VALU_DEP_3) | instskip(NEXT) | instid1(VALU_DEP_3)
	v_dual_fmac_f32 v72, v52, v71 :: v_dual_fmac_f32 v1, v50, v53
	v_add_f32_e32 v49, v58, v49
	v_add_f32_e32 v54, v59, v57
	s_delay_alu instid0(VALU_DEP_3) | instskip(SKIP_1) | instid1(VALU_DEP_2)
	v_dual_add_f32 v50, v60, v1 :: v_dual_mul_f32 v1, v3, v56
	v_add_f32_e32 v74, v74, v75
	v_fma_f32 v1, v2, v55, -v1
	s_delay_alu instid0(VALU_DEP_2) | instskip(NEXT) | instid1(VALU_DEP_2)
	v_add_f32_e32 v53, v74, v62
	v_dual_add_f32 v74, v66, v1 :: v_dual_add_nc_u32 v77, 0x800, v44
	v_add_f32_e32 v15, v15, v61
	ds_load_2addr_b64 v[57:60], v77 offset1:32
	ds_load_b128 v[61:64], v42 offset:64
	v_fma_f32 v1, v2, v71, -v65
	ds_load_2addr_b64 v[65:68], v78 offset1:32
	v_mul_f32_e32 v69, v2, v56
	v_add_f32_e32 v15, v15, v72
	v_mul_f32_e32 v2, v52, v56
	s_waitcnt lgkmcnt(1)
	v_dual_add_f32 v75, v0, v1 :: v_dual_mul_f32 v80, v62, v58
	s_waitcnt lgkmcnt(0)
	v_mul_f32_e32 v72, v61, v66
	s_delay_alu instid0(VALU_DEP_1) | instskip(NEXT) | instid1(VALU_DEP_1)
	v_dual_fmac_f32 v72, v62, v65 :: v_dual_fmac_f32 v69, v3, v55
	v_add_f32_e32 v69, v73, v69
	v_mul_f32_e32 v73, v51, v56
	v_fma_f32 v56, v51, v55, -v2
	ds_load_b128 v[0:3], v42 offset:4160
	v_fma_f32 v51, v51, v71, -v76
	v_fmac_f32_e32 v73, v52, v55
	s_delay_alu instid0(VALU_DEP_2)
	v_dual_add_f32 v79, v54, v56 :: v_dual_add_f32 v76, v49, v51
	v_add_f32_e32 v70, v53, v70
	ds_load_b128 v[53:56], v42 offset:80
	v_add_f32_e32 v73, v50, v73
	v_mul_f32_e32 v71, v61, v58
	v_fma_f32 v50, v61, v57, -v80
	v_mul_f32_e32 v49, v62, v66
	s_delay_alu instid0(VALU_DEP_3) | instskip(NEXT) | instid1(VALU_DEP_3)
	v_fmac_f32_e32 v71, v62, v57
	v_add_f32_e32 v74, v74, v50
	s_waitcnt lgkmcnt(1)
	v_mul_f32_e32 v80, v1, v58
	v_mul_f32_e32 v58, v0, v58
	s_delay_alu instid0(VALU_DEP_2) | instskip(SKIP_1) | instid1(VALU_DEP_3)
	v_fma_f32 v62, v0, v57, -v80
	v_add_f32_e32 v80, v70, v72
	v_dual_fmac_f32 v58, v1, v57 :: v_dual_mul_f32 v57, v0, v66
	s_delay_alu instid0(VALU_DEP_3) | instskip(SKIP_1) | instid1(VALU_DEP_3)
	v_dual_add_f32 v62, v79, v62 :: v_dual_add_f32 v81, v69, v71
	v_dual_mul_f32 v69, v1, v66 :: v_dual_mul_f32 v66, v64, v60
	v_dual_mul_f32 v79, v3, v60 :: v_dual_add_f32 v58, v73, v58
	s_delay_alu instid0(VALU_DEP_2) | instskip(SKIP_4) | instid1(VALU_DEP_1)
	v_fma_f32 v0, v0, v65, -v69
	ds_load_2addr_b64 v[69:72], v77 offset0:64 offset1:96
	v_dual_add_f32 v0, v76, v0 :: v_dual_fmac_f32 v57, v1, v65
	v_mul_f32_e32 v1, v63, v60
	v_mul_f32_e32 v60, v2, v60
	v_fmac_f32_e32 v60, v3, v59
	v_fma_f32 v61, v61, v65, -v49
	v_fma_f32 v65, v63, v59, -v66
	v_mul_f32_e32 v66, v63, v68
	ds_load_b128 v[49:52], v42 offset:4176
	v_dual_add_f32 v58, v58, v60 :: v_dual_add_f32 v61, v75, v61
	v_add_f32_e32 v65, v74, v65
	ds_load_2addr_b64 v[73:76], v78 offset0:64 offset1:96
	s_waitcnt lgkmcnt(2)
	v_dual_mul_f32 v60, v53, v70 :: v_dual_add_f32 v15, v15, v57
	v_mul_f32_e32 v57, v64, v68
	v_fmac_f32_e32 v1, v64, v59
	v_fmac_f32_e32 v66, v64, v67
	s_delay_alu instid0(VALU_DEP_4) | instskip(NEXT) | instid1(VALU_DEP_4)
	v_fmac_f32_e32 v60, v54, v69
	v_fma_f32 v57, v63, v67, -v57
	v_fma_f32 v63, v2, v59, -v79
	s_delay_alu instid0(VALU_DEP_2) | instskip(SKIP_1) | instid1(VALU_DEP_3)
	v_dual_add_f32 v64, v80, v66 :: v_dual_add_f32 v57, v61, v57
	v_mul_f32_e32 v61, v3, v68
	v_add_f32_e32 v59, v62, v63
	v_mul_f32_e32 v62, v2, v68
	s_delay_alu instid0(VALU_DEP_3) | instskip(NEXT) | instid1(VALU_DEP_2)
	v_fma_f32 v2, v2, v67, -v61
	v_dual_mul_f32 v61, v54, v70 :: v_dual_fmac_f32 v62, v3, v67
	s_waitcnt lgkmcnt(0)
	v_mul_f32_e32 v3, v54, v74
	s_delay_alu instid0(VALU_DEP_3) | instskip(NEXT) | instid1(VALU_DEP_3)
	v_dual_mul_f32 v67, v55, v72 :: v_dual_add_f32 v0, v0, v2
	v_fma_f32 v2, v53, v69, -v61
	v_mul_f32_e32 v61, v53, v74
	v_add_f32_e32 v15, v15, v62
	s_delay_alu instid0(VALU_DEP_4) | instskip(NEXT) | instid1(VALU_DEP_4)
	v_dual_mul_f32 v68, v55, v76 :: v_dual_fmac_f32 v67, v56, v71
	v_add_f32_e32 v62, v65, v2
	v_fma_f32 v2, v53, v73, -v3
	v_fmac_f32_e32 v61, v54, v73
	v_mul_f32_e32 v3, v49, v70
	v_mul_f32_e32 v63, v56, v76
	v_fmac_f32_e32 v68, v56, v75
	v_add_f32_e32 v54, v57, v2
	v_dual_mul_f32 v2, v50, v74 :: v_dual_add_f32 v1, v81, v1
	v_add_f32_e32 v65, v64, v61
	v_mul_f32_e32 v61, v49, v74
	v_fmac_f32_e32 v3, v50, v69
	s_delay_alu instid0(VALU_DEP_4) | instskip(SKIP_2) | instid1(VALU_DEP_3)
	v_fma_f32 v2, v49, v73, -v2
	v_add_f32_e32 v53, v1, v60
	v_dual_mul_f32 v1, v50, v70 :: v_dual_mul_f32 v70, v52, v72
	v_dual_fmac_f32 v61, v50, v73 :: v_dual_add_f32 v50, v0, v2
	s_delay_alu instid0(VALU_DEP_3) | instskip(NEXT) | instid1(VALU_DEP_3)
	v_add_f32_e32 v73, v53, v67
	v_fma_f32 v1, v49, v69, -v1
	v_mul_f32_e32 v49, v56, v72
	v_mul_f32_e32 v72, v51, v72
	v_fma_f32 v67, v51, v71, -v70
	s_delay_alu instid0(VALU_DEP_4) | instskip(NEXT) | instid1(VALU_DEP_4)
	v_add_f32_e32 v66, v59, v1
	v_fma_f32 v49, v55, v71, -v49
	s_delay_alu instid0(VALU_DEP_4)
	v_fmac_f32_e32 v72, v52, v71
	v_mul_f32_e32 v71, v52, v76
	v_mul_f32_e32 v76, v51, v76
	v_fma_f32 v55, v55, v75, -v63
	v_add_f32_e32 v79, v66, v67
	v_add_f32_e32 v69, v58, v3
	ds_load_2addr_b64 v[0:3], v77 offset0:128 offset1:160
	ds_load_b128 v[57:60], v42 offset:96
	v_dual_add_f32 v49, v62, v49 :: v_dual_fmac_f32 v76, v52, v75
	v_add_f32_e32 v15, v15, v61
	ds_load_2addr_b64 v[61:64], v78 offset0:128 offset1:160
	v_add_f32_e32 v74, v54, v55
	ds_load_b128 v[53:56], v42 offset:4192
	v_fma_f32 v51, v51, v75, -v71
	s_delay_alu instid0(VALU_DEP_1)
	v_dual_add_f32 v69, v69, v72 :: v_dual_add_f32 v72, v50, v51
	s_waitcnt lgkmcnt(2)
	v_mul_f32_e32 v80, v58, v1
	s_waitcnt lgkmcnt(1)
	v_mul_f32_e32 v50, v58, v62
	v_add_f32_e32 v70, v65, v68
	ds_load_b128 v[65:68], v42 offset:112
	v_mul_f32_e32 v71, v57, v1
	v_fma_f32 v52, v57, v0, -v80
	v_dual_add_f32 v15, v15, v76 :: v_dual_mul_f32 v76, v57, v62
	s_waitcnt lgkmcnt(1)
	v_mul_f32_e32 v80, v54, v1
	v_fmac_f32_e32 v71, v58, v0
	v_mul_f32_e32 v1, v53, v1
	v_fma_f32 v57, v57, v61, -v50
	v_fmac_f32_e32 v76, v58, v61
	v_fma_f32 v58, v53, v0, -v80
	v_add_f32_e32 v81, v73, v71
	v_mul_f32_e32 v71, v54, v62
	v_dual_fmac_f32 v1, v54, v0 :: v_dual_mul_f32 v0, v53, v62
	v_mul_f32_e32 v62, v60, v3
	v_add_f32_e32 v80, v70, v76
	s_delay_alu instid0(VALU_DEP_4) | instskip(SKIP_3) | instid1(VALU_DEP_4)
	v_fma_f32 v53, v53, v61, -v71
	v_add_f32_e32 v58, v79, v58
	v_fmac_f32_e32 v0, v54, v61
	v_fma_f32 v61, v59, v2, -v62
	v_dual_mul_f32 v62, v59, v64 :: v_dual_add_f32 v53, v72, v53
	v_mul_f32_e32 v54, v59, v3
	s_delay_alu instid0(VALU_DEP_4) | instskip(NEXT) | instid1(VALU_DEP_3)
	v_add_f32_e32 v0, v15, v0
	v_dual_fmac_f32 v62, v60, v63 :: v_dual_add_f32 v1, v69, v1
	ds_load_2addr_b64 v[69:72], v77 offset0:192 offset1:224
	v_add_f32_e32 v75, v49, v52
	ds_load_b128 v[49:52], v42 offset:4208
	v_mul_f32_e32 v77, v56, v3
	v_dual_mul_f32 v3, v55, v3 :: v_dual_fmac_f32 v54, v60, v2
	v_add_f32_e32 v61, v75, v61
	v_add_f32_e32 v57, v74, v57
	ds_load_2addr_b64 v[73:76], v78 offset0:192 offset1:224
	v_mul_f32_e32 v15, v60, v64
	v_fmac_f32_e32 v3, v56, v2
	v_add_f32_e32 v60, v80, v62
	v_add_nc_u32_e32 v78, 0x1000, v46
	s_delay_alu instid0(VALU_DEP_4) | instskip(SKIP_2) | instid1(VALU_DEP_3)
	v_fma_f32 v15, v59, v63, -v15
	v_fma_f32 v59, v55, v2, -v77
	v_add_nc_u32_e32 v77, 0x1000, v44
	v_add_f32_e32 v15, v57, v15
	s_delay_alu instid0(VALU_DEP_3) | instskip(SKIP_1) | instid1(VALU_DEP_2)
	v_dual_mul_f32 v57, v56, v64 :: v_dual_add_f32 v2, v58, v59
	v_mul_f32_e32 v58, v55, v64
	v_fma_f32 v55, v55, v63, -v57
	s_waitcnt lgkmcnt(2)
	s_delay_alu instid0(VALU_DEP_2) | instskip(SKIP_3) | instid1(VALU_DEP_3)
	v_dual_mul_f32 v57, v66, v70 :: v_dual_fmac_f32 v58, v56, v63
	s_waitcnt lgkmcnt(0)
	v_mul_f32_e32 v64, v67, v76
	v_dual_mul_f32 v56, v66, v74 :: v_dual_add_f32 v53, v53, v55
	v_fma_f32 v55, v65, v69, -v57
	s_delay_alu instid0(VALU_DEP_3) | instskip(SKIP_2) | instid1(VALU_DEP_3)
	v_dual_mul_f32 v57, v65, v74 :: v_dual_fmac_f32 v64, v68, v75
	v_add_f32_e32 v1, v1, v3
	v_mul_f32_e32 v3, v65, v70
	v_dual_add_f32 v0, v0, v58 :: v_dual_fmac_f32 v57, v66, v73
	v_add_f32_e32 v58, v61, v55
	v_fma_f32 v55, v65, v73, -v56
	s_delay_alu instid0(VALU_DEP_4) | instskip(NEXT) | instid1(VALU_DEP_4)
	v_dual_fmac_f32 v3, v66, v69 :: v_dual_mul_f32 v56, v49, v74
	v_add_f32_e32 v62, v60, v57
	s_delay_alu instid0(VALU_DEP_3) | instskip(SKIP_1) | instid1(VALU_DEP_4)
	v_dual_add_f32 v54, v81, v54 :: v_dual_add_f32 v15, v15, v55
	v_mul_f32_e32 v55, v50, v74
	v_dual_fmac_f32 v56, v50, v73 :: v_dual_mul_f32 v59, v68, v76
	s_delay_alu instid0(VALU_DEP_3)
	v_dual_add_f32 v61, v54, v3 :: v_dual_mul_f32 v54, v49, v70
	v_mul_f32_e32 v3, v50, v70
	v_add_f32_e32 v74, v62, v64
	v_mul_f32_e32 v63, v67, v72
	v_fma_f32 v66, v67, v75, -v59
	v_fmac_f32_e32 v54, v50, v69
	v_fma_f32 v3, v49, v69, -v3
	v_fma_f32 v49, v49, v73, -v55
	v_fmac_f32_e32 v63, v68, v71
	v_add_f32_e32 v15, v15, v66
	v_dual_add_f32 v50, v1, v54 :: v_dual_mul_f32 v1, v68, v72
	s_delay_alu instid0(VALU_DEP_4) | instskip(SKIP_1) | instid1(VALU_DEP_3)
	v_add_f32_e32 v49, v53, v49
	v_add_f32_e32 v69, v0, v56
	v_fma_f32 v57, v67, v71, -v1
	v_mul_f32_e32 v67, v52, v72
	v_mul_f32_e32 v72, v51, v72
	s_delay_alu instid0(VALU_DEP_3) | instskip(NEXT) | instid1(VALU_DEP_3)
	v_add_f32_e32 v70, v58, v57
	v_fma_f32 v66, v51, v71, -v67
	s_delay_alu instid0(VALU_DEP_3) | instskip(SKIP_2) | instid1(VALU_DEP_2)
	v_fmac_f32_e32 v72, v52, v71
	v_mul_f32_e32 v71, v52, v76
	v_mul_f32_e32 v76, v51, v76
	v_fma_f32 v51, v51, v75, -v71
	s_delay_alu instid0(VALU_DEP_2) | instskip(NEXT) | instid1(VALU_DEP_2)
	v_dual_fmac_f32 v76, v52, v75 :: v_dual_add_f32 v71, v50, v72
	v_add_f32_e32 v75, v49, v51
	v_add_f32_e32 v65, v2, v3
	ds_load_2addr_b64 v[0:3], v77 offset1:32
	ds_load_b128 v[53:56], v42 offset:128
	ds_load_2addr_b64 v[57:60], v78 offset1:32
	v_add_f32_e32 v76, v69, v76
	v_add_f32_e32 v79, v65, v66
	ds_load_b128 v[65:68], v42 offset:144
	s_waitcnt lgkmcnt(2)
	v_mul_f32_e32 v72, v53, v1
	v_add_f32_e32 v73, v61, v63
	ds_load_b128 v[61:64], v42 offset:4224
	v_mul_f32_e32 v80, v54, v1
	s_waitcnt lgkmcnt(2)
	v_mul_f32_e32 v49, v54, v58
	v_dual_mul_f32 v69, v53, v58 :: v_dual_fmac_f32 v72, v54, v0
	s_delay_alu instid0(VALU_DEP_3) | instskip(NEXT) | instid1(VALU_DEP_3)
	v_fma_f32 v50, v53, v0, -v80
	v_fma_f32 v53, v53, v57, -v49
	s_delay_alu instid0(VALU_DEP_2) | instskip(SKIP_3) | instid1(VALU_DEP_2)
	v_add_f32_e32 v80, v70, v50
	ds_load_b128 v[49:52], v42 offset:4240
	v_fmac_f32_e32 v69, v54, v57
	v_add_f32_e32 v15, v15, v53
	v_add_f32_e32 v82, v74, v69
	s_waitcnt lgkmcnt(1)
	v_mul_f32_e32 v70, v62, v1
	v_dual_mul_f32 v1, v61, v1 :: v_dual_mul_f32 v54, v62, v58
	s_delay_alu instid0(VALU_DEP_2) | instskip(NEXT) | instid1(VALU_DEP_2)
	v_fma_f32 v53, v61, v0, -v70
	v_dual_fmac_f32 v1, v62, v0 :: v_dual_mul_f32 v0, v61, v58
	s_delay_alu instid0(VALU_DEP_3) | instskip(NEXT) | instid1(VALU_DEP_3)
	v_fma_f32 v54, v61, v57, -v54
	v_dual_mul_f32 v58, v56, v3 :: v_dual_add_f32 v53, v79, v53
	s_delay_alu instid0(VALU_DEP_3)
	v_dual_mul_f32 v79, v64, v3 :: v_dual_fmac_f32 v0, v62, v57
	v_mul_f32_e32 v57, v55, v3
	v_mul_f32_e32 v62, v55, v60
	;; [unrolled: 1-line block ×4, first 2 shown]
	v_fma_f32 v58, v55, v2, -v58
	v_fmac_f32_e32 v57, v56, v2
	v_fmac_f32_e32 v62, v56, v59
	v_fma_f32 v56, v63, v2, -v79
	v_fmac_f32_e32 v3, v64, v2
	v_add_f32_e32 v0, v76, v0
	v_fma_f32 v55, v55, v59, -v61
	s_delay_alu instid0(VALU_DEP_4) | instskip(SKIP_2) | instid1(VALU_DEP_4)
	v_dual_add_f32 v1, v71, v1 :: v_dual_add_f32 v2, v53, v56
	v_mul_f32_e32 v53, v63, v60
	v_add_f32_e32 v54, v75, v54
	v_add_f32_e32 v15, v15, v55
	v_mul_f32_e32 v55, v64, v60
	v_add_f32_e32 v1, v1, v3
	v_fmac_f32_e32 v53, v64, v59
	v_add_f32_e32 v61, v82, v62
	v_add_f32_e32 v58, v80, v58
	v_fma_f32 v55, v63, v59, -v55
	s_delay_alu instid0(VALU_DEP_4)
	v_dual_add_f32 v60, v0, v53 :: v_dual_add_f32 v81, v73, v72
	ds_load_2addr_b64 v[69:72], v77 offset0:64 offset1:96
	ds_load_2addr_b64 v[73:76], v78 offset0:64 offset1:96
	v_add_f32_e32 v54, v54, v55
	s_waitcnt lgkmcnt(1)
	v_mul_f32_e32 v56, v66, v70
	s_waitcnt lgkmcnt(0)
	v_dual_mul_f32 v3, v65, v70 :: v_dual_mul_f32 v64, v67, v76
	v_mul_f32_e32 v59, v65, v74
	v_mul_f32_e32 v53, v49, v70
	v_fma_f32 v55, v65, v69, -v56
	v_mul_f32_e32 v56, v66, v74
	v_dual_fmac_f32 v3, v66, v69 :: v_dual_fmac_f32 v64, v68, v75
	v_add_f32_e32 v57, v81, v57
	v_fmac_f32_e32 v59, v66, v73
	s_delay_alu instid0(VALU_DEP_4) | instskip(SKIP_1) | instid1(VALU_DEP_4)
	v_fma_f32 v0, v65, v73, -v56
	v_dual_mul_f32 v63, v67, v72 :: v_dual_add_f32 v58, v58, v55
	v_dual_add_f32 v62, v57, v3 :: v_dual_mul_f32 v3, v50, v70
	s_delay_alu instid0(VALU_DEP_3) | instskip(SKIP_2) | instid1(VALU_DEP_4)
	v_dual_add_f32 v15, v15, v0 :: v_dual_mul_f32 v0, v50, v74
	v_add_f32_e32 v61, v61, v59
	v_mul_f32_e32 v57, v49, v74
	v_fma_f32 v3, v49, v69, -v3
	v_mul_f32_e32 v59, v68, v76
	v_fma_f32 v0, v49, v73, -v0
	v_mul_f32_e32 v49, v68, v72
	v_fmac_f32_e32 v53, v50, v69
	v_add_f32_e32 v65, v2, v3
	v_fma_f32 v66, v67, v75, -v59
	v_fmac_f32_e32 v57, v50, v73
	v_fma_f32 v49, v67, v71, -v49
	v_mul_f32_e32 v67, v52, v72
	v_fmac_f32_e32 v63, v68, v71
	v_add_f32_e32 v15, v15, v66
	v_dual_add_f32 v69, v1, v53 :: v_dual_add_f32 v50, v54, v0
	s_delay_alu instid0(VALU_DEP_4)
	v_fma_f32 v66, v51, v71, -v67
	ds_load_2addr_b64 v[0:3], v77 offset0:128 offset1:160
	ds_load_b128 v[53:56], v42 offset:160
	v_dual_add_f32 v70, v60, v57 :: v_dual_add_f32 v73, v62, v63
	v_add_f32_e32 v74, v61, v64
	ds_load_b128 v[61:64], v42 offset:4256
	v_add_f32_e32 v79, v65, v66
	ds_load_b128 v[65:68], v42 offset:176
	v_add_f32_e32 v49, v58, v49
	ds_load_2addr_b64 v[57:60], v78 offset0:128 offset1:160
	v_mul_f32_e32 v72, v51, v72
	s_delay_alu instid0(VALU_DEP_1) | instskip(SKIP_2) | instid1(VALU_DEP_3)
	v_fmac_f32_e32 v72, v52, v71
	v_mul_f32_e32 v71, v52, v76
	v_mul_f32_e32 v76, v51, v76
	v_add_f32_e32 v69, v69, v72
	s_delay_alu instid0(VALU_DEP_3) | instskip(NEXT) | instid1(VALU_DEP_3)
	v_fma_f32 v51, v51, v75, -v71
	v_fmac_f32_e32 v76, v52, v75
	s_waitcnt lgkmcnt(3)
	v_mul_f32_e32 v80, v54, v1
	s_delay_alu instid0(VALU_DEP_3) | instskip(NEXT) | instid1(VALU_DEP_3)
	v_dual_mul_f32 v71, v53, v1 :: v_dual_add_f32 v72, v50, v51
	v_add_f32_e32 v75, v70, v76
	s_delay_alu instid0(VALU_DEP_3)
	v_fma_f32 v52, v53, v0, -v80
	s_waitcnt lgkmcnt(0)
	v_mul_f32_e32 v50, v54, v58
	v_dual_mul_f32 v70, v53, v58 :: v_dual_fmac_f32 v71, v54, v0
	v_mul_f32_e32 v80, v62, v1
	v_mul_f32_e32 v1, v61, v1
	s_delay_alu instid0(VALU_DEP_4) | instskip(NEXT) | instid1(VALU_DEP_4)
	v_fma_f32 v53, v53, v57, -v50
	v_fmac_f32_e32 v70, v54, v57
	v_mul_f32_e32 v54, v62, v58
	v_add_f32_e32 v76, v49, v52
	v_fmac_f32_e32 v1, v62, v0
	v_add_f32_e32 v15, v15, v53
	v_fma_f32 v53, v61, v0, -v80
	v_mul_f32_e32 v0, v61, v58
	v_fma_f32 v54, v61, v57, -v54
	v_mul_f32_e32 v58, v56, v3
	v_dual_add_f32 v81, v73, v71 :: v_dual_add_f32 v80, v74, v70
	v_add_f32_e32 v1, v69, v1
	v_fmac_f32_e32 v0, v62, v57
	v_add_f32_e32 v54, v72, v54
	v_fma_f32 v58, v55, v2, -v58
	ds_load_2addr_b64 v[69:72], v77 offset0:192 offset1:224
	v_mul_f32_e32 v61, v56, v60
	v_add_f32_e32 v0, v75, v0
	ds_load_b128 v[49:52], v42 offset:4272
	v_add_f32_e32 v58, v76, v58
	ds_load_2addr_b64 v[73:76], v78 offset0:192 offset1:224
	v_mul_f32_e32 v57, v55, v3
	v_dual_mul_f32 v62, v55, v60 :: v_dual_mul_f32 v77, v64, v3
	v_fma_f32 v55, v55, v59, -v61
	v_add_f32_e32 v53, v79, v53
	s_delay_alu instid0(VALU_DEP_4) | instskip(NEXT) | instid1(VALU_DEP_4)
	v_fmac_f32_e32 v57, v56, v2
	v_fmac_f32_e32 v62, v56, v59
	v_mul_f32_e32 v3, v63, v3
	v_fma_f32 v56, v63, v2, -v77
	v_add_f32_e32 v15, v15, v55
	v_mul_f32_e32 v55, v64, v60
	v_add_f32_e32 v57, v81, v57
	s_delay_alu instid0(VALU_DEP_4)
	v_dual_fmac_f32 v3, v64, v2 :: v_dual_add_f32 v2, v53, v56
	s_waitcnt lgkmcnt(2)
	v_mul_f32_e32 v56, v66, v70
	v_fma_f32 v55, v63, v59, -v55
	v_mul_f32_e32 v53, v63, v60
	v_add_f32_e32 v1, v1, v3
	v_mul_f32_e32 v3, v65, v70
	s_delay_alu instid0(VALU_DEP_4) | instskip(SKIP_4) | instid1(VALU_DEP_3)
	v_dual_add_f32 v61, v80, v62 :: v_dual_add_f32 v54, v54, v55
	v_fma_f32 v55, v65, v69, -v56
	s_waitcnt lgkmcnt(0)
	v_dual_mul_f32 v56, v66, v74 :: v_dual_fmac_f32 v53, v64, v59
	v_fmac_f32_e32 v3, v66, v69
	v_dual_add_f32 v58, v58, v55 :: v_dual_add_nc_u32 v77, 0x1800, v44
	s_delay_alu instid0(VALU_DEP_3) | instskip(SKIP_3) | instid1(VALU_DEP_4)
	v_fma_f32 v55, v65, v73, -v56
	v_mul_f32_e32 v56, v49, v70
	v_dual_add_f32 v0, v0, v53 :: v_dual_mul_f32 v53, v65, v74
	v_dual_add_f32 v62, v57, v3 :: v_dual_mul_f32 v3, v50, v70
	v_add_f32_e32 v15, v15, v55
	v_mul_f32_e32 v55, v50, v74
	v_dual_mul_f32 v57, v49, v74 :: v_dual_fmac_f32 v56, v50, v69
	v_fmac_f32_e32 v53, v66, v73
	v_fma_f32 v3, v49, v69, -v3
	s_delay_alu instid0(VALU_DEP_4) | instskip(NEXT) | instid1(VALU_DEP_4)
	v_fma_f32 v49, v49, v73, -v55
	v_dual_fmac_f32 v57, v50, v73 :: v_dual_add_f32 v50, v1, v56
	v_mul_f32_e32 v1, v68, v72
	v_add_f32_e32 v61, v61, v53
	v_add_f32_e32 v65, v2, v3
	;; [unrolled: 1-line block ×4, first 2 shown]
	v_mul_f32_e32 v63, v67, v72
	v_fma_f32 v57, v67, v71, -v1
	v_mul_f32_e32 v59, v68, v76
	ds_load_2addr_b64 v[0:3], v77 offset1:32
	ds_load_b128 v[53:56], v42 offset:192
	v_add_nc_u32_e32 v78, 0x1800, v46
	v_dual_mul_f32 v64, v67, v76 :: v_dual_fmac_f32 v63, v68, v71
	v_add_f32_e32 v70, v58, v57
	v_fma_f32 v66, v67, v75, -v59
	ds_load_2addr_b64 v[57:60], v78 offset1:32
	v_fmac_f32_e32 v64, v68, v75
	v_mul_f32_e32 v67, v52, v72
	v_dual_add_f32 v73, v62, v63 :: v_dual_mul_f32 v72, v51, v72
	s_delay_alu instid0(VALU_DEP_3) | instskip(SKIP_4) | instid1(VALU_DEP_3)
	v_dual_add_f32 v15, v15, v66 :: v_dual_add_f32 v74, v61, v64
	ds_load_b128 v[61:64], v42 offset:4288
	v_fma_f32 v66, v51, v71, -v67
	v_fmac_f32_e32 v72, v52, v71
	v_mul_f32_e32 v71, v52, v76
	v_dual_mul_f32 v76, v51, v76 :: v_dual_add_f32 v79, v65, v66
	s_waitcnt lgkmcnt(2)
	v_mul_f32_e32 v80, v54, v1
	s_delay_alu instid0(VALU_DEP_3) | instskip(NEXT) | instid1(VALU_DEP_3)
	v_fma_f32 v51, v51, v75, -v71
	v_dual_add_f32 v71, v50, v72 :: v_dual_fmac_f32 v76, v52, v75
	ds_load_b128 v[65:68], v42 offset:208
	v_fma_f32 v50, v53, v0, -v80
	v_add_f32_e32 v75, v49, v51
	s_waitcnt lgkmcnt(2)
	v_dual_mul_f32 v49, v54, v58 :: v_dual_mul_f32 v72, v53, v1
	v_add_f32_e32 v76, v69, v76
	v_add_f32_e32 v80, v70, v50
	v_mul_f32_e32 v69, v53, v58
	s_delay_alu instid0(VALU_DEP_4)
	v_fma_f32 v53, v53, v57, -v49
	s_waitcnt lgkmcnt(1)
	v_mul_f32_e32 v70, v62, v1
	v_dual_mul_f32 v1, v61, v1 :: v_dual_fmac_f32 v72, v54, v0
	v_fmac_f32_e32 v69, v54, v57
	v_add_f32_e32 v15, v15, v53
	s_delay_alu instid0(VALU_DEP_4) | instskip(SKIP_3) | instid1(VALU_DEP_3)
	v_fma_f32 v53, v61, v0, -v70
	v_mul_f32_e32 v54, v62, v58
	v_dual_fmac_f32 v1, v62, v0 :: v_dual_mul_f32 v0, v61, v58
	v_dual_add_f32 v81, v73, v72 :: v_dual_add_f32 v82, v74, v69
	v_fma_f32 v54, v61, v57, -v54
	s_delay_alu instid0(VALU_DEP_3) | instskip(NEXT) | instid1(VALU_DEP_4)
	v_add_f32_e32 v1, v71, v1
	v_fmac_f32_e32 v0, v62, v57
	ds_load_2addr_b64 v[69:72], v77 offset0:64 offset1:96
	v_mul_f32_e32 v58, v56, v3
	v_dual_add_f32 v54, v75, v54 :: v_dual_mul_f32 v61, v56, v60
	v_add_f32_e32 v0, v76, v0
	ds_load_2addr_b64 v[73:76], v78 offset0:64 offset1:96
	v_add_f32_e32 v53, v79, v53
	v_mul_f32_e32 v57, v55, v3
	v_fma_f32 v58, v55, v2, -v58
	v_dual_mul_f32 v62, v55, v60 :: v_dual_mul_f32 v79, v64, v3
	v_fma_f32 v55, v55, v59, -v61
	ds_load_b128 v[49:52], v42 offset:4304
	v_fmac_f32_e32 v57, v56, v2
	v_fmac_f32_e32 v62, v56, v59
	v_mul_f32_e32 v3, v63, v3
	v_fma_f32 v56, v63, v2, -v79
	v_add_f32_e32 v15, v15, v55
	v_mul_f32_e32 v55, v64, v60
	v_add_f32_e32 v57, v81, v57
	s_delay_alu instid0(VALU_DEP_4) | instskip(SKIP_1) | instid1(VALU_DEP_4)
	v_dual_fmac_f32 v3, v64, v2 :: v_dual_add_f32 v2, v53, v56
	v_mul_f32_e32 v53, v63, v60
	v_fma_f32 v55, v63, v59, -v55
	s_waitcnt lgkmcnt(2)
	s_delay_alu instid0(VALU_DEP_3) | instskip(SKIP_3) | instid1(VALU_DEP_4)
	v_dual_mul_f32 v56, v66, v70 :: v_dual_add_f32 v1, v1, v3
	v_mul_f32_e32 v3, v65, v70
	v_fmac_f32_e32 v53, v64, v59
	v_add_f32_e32 v54, v54, v55
	v_fma_f32 v55, v65, v69, -v56
	s_waitcnt lgkmcnt(1)
	v_mul_f32_e32 v56, v66, v74
	v_fmac_f32_e32 v3, v66, v69
	v_dual_add_f32 v60, v0, v53 :: v_dual_add_f32 v61, v82, v62
	v_mul_f32_e32 v59, v65, v74
	s_delay_alu instid0(VALU_DEP_4) | instskip(SKIP_3) | instid1(VALU_DEP_3)
	v_fma_f32 v0, v65, v73, -v56
	s_waitcnt lgkmcnt(0)
	v_dual_add_f32 v62, v57, v3 :: v_dual_mul_f32 v3, v50, v70
	v_mul_f32_e32 v53, v49, v70
	v_dual_add_f32 v58, v80, v58 :: v_dual_add_f32 v15, v15, v0
	v_mul_f32_e32 v0, v50, v74
	v_fmac_f32_e32 v59, v66, v73
	v_fma_f32 v3, v49, v69, -v3
	v_fmac_f32_e32 v53, v50, v69
	v_mul_f32_e32 v57, v49, v74
	v_fma_f32 v0, v49, v73, -v0
	v_dual_mul_f32 v49, v68, v72 :: v_dual_add_f32 v58, v58, v55
	v_add_f32_e32 v61, v61, v59
	v_add_f32_e32 v65, v2, v3
	;; [unrolled: 1-line block ×3, first 2 shown]
	v_fmac_f32_e32 v57, v50, v73
	v_add_f32_e32 v50, v54, v0
	v_fma_f32 v49, v67, v71, -v49
	v_mul_f32_e32 v59, v68, v76
	ds_load_2addr_b64 v[0:3], v77 offset0:128 offset1:160
	ds_load_b128 v[53:56], v42 offset:224
	v_mul_f32_e32 v63, v67, v72
	v_mul_f32_e32 v64, v67, v76
	v_add_f32_e32 v70, v60, v57
	v_add_f32_e32 v49, v58, v49
	v_fma_f32 v66, v67, v75, -v59
	ds_load_2addr_b64 v[57:60], v78 offset0:128 offset1:160
	v_fmac_f32_e32 v63, v68, v71
	v_fmac_f32_e32 v64, v68, v75
	v_mul_f32_e32 v67, v52, v72
	v_mul_f32_e32 v72, v51, v72
	v_add_f32_e32 v15, v15, v66
	s_delay_alu instid0(VALU_DEP_4) | instskip(NEXT) | instid1(VALU_DEP_4)
	v_dual_add_f32 v73, v62, v63 :: v_dual_add_f32 v74, v61, v64
	v_fma_f32 v66, v51, v71, -v67
	s_delay_alu instid0(VALU_DEP_4)
	v_fmac_f32_e32 v72, v52, v71
	ds_load_b128 v[61:64], v42 offset:4320
	v_mul_f32_e32 v71, v52, v76
	v_dual_mul_f32 v76, v51, v76 :: v_dual_add_f32 v79, v65, v66
	ds_load_b128 v[65:68], v42 offset:240
	s_waitcnt lgkmcnt(3)
	v_mul_f32_e32 v80, v54, v1
	v_fma_f32 v51, v51, v75, -v71
	v_dual_fmac_f32 v76, v52, v75 :: v_dual_mul_f32 v71, v53, v1
	v_add_f32_e32 v81, v69, v72
	s_delay_alu instid0(VALU_DEP_4) | instskip(NEXT) | instid1(VALU_DEP_4)
	v_fma_f32 v52, v53, v0, -v80
	v_add_f32_e32 v50, v50, v51
	s_waitcnt lgkmcnt(2)
	v_mul_f32_e32 v51, v54, v58
	v_add_f32_e32 v75, v70, v76
	v_fmac_f32_e32 v71, v54, v0
	v_add_f32_e32 v76, v49, v52
	v_mul_f32_e32 v49, v53, v58
	v_fma_f32 v51, v53, v57, -v51
	s_delay_alu instid0(VALU_DEP_4)
	v_add_f32_e32 v80, v73, v71
	s_waitcnt lgkmcnt(1)
	v_mul_f32_e32 v52, v62, v1
	v_fmac_f32_e32 v49, v54, v57
	v_mul_f32_e32 v1, v61, v1
	v_add_f32_e32 v15, v15, v51
	v_mul_f32_e32 v51, v62, v58
	v_fma_f32 v52, v61, v0, -v52
	v_add_f32_e32 v53, v74, v49
	v_dual_fmac_f32 v1, v62, v0 :: v_dual_mul_f32 v0, v61, v58
	s_delay_alu instid0(VALU_DEP_4) | instskip(NEXT) | instid1(VALU_DEP_4)
	v_fma_f32 v49, v61, v57, -v51
	v_dual_mul_f32 v51, v56, v3 :: v_dual_add_f32 v54, v79, v52
	ds_load_b128 v[69:72], v42 offset:4336
	v_fmac_f32_e32 v0, v62, v57
	v_add_f32_e32 v57, v50, v49
	v_fma_f32 v61, v55, v2, -v51
	ds_load_2addr_b64 v[49:52], v77 offset0:192 offset1:224
	v_mul_f32_e32 v62, v56, v60
	v_add_f32_e32 v0, v75, v0
	v_dual_mul_f32 v58, v55, v3 :: v_dual_add_f32 v61, v76, v61
	ds_load_2addr_b64 v[73:76], v78 offset0:192 offset1:224
	v_mul_f32_e32 v77, v55, v60
	v_fma_f32 v55, v55, v59, -v62
	v_mul_f32_e32 v62, v64, v3
	v_mul_f32_e32 v3, v63, v3
	v_dual_add_f32 v1, v81, v1 :: v_dual_fmac_f32 v58, v56, v2
	v_fmac_f32_e32 v77, v56, v59
	v_add_f32_e32 v15, v15, v55
	v_fma_f32 v55, v63, v2, -v62
	v_mul_f32_e32 v56, v64, v60
	v_dual_fmac_f32 v3, v64, v2 :: v_dual_mul_f32 v60, v63, v60
	v_add_f32_e32 v58, v80, v58
	s_delay_alu instid0(VALU_DEP_4) | instskip(NEXT) | instid1(VALU_DEP_4)
	v_add_f32_e32 v2, v54, v55
	v_fma_f32 v54, v63, v59, -v56
	s_delay_alu instid0(VALU_DEP_4)
	v_add_f32_e32 v1, v1, v3
	s_waitcnt lgkmcnt(1)
	v_dual_mul_f32 v3, v65, v50 :: v_dual_fmac_f32 v60, v64, v59
	v_mul_f32_e32 v59, v70, v50
	v_add_f32_e32 v54, v57, v54
	s_waitcnt lgkmcnt(0)
	v_mul_f32_e32 v56, v66, v74
	v_fmac_f32_e32 v3, v66, v49
	v_mul_f32_e32 v57, v65, v74
	v_add_f32_e32 v53, v53, v77
	v_mul_f32_e32 v55, v66, v50
	v_fma_f32 v56, v65, v73, -v56
	v_add_f32_e32 v3, v58, v3
	v_dual_fmac_f32 v57, v66, v73 :: v_dual_mul_f32 v50, v69, v50
	v_fma_f32 v58, v69, v49, -v59
	v_fma_f32 v55, v65, v49, -v55
	v_dual_add_f32 v15, v15, v56 :: v_dual_mul_f32 v56, v70, v74
	s_delay_alu instid0(VALU_DEP_4)
	v_add_f32_e32 v53, v53, v57
	v_fmac_f32_e32 v50, v70, v49
	v_add_f32_e32 v2, v2, v58
	v_mul_f32_e32 v49, v69, v74
	v_mul_f32_e32 v57, v68, v52
	;; [unrolled: 1-line block ×3, first 2 shown]
	v_dual_add_f32 v0, v0, v60 :: v_dual_add_f32 v55, v61, v55
	v_fma_f32 v56, v69, v73, -v56
	v_add_f32_e32 v1, v1, v50
	v_fmac_f32_e32 v49, v70, v73
	v_fma_f32 v50, v67, v51, -v57
	v_fmac_f32_e32 v58, v68, v51
	v_mul_f32_e32 v57, v68, v76
	v_add_f32_e32 v56, v54, v56
	v_dual_mul_f32 v59, v67, v76 :: v_dual_add_f32 v0, v0, v49
	v_add_f32_e32 v54, v55, v50
	v_add_f32_e32 v55, v3, v58
	v_fma_f32 v3, v67, v75, -v57
	v_mul_f32_e32 v49, v72, v52
	v_mul_f32_e32 v57, v71, v52
	v_mul_f32_e32 v50, v72, v76
	v_dual_mul_f32 v58, v71, v76 :: v_dual_fmac_f32 v59, v68, v75
	v_add_f32_e32 v52, v15, v3
	v_fma_f32 v3, v71, v51, -v49
	v_fmac_f32_e32 v57, v72, v51
	v_fma_f32 v15, v71, v75, -v50
	v_fmac_f32_e32 v58, v72, v75
	v_add_f32_e32 v53, v53, v59
	s_delay_alu instid0(VALU_DEP_4) | instskip(NEXT) | instid1(VALU_DEP_4)
	v_dual_add_f32 v50, v2, v3 :: v_dual_add_f32 v51, v1, v57
	v_add_f32_e32 v49, v56, v15
	s_delay_alu instid0(VALU_DEP_4)
	v_add_f32_e32 v15, v0, v58
	s_barrier
	buffer_gl0_inv
	s_cbranch_scc1 .LBB89_55
.LBB89_7:                               ;   Parent Loop BB89_4 Depth=1
                                        ; =>  This Inner Loop Header: Depth=2
	v_add_co_u32 v0, s5, v40, s16
	s_delay_alu instid0(VALU_DEP_1) | instskip(SKIP_1) | instid1(VALU_DEP_2)
	v_add_co_ci_u32_e64 v1, null, 0, s17, s5
	v_cmp_eq_u64_e64 s6, s[16:17], v[26:27]
	v_cmp_gt_i64_e64 s5, v[0:1], v[22:23]
	s_delay_alu instid0(VALU_DEP_2) | instskip(SKIP_1) | instid1(VALU_DEP_2)
	s_and_b32 s24, s38, s6
	v_cmp_le_i64_e64 s6, s[12:13], v[0:1]
	s_or_b32 s7, s3, s5
	s_delay_alu instid0(SALU_CYCLE_1) | instskip(SKIP_1) | instid1(VALU_DEP_1)
	s_or_b32 s8, s7, s24
	v_add_co_u32 v2, s7, v34, v28
	v_add_co_ci_u32_e64 v3, s7, v35, v29, s7
	s_delay_alu instid0(VALU_DEP_3) | instskip(NEXT) | instid1(SALU_CYCLE_1)
	s_or_b32 s7, s6, s8
	s_xor_b32 s7, s7, -1
	s_delay_alu instid0(SALU_CYCLE_1) | instskip(NEXT) | instid1(SALU_CYCLE_1)
	s_and_saveexec_b32 s8, s7
	s_xor_b32 s7, exec_lo, s8
	s_cbranch_execz .LBB89_9
; %bb.8:                                ;   in Loop: Header=BB89_7 Depth=2
	global_load_b64 v[56:57], v[2:3], off
	s_waitcnt vmcnt(0)
	ds_store_b64 v43, v[56:57]
.LBB89_9:                               ;   in Loop: Header=BB89_7 Depth=2
	s_or_saveexec_b32 s7, s7
	s_xor_b32 s21, s24, -1
	s_xor_b32 exec_lo, exec_lo, s7
	s_cbranch_execz .LBB89_15
; %bb.10:                               ;   in Loop: Header=BB89_7 Depth=2
	s_and_saveexec_b32 s8, s21
	s_delay_alu instid0(SALU_CYCLE_1)
	s_xor_b32 s8, exec_lo, s8
	s_cbranch_execz .LBB89_12
; %bb.11:                               ;   in Loop: Header=BB89_7 Depth=2
	v_mov_b32_e32 v56, v5
	v_mov_b32_e32 v57, v5
	ds_store_b64 v43, v[56:57]
.LBB89_12:                              ;   in Loop: Header=BB89_7 Depth=2
	s_and_not1_saveexec_b32 s8, s8
	s_cbranch_execz .LBB89_14
; %bb.13:                               ;   in Loop: Header=BB89_7 Depth=2
	ds_store_b64 v43, v[4:5]
.LBB89_14:                              ;   in Loop: Header=BB89_7 Depth=2
	s_or_b32 exec_lo, exec_lo, s8
.LBB89_15:                              ;   in Loop: Header=BB89_7 Depth=2
	s_delay_alu instid0(SALU_CYCLE_1) | instskip(SKIP_1) | instid1(VALU_DEP_1)
	s_or_b32 exec_lo, exec_lo, s7
	v_add_co_u32 v56, s7, v0, 16
	v_add_co_ci_u32_e64 v57, s7, 0, v1, s7
	v_cmp_eq_u64_e64 s8, s[16:17], v[32:33]
	s_delay_alu instid0(VALU_DEP_2) | instskip(SKIP_1) | instid1(VALU_DEP_3)
	v_cmp_gt_i64_e64 s9, v[56:57], v[22:23]
	v_cmp_le_i64_e64 s7, s[12:13], v[56:57]
	s_and_b32 s25, s38, s8
	s_delay_alu instid0(VALU_DEP_2) | instskip(NEXT) | instid1(SALU_CYCLE_1)
	s_or_b32 s8, s3, s9
	s_or_b32 s8, s8, s25
	s_delay_alu instid0(VALU_DEP_1) | instid1(SALU_CYCLE_1)
	s_or_b32 s8, s7, s8
	s_delay_alu instid0(SALU_CYCLE_1) | instskip(NEXT) | instid1(SALU_CYCLE_1)
	s_xor_b32 s8, s8, -1
	s_and_saveexec_b32 s9, s8
	s_delay_alu instid0(SALU_CYCLE_1)
	s_xor_b32 s9, exec_lo, s9
	s_cbranch_execz .LBB89_17
; %bb.16:                               ;   in Loop: Header=BB89_7 Depth=2
	v_add_co_u32 v56, s8, v36, v28
	s_delay_alu instid0(VALU_DEP_1)
	v_add_co_ci_u32_e64 v57, s8, v37, v29, s8
	global_load_b64 v[56:57], v[56:57], off
	s_waitcnt vmcnt(0)
	ds_store_b64 v43, v[56:57] offset:128
.LBB89_17:                              ;   in Loop: Header=BB89_7 Depth=2
	s_and_not1_saveexec_b32 s8, s9
	s_cbranch_execz .LBB89_23
; %bb.18:                               ;   in Loop: Header=BB89_7 Depth=2
	s_xor_b32 s9, s25, -1
	s_delay_alu instid0(SALU_CYCLE_1) | instskip(NEXT) | instid1(SALU_CYCLE_1)
	s_and_saveexec_b32 s25, s9
	s_xor_b32 s9, exec_lo, s25
	s_cbranch_execz .LBB89_20
; %bb.19:                               ;   in Loop: Header=BB89_7 Depth=2
	v_mov_b32_e32 v56, v5
	v_mov_b32_e32 v57, v5
	ds_store_b64 v43, v[56:57] offset:128
.LBB89_20:                              ;   in Loop: Header=BB89_7 Depth=2
	s_and_not1_saveexec_b32 s9, s9
	s_cbranch_execz .LBB89_22
; %bb.21:                               ;   in Loop: Header=BB89_7 Depth=2
	ds_store_b64 v43, v[4:5] offset:128
.LBB89_22:                              ;   in Loop: Header=BB89_7 Depth=2
	s_or_b32 exec_lo, exec_lo, s9
.LBB89_23:                              ;   in Loop: Header=BB89_7 Depth=2
	s_delay_alu instid0(SALU_CYCLE_1) | instskip(SKIP_2) | instid1(VALU_DEP_2)
	s_or_b32 exec_lo, exec_lo, s8
	v_cmp_eq_u64_e64 s8, s[16:17], v[30:31]
	v_cmp_gt_i64_e64 s9, v[0:1], v[24:25]
	s_and_b32 s8, s38, s8
	s_delay_alu instid0(VALU_DEP_1) | instskip(NEXT) | instid1(SALU_CYCLE_1)
	s_or_b32 s9, s4, s9
	s_or_b32 s9, s9, s8
	s_delay_alu instid0(SALU_CYCLE_1) | instskip(NEXT) | instid1(SALU_CYCLE_1)
	s_or_b32 s6, s6, s9
	s_xor_b32 s6, s6, -1
	s_delay_alu instid0(SALU_CYCLE_1) | instskip(NEXT) | instid1(SALU_CYCLE_1)
	s_and_saveexec_b32 s9, s6
	s_xor_b32 s6, exec_lo, s9
	s_cbranch_execz .LBB89_25
; %bb.24:                               ;   in Loop: Header=BB89_7 Depth=2
	global_load_b64 v[0:1], v[2:3], off offset:128
	s_waitcnt vmcnt(0)
	ds_store_b64 v43, v[0:1] offset:4096
.LBB89_25:                              ;   in Loop: Header=BB89_7 Depth=2
	s_and_not1_saveexec_b32 s6, s6
	s_cbranch_execz .LBB89_31
; %bb.26:                               ;   in Loop: Header=BB89_7 Depth=2
	s_xor_b32 s8, s8, -1
	s_delay_alu instid0(SALU_CYCLE_1) | instskip(NEXT) | instid1(SALU_CYCLE_1)
	s_and_saveexec_b32 s9, s8
	s_xor_b32 s8, exec_lo, s9
	s_cbranch_execz .LBB89_28
; %bb.27:                               ;   in Loop: Header=BB89_7 Depth=2
	v_mov_b32_e32 v0, v5
	v_mov_b32_e32 v1, v5
	ds_store_b64 v43, v[0:1] offset:4096
.LBB89_28:                              ;   in Loop: Header=BB89_7 Depth=2
	s_and_not1_saveexec_b32 s8, s8
	s_cbranch_execz .LBB89_30
; %bb.29:                               ;   in Loop: Header=BB89_7 Depth=2
	ds_store_b64 v43, v[4:5] offset:4096
.LBB89_30:                              ;   in Loop: Header=BB89_7 Depth=2
	s_or_b32 exec_lo, exec_lo, s8
.LBB89_31:                              ;   in Loop: Header=BB89_7 Depth=2
	s_delay_alu instid0(SALU_CYCLE_1) | instskip(SKIP_1) | instid1(SALU_CYCLE_1)
	s_or_b32 exec_lo, exec_lo, s6
	s_or_b32 s5, s4, s5
	s_or_b32 s5, s5, s24
	s_delay_alu instid0(SALU_CYCLE_1) | instskip(NEXT) | instid1(SALU_CYCLE_1)
	s_or_b32 s5, s7, s5
	s_xor_b32 s5, s5, -1
	s_delay_alu instid0(SALU_CYCLE_1) | instskip(NEXT) | instid1(SALU_CYCLE_1)
	s_and_saveexec_b32 s6, s5
	s_xor_b32 s6, exec_lo, s6
	s_cbranch_execz .LBB89_33
; %bb.32:                               ;   in Loop: Header=BB89_7 Depth=2
	v_add_co_u32 v0, s5, v36, v28
	s_delay_alu instid0(VALU_DEP_1)
	v_add_co_ci_u32_e64 v1, s5, v37, v29, s5
	global_load_b64 v[0:1], v[0:1], off offset:128
	s_waitcnt vmcnt(0)
	ds_store_b64 v43, v[0:1] offset:4224
.LBB89_33:                              ;   in Loop: Header=BB89_7 Depth=2
	s_and_not1_saveexec_b32 s5, s6
	s_cbranch_execz .LBB89_39
; %bb.34:                               ;   in Loop: Header=BB89_7 Depth=2
	s_and_saveexec_b32 s6, s21
	s_delay_alu instid0(SALU_CYCLE_1)
	s_xor_b32 s6, exec_lo, s6
	s_cbranch_execz .LBB89_36
; %bb.35:                               ;   in Loop: Header=BB89_7 Depth=2
	v_mov_b32_e32 v0, v5
	v_mov_b32_e32 v1, v5
	ds_store_b64 v43, v[0:1] offset:4224
.LBB89_36:                              ;   in Loop: Header=BB89_7 Depth=2
	s_and_not1_saveexec_b32 s6, s6
	s_cbranch_execz .LBB89_38
; %bb.37:                               ;   in Loop: Header=BB89_7 Depth=2
	ds_store_b64 v43, v[4:5] offset:4224
.LBB89_38:                              ;   in Loop: Header=BB89_7 Depth=2
	s_or_b32 exec_lo, exec_lo, s6
.LBB89_39:                              ;   in Loop: Header=BB89_7 Depth=2
	s_delay_alu instid0(SALU_CYCLE_1) | instskip(SKIP_1) | instid1(VALU_DEP_1)
	s_or_b32 exec_lo, exec_lo, s5
	v_add_co_u32 v0, s5, v41, s16
	v_add_co_ci_u32_e64 v1, null, 0, s17, s5
	v_add_co_u32 v2, s6, v38, v18
	s_delay_alu instid0(VALU_DEP_1) | instskip(NEXT) | instid1(VALU_DEP_3)
	v_add_co_ci_u32_e64 v3, s6, v39, v19, s6
	v_cmp_le_i64_e64 s5, s[12:13], v[0:1]
	s_delay_alu instid0(VALU_DEP_1) | instskip(NEXT) | instid1(SALU_CYCLE_1)
	s_or_b32 s6, s5, vcc_lo
	s_xor_b32 s6, s6, -1
	s_delay_alu instid0(SALU_CYCLE_1) | instskip(NEXT) | instid1(SALU_CYCLE_1)
	s_and_saveexec_b32 s7, s6
	s_xor_b32 s6, exec_lo, s7
	s_cbranch_execz .LBB89_41
; %bb.40:                               ;   in Loop: Header=BB89_7 Depth=2
	global_load_b64 v[56:57], v[2:3], off offset:-128
	s_waitcnt vmcnt(0)
	ds_store_b64 v45, v[56:57]
.LBB89_41:                              ;   in Loop: Header=BB89_7 Depth=2
	s_and_not1_saveexec_b32 s6, s6
	s_cbranch_execz .LBB89_43
; %bb.42:                               ;   in Loop: Header=BB89_7 Depth=2
	v_mov_b32_e32 v56, v5
	v_mov_b32_e32 v57, v5
	ds_store_b64 v45, v[56:57]
.LBB89_43:                              ;   in Loop: Header=BB89_7 Depth=2
	s_or_b32 exec_lo, exec_lo, s6
	s_or_b32 s5, s5, s0
	s_delay_alu instid0(SALU_CYCLE_1) | instskip(NEXT) | instid1(SALU_CYCLE_1)
	s_xor_b32 s5, s5, -1
	s_and_saveexec_b32 s6, s5
	s_delay_alu instid0(SALU_CYCLE_1)
	s_xor_b32 s5, exec_lo, s6
	s_cbranch_execz .LBB89_45
; %bb.44:                               ;   in Loop: Header=BB89_7 Depth=2
	global_load_b64 v[2:3], v[2:3], off
	s_waitcnt vmcnt(0)
	ds_store_b64 v45, v[2:3] offset:128
.LBB89_45:                              ;   in Loop: Header=BB89_7 Depth=2
	s_and_not1_saveexec_b32 s5, s5
	s_cbranch_execz .LBB89_47
; %bb.46:                               ;   in Loop: Header=BB89_7 Depth=2
	v_mov_b32_e32 v2, v5
	v_mov_b32_e32 v3, v5
	ds_store_b64 v45, v[2:3] offset:128
.LBB89_47:                              ;   in Loop: Header=BB89_7 Depth=2
	s_or_b32 exec_lo, exec_lo, s5
	v_cmp_le_i64_e64 s5, s[34:35], v[0:1]
	s_delay_alu instid0(VALU_DEP_1) | instskip(NEXT) | instid1(SALU_CYCLE_1)
	s_or_b32 s6, s5, vcc_lo
	s_xor_b32 s6, s6, -1
	s_delay_alu instid0(SALU_CYCLE_1) | instskip(NEXT) | instid1(SALU_CYCLE_1)
	s_and_saveexec_b32 s7, s6
	s_xor_b32 s7, exec_lo, s7
	s_cbranch_execz .LBB89_49
; %bb.48:                               ;   in Loop: Header=BB89_7 Depth=2
	v_add_co_u32 v0, s6, v38, v12
	s_delay_alu instid0(VALU_DEP_1)
	v_add_co_ci_u32_e64 v1, s6, v39, v13, s6
	global_load_b64 v[0:1], v[0:1], off offset:-128
	s_waitcnt vmcnt(0)
	ds_store_b64 v45, v[0:1] offset:4096
.LBB89_49:                              ;   in Loop: Header=BB89_7 Depth=2
	s_and_not1_saveexec_b32 s6, s7
	s_cbranch_execz .LBB89_51
; %bb.50:                               ;   in Loop: Header=BB89_7 Depth=2
	v_mov_b32_e32 v0, v5
	v_mov_b32_e32 v1, v5
	ds_store_b64 v45, v[0:1] offset:4096
.LBB89_51:                              ;   in Loop: Header=BB89_7 Depth=2
	s_or_b32 exec_lo, exec_lo, s6
	s_or_b32 s5, s5, s0
	s_delay_alu instid0(SALU_CYCLE_1) | instskip(NEXT) | instid1(SALU_CYCLE_1)
	s_xor_b32 s5, s5, -1
	s_and_saveexec_b32 s6, s5
	s_delay_alu instid0(SALU_CYCLE_1)
	s_xor_b32 s6, exec_lo, s6
	s_cbranch_execz .LBB89_53
; %bb.52:                               ;   in Loop: Header=BB89_7 Depth=2
	v_add_co_u32 v0, s5, v38, v12
	s_delay_alu instid0(VALU_DEP_1)
	v_add_co_ci_u32_e64 v1, s5, v39, v13, s5
	global_load_b64 v[0:1], v[0:1], off
	s_waitcnt vmcnt(0)
	ds_store_b64 v45, v[0:1] offset:4224
.LBB89_53:                              ;   in Loop: Header=BB89_7 Depth=2
	s_and_not1_saveexec_b32 s5, s6
	s_cbranch_execz .LBB89_6
; %bb.54:                               ;   in Loop: Header=BB89_7 Depth=2
	v_mov_b32_e32 v0, v5
	v_mov_b32_e32 v1, v5
	ds_store_b64 v45, v[0:1] offset:4224
	s_branch .LBB89_6
.LBB89_55:                              ;   in Loop: Header=BB89_4 Depth=1
	v_mul_lo_u32 v2, v23, s40
	v_mul_lo_u32 v3, v22, s41
	v_mad_u64_u32 v[0:1], null, v22, s40, 0
	v_cmp_gt_i32_e64 s3, s10, v22
	s_delay_alu instid0(VALU_DEP_2) | instskip(NEXT) | instid1(VALU_DEP_1)
	v_add3_u32 v1, v1, v3, v2
	v_lshlrev_b64 v[0:1], 3, v[0:1]
	s_delay_alu instid0(VALU_DEP_1) | instskip(NEXT) | instid1(VALU_DEP_1)
	v_add_co_u32 v0, s4, s36, v0
	v_add_co_ci_u32_e64 v1, s4, s37, v1, s4
	s_and_b32 s4, s1, s3
	s_delay_alu instid0(SALU_CYCLE_1)
	s_and_saveexec_b32 s5, s4
	s_cbranch_execz .LBB89_57
; %bb.56:                               ;   in Loop: Header=BB89_4 Depth=1
	v_add_co_u32 v2, s4, v0, v16
	s_delay_alu instid0(VALU_DEP_1) | instskip(SKIP_2) | instid1(VALU_DEP_1)
	v_add_co_ci_u32_e64 v3, s4, v1, v17, s4
	global_load_b64 v[23:24], v[2:3], off
	v_mul_f32_e32 v26, s11, v55
	v_dual_mul_f32 v25, s33, v55 :: v_dual_fmac_f32 v26, s33, v54
	s_delay_alu instid0(VALU_DEP_1) | instskip(SKIP_1) | instid1(VALU_DEP_1)
	v_fma_f32 v25, v54, s11, -v25
	s_waitcnt vmcnt(0)
	v_dual_add_f32 v23, v23, v25 :: v_dual_add_f32 v24, v24, v26
	global_store_b64 v[2:3], v[23:24], off
.LBB89_57:                              ;   in Loop: Header=BB89_4 Depth=1
	s_or_b32 exec_lo, exec_lo, s5
	s_and_b32 s3, s2, s3
	s_delay_alu instid0(SALU_CYCLE_1)
	s_and_saveexec_b32 s4, s3
	s_cbranch_execz .LBB89_59
; %bb.58:                               ;   in Loop: Header=BB89_4 Depth=1
	v_lshlrev_b64 v[2:3], 3, v[8:9]
	v_mul_f32_e32 v24, s11, v53
	s_delay_alu instid0(VALU_DEP_1) | instskip(NEXT) | instid1(VALU_DEP_3)
	v_dual_mul_f32 v23, s33, v53 :: v_dual_fmac_f32 v24, s33, v52
	v_add_co_u32 v0, s3, v0, v2
	s_delay_alu instid0(VALU_DEP_1) | instskip(NEXT) | instid1(VALU_DEP_3)
	v_add_co_ci_u32_e64 v1, s3, v1, v3, s3
	v_fma_f32 v23, v52, s11, -v23
	global_load_b64 v[2:3], v[0:1], off
	s_waitcnt vmcnt(0)
	v_dual_add_f32 v2, v2, v23 :: v_dual_add_f32 v3, v3, v24
	global_store_b64 v[0:1], v[2:3], off
.LBB89_59:                              ;   in Loop: Header=BB89_4 Depth=1
	s_or_b32 exec_lo, exec_lo, s4
	v_add_nc_u32_e32 v2, 16, v22
	s_delay_alu instid0(VALU_DEP_1) | instskip(SKIP_3) | instid1(VALU_DEP_4)
	v_ashrrev_i32_e32 v3, 31, v2
	v_mul_lo_u32 v22, v2, s41
	v_mad_u64_u32 v[0:1], null, v2, s40, 0
	v_cmp_gt_i32_e64 s3, s10, v2
	v_mul_lo_u32 v3, v3, s40
	s_delay_alu instid0(VALU_DEP_1) | instskip(NEXT) | instid1(VALU_DEP_1)
	v_add3_u32 v1, v1, v22, v3
	v_lshlrev_b64 v[0:1], 3, v[0:1]
	s_delay_alu instid0(VALU_DEP_1) | instskip(NEXT) | instid1(VALU_DEP_1)
	v_add_co_u32 v0, s4, s36, v0
	v_add_co_ci_u32_e64 v1, s4, s37, v1, s4
	s_and_b32 s4, s1, s3
	s_delay_alu instid0(SALU_CYCLE_1)
	s_and_saveexec_b32 s5, s4
	s_cbranch_execz .LBB89_61
; %bb.60:                               ;   in Loop: Header=BB89_4 Depth=1
	v_add_co_u32 v2, s4, v0, v16
	s_delay_alu instid0(VALU_DEP_1) | instskip(SKIP_2) | instid1(VALU_DEP_1)
	v_add_co_ci_u32_e64 v3, s4, v1, v17, s4
	global_load_b64 v[22:23], v[2:3], off
	v_mul_f32_e32 v25, s11, v51
	v_dual_mul_f32 v24, s33, v51 :: v_dual_fmac_f32 v25, s33, v50
	s_delay_alu instid0(VALU_DEP_1) | instskip(SKIP_1) | instid1(VALU_DEP_1)
	v_fma_f32 v24, v50, s11, -v24
	s_waitcnt vmcnt(0)
	v_dual_add_f32 v22, v22, v24 :: v_dual_add_f32 v23, v23, v25
	global_store_b64 v[2:3], v[22:23], off
.LBB89_61:                              ;   in Loop: Header=BB89_4 Depth=1
	s_or_b32 exec_lo, exec_lo, s5
	s_and_b32 s3, s2, s3
	s_delay_alu instid0(SALU_CYCLE_1)
	s_and_saveexec_b32 s4, s3
	s_cbranch_execz .LBB89_3
; %bb.62:                               ;   in Loop: Header=BB89_4 Depth=1
	v_lshlrev_b64 v[2:3], 3, v[8:9]
	v_mul_f32_e32 v22, s33, v15
	s_delay_alu instid0(VALU_DEP_2) | instskip(NEXT) | instid1(VALU_DEP_1)
	v_add_co_u32 v0, s3, v0, v2
	v_add_co_ci_u32_e64 v1, s3, v1, v3, s3
	global_load_b64 v[2:3], v[0:1], off
	v_mul_f32_e32 v15, s11, v15
	s_delay_alu instid0(VALU_DEP_1) | instskip(SKIP_2) | instid1(VALU_DEP_1)
	v_fmac_f32_e32 v15, s33, v49
	v_fma_f32 v22, v49, s11, -v22
	s_waitcnt vmcnt(0)
	v_dual_add_f32 v2, v2, v22 :: v_dual_add_f32 v3, v3, v15
	global_store_b64 v[0:1], v[2:3], off
	s_branch .LBB89_3
.LBB89_63:
	s_nop 0
	s_sendmsg sendmsg(MSG_DEALLOC_VGPRS)
	s_endpgm
	.section	.rodata,"a",@progbits
	.p2align	6, 0x0
	.amdhsa_kernel _ZL30rocblas_trmm_outofplace_kernelI19rocblas_complex_numIfELi32ELi2ELb0ELb0ELb1ELb0ES1_KS1_S1_Ev17rocblas_diagonal_iiT6_lPT7_lllS6_lllPT8_llli
		.amdhsa_group_segment_fixed_size 16384
		.amdhsa_private_segment_fixed_size 0
		.amdhsa_kernarg_size 392
		.amdhsa_user_sgpr_count 13
		.amdhsa_user_sgpr_dispatch_ptr 0
		.amdhsa_user_sgpr_queue_ptr 0
		.amdhsa_user_sgpr_kernarg_segment_ptr 1
		.amdhsa_user_sgpr_dispatch_id 0
		.amdhsa_user_sgpr_private_segment_size 0
		.amdhsa_wavefront_size32 1
		.amdhsa_uses_dynamic_stack 0
		.amdhsa_enable_private_segment 0
		.amdhsa_system_sgpr_workgroup_id_x 1
		.amdhsa_system_sgpr_workgroup_id_y 1
		.amdhsa_system_sgpr_workgroup_id_z 1
		.amdhsa_system_sgpr_workgroup_info 0
		.amdhsa_system_vgpr_workitem_id 1
		.amdhsa_next_free_vgpr 90
		.amdhsa_next_free_sgpr 46
		.amdhsa_reserve_vcc 1
		.amdhsa_float_round_mode_32 0
		.amdhsa_float_round_mode_16_64 0
		.amdhsa_float_denorm_mode_32 3
		.amdhsa_float_denorm_mode_16_64 3
		.amdhsa_dx10_clamp 1
		.amdhsa_ieee_mode 1
		.amdhsa_fp16_overflow 0
		.amdhsa_workgroup_processor_mode 1
		.amdhsa_memory_ordered 1
		.amdhsa_forward_progress 0
		.amdhsa_shared_vgpr_count 0
		.amdhsa_exception_fp_ieee_invalid_op 0
		.amdhsa_exception_fp_denorm_src 0
		.amdhsa_exception_fp_ieee_div_zero 0
		.amdhsa_exception_fp_ieee_overflow 0
		.amdhsa_exception_fp_ieee_underflow 0
		.amdhsa_exception_fp_ieee_inexact 0
		.amdhsa_exception_int_div_zero 0
	.end_amdhsa_kernel
	.section	.text._ZL30rocblas_trmm_outofplace_kernelI19rocblas_complex_numIfELi32ELi2ELb0ELb0ELb1ELb0ES1_KS1_S1_Ev17rocblas_diagonal_iiT6_lPT7_lllS6_lllPT8_llli,"axG",@progbits,_ZL30rocblas_trmm_outofplace_kernelI19rocblas_complex_numIfELi32ELi2ELb0ELb0ELb1ELb0ES1_KS1_S1_Ev17rocblas_diagonal_iiT6_lPT7_lllS6_lllPT8_llli,comdat
.Lfunc_end89:
	.size	_ZL30rocblas_trmm_outofplace_kernelI19rocblas_complex_numIfELi32ELi2ELb0ELb0ELb1ELb0ES1_KS1_S1_Ev17rocblas_diagonal_iiT6_lPT7_lllS6_lllPT8_llli, .Lfunc_end89-_ZL30rocblas_trmm_outofplace_kernelI19rocblas_complex_numIfELi32ELi2ELb0ELb0ELb1ELb0ES1_KS1_S1_Ev17rocblas_diagonal_iiT6_lPT7_lllS6_lllPT8_llli
                                        ; -- End function
	.section	.AMDGPU.csdata,"",@progbits
; Kernel info:
; codeLenInByte = 7352
; NumSgprs: 48
; NumVgprs: 90
; ScratchSize: 0
; MemoryBound: 1
; FloatMode: 240
; IeeeMode: 1
; LDSByteSize: 16384 bytes/workgroup (compile time only)
; SGPRBlocks: 5
; VGPRBlocks: 11
; NumSGPRsForWavesPerEU: 48
; NumVGPRsForWavesPerEU: 90
; Occupancy: 16
; WaveLimiterHint : 0
; COMPUTE_PGM_RSRC2:SCRATCH_EN: 0
; COMPUTE_PGM_RSRC2:USER_SGPR: 13
; COMPUTE_PGM_RSRC2:TRAP_HANDLER: 0
; COMPUTE_PGM_RSRC2:TGID_X_EN: 1
; COMPUTE_PGM_RSRC2:TGID_Y_EN: 1
; COMPUTE_PGM_RSRC2:TGID_Z_EN: 1
; COMPUTE_PGM_RSRC2:TIDIG_COMP_CNT: 1
	.section	.text._ZL30rocblas_trmm_outofplace_kernelI19rocblas_complex_numIfELi32ELi2ELb0ELb1ELb1ELb0EPKS1_S2_S1_Ev17rocblas_diagonal_iiT6_lPT7_lllS7_lllPT8_llli,"axG",@progbits,_ZL30rocblas_trmm_outofplace_kernelI19rocblas_complex_numIfELi32ELi2ELb0ELb1ELb1ELb0EPKS1_S2_S1_Ev17rocblas_diagonal_iiT6_lPT7_lllS7_lllPT8_llli,comdat
	.globl	_ZL30rocblas_trmm_outofplace_kernelI19rocblas_complex_numIfELi32ELi2ELb0ELb1ELb1ELb0EPKS1_S2_S1_Ev17rocblas_diagonal_iiT6_lPT7_lllS7_lllPT8_llli ; -- Begin function _ZL30rocblas_trmm_outofplace_kernelI19rocblas_complex_numIfELi32ELi2ELb0ELb1ELb1ELb0EPKS1_S2_S1_Ev17rocblas_diagonal_iiT6_lPT7_lllS7_lllPT8_llli
	.p2align	8
	.type	_ZL30rocblas_trmm_outofplace_kernelI19rocblas_complex_numIfELi32ELi2ELb0ELb1ELb1ELb0EPKS1_S2_S1_Ev17rocblas_diagonal_iiT6_lPT7_lllS7_lllPT8_llli,@function
_ZL30rocblas_trmm_outofplace_kernelI19rocblas_complex_numIfELi32ELi2ELb0ELb1ELb1ELb0EPKS1_S2_S1_Ev17rocblas_diagonal_iiT6_lPT7_lllS7_lllPT8_llli: ; @_ZL30rocblas_trmm_outofplace_kernelI19rocblas_complex_numIfELi32ELi2ELb0ELb1ELb1ELb0EPKS1_S2_S1_Ev17rocblas_diagonal_iiT6_lPT7_lllS7_lllPT8_llli
; %bb.0:
	s_load_b512 s[16:31], s[0:1], 0x10
	s_waitcnt lgkmcnt(0)
	s_mul_i32 s2, s15, s19
	s_mul_hi_u32 s3, s15, s18
	s_delay_alu instid0(SALU_CYCLE_1) | instskip(SKIP_1) | instid1(SALU_CYCLE_1)
	s_add_i32 s3, s3, s2
	s_mul_i32 s2, s15, s18
	s_lshl_b64 s[2:3], s[2:3], 3
	s_delay_alu instid0(SALU_CYCLE_1) | instskip(SKIP_4) | instid1(SALU_CYCLE_1)
	s_add_u32 s2, s16, s2
	s_addc_u32 s3, s17, s3
	s_load_b64 s[34:35], s[2:3], 0x0
	s_waitcnt lgkmcnt(0)
	s_or_b32 s2, s34, s35
	s_bitset0_b32 s2, 31
	s_delay_alu instid0(SALU_CYCLE_1)
	s_cmp_eq_u32 s2, 0
	s_cbranch_scc1 .LBB90_63
; %bb.1:
	s_load_b128 s[8:11], s[0:1], 0x0
	s_waitcnt lgkmcnt(0)
	s_add_i32 s2, s10, -1
	s_delay_alu instid0(SALU_CYCLE_1) | instskip(NEXT) | instid1(SALU_CYCLE_1)
	s_ashr_i32 s3, s2, 31
	s_lshr_b32 s3, s3, 27
	s_delay_alu instid0(SALU_CYCLE_1) | instskip(NEXT) | instid1(SALU_CYCLE_1)
	s_add_i32 s2, s2, s3
	s_ashr_i32 s33, s2, 5
	s_delay_alu instid0(SALU_CYCLE_1)
	s_cmp_gt_i32 s14, s33
	s_cbranch_scc1 .LBB90_63
; %bb.2:
	s_clause 0x2
	s_load_b256 s[36:43], s[0:1], 0x50
	s_load_b128 s[16:19], s[0:1], 0x70
	s_load_b32 s44, s[0:1], 0x8c
	v_dual_mov_b32 v15, 0 :: v_dual_and_b32 v10, 0x3ff, v0
	v_bfe_u32 v38, v0, 10, 10
	v_mov_b32_e32 v14, 1.0
	s_delay_alu instid0(VALU_DEP_3) | instskip(SKIP_1) | instid1(VALU_DEP_4)
	v_lshl_add_u32 v0, s13, 5, v10
	v_lshlrev_b32_e32 v11, 3, v10
	v_lshlrev_b32_e32 v39, 8, v38
	s_delay_alu instid0(VALU_DEP_3) | instskip(SKIP_1) | instid1(VALU_DEP_4)
	v_ashrrev_i32_e32 v1, 31, v0
	v_sub_co_u32 v2, vcc_lo, s9, v0
	v_or_b32_e32 v41, 0x2000, v11
	v_add_nc_u32_e32 v4, 16, v0
	s_delay_alu instid0(VALU_DEP_4)
	v_lshlrev_b64 v[6:7], 3, v[0:1]
	v_add_nc_u32_e32 v40, v39, v11
	s_waitcnt lgkmcnt(0)
	s_mul_i32 s1, s15, s39
	s_mul_hi_u32 s2, s15, s38
	s_mul_i32 s0, s15, s38
	s_add_i32 s1, s2, s1
	s_mul_i32 s3, s15, s19
	s_lshl_b64 s[0:1], s[0:1], 3
	s_mul_hi_u32 s4, s15, s18
	s_add_u32 s5, s28, s0
	s_addc_u32 s6, s29, s1
	s_lshl_b64 s[0:1], s[30:31], 3
	s_mul_i32 s2, s15, s18
	s_add_u32 s5, s5, s0
	s_addc_u32 s6, s6, s1
	s_add_i32 s3, s4, s3
	s_mul_i32 s4, s27, s15
	s_lshl_b64 s[0:1], s[2:3], 3
	v_add_nc_u32_e32 v42, v41, v39
	s_add_u32 s2, s40, s0
	s_addc_u32 s3, s41, s1
	s_lshl_b64 s[0:1], s[42:43], 3
	v_ashrrev_i32_e32 v5, 31, v4
	s_add_u32 s38, s2, s0
	s_addc_u32 s39, s3, s1
	s_cmpk_eq_i32 s8, 0x84
	v_cmp_gt_i32_e64 s1, s9, v0
	s_cselect_b32 s40, -1, 0
	s_ashr_i32 s0, s9, 31
	s_ashr_i32 s11, s10, 31
	v_sub_co_ci_u32_e32 v3, vcc_lo, s0, v1, vcc_lo
	v_add_co_u32 v8, vcc_lo, s5, v6
	s_lshl_b64 s[12:13], s[24:25], 8
	s_lshl_b64 s[18:19], s[36:37], 8
	s_mul_hi_u32 s5, s26, s15
	s_add_u32 s28, s10, -16
	s_addc_u32 s29, s11, -1
	s_add_i32 s5, s5, s4
	s_mul_i32 s4, s26, s15
	v_add_co_ci_u32_e32 v9, vcc_lo, s6, v7, vcc_lo
	s_lshl_b32 s3, s14, 5
	s_lshl_b64 s[4:5], s[4:5], 3
	s_lshl_b64 s[6:7], s[22:23], 3
	v_cmp_gt_i64_e32 vcc_lo, 1, v[2:3]
	v_cmp_gt_i64_e64 s0, 17, v[2:3]
	s_lshl_b32 s41, s44, 5
	s_lshl_b64 s[22:23], s[36:37], 3
	v_cmp_gt_i32_e64 s2, s9, v4
	v_add_nc_u32_e32 v43, 0x2080, v11
	v_add_nc_u32_e32 v10, s3, v10
	;; [unrolled: 1-line block ×3, first 2 shown]
	s_add_u32 s3, s4, s6
	s_addc_u32 s4, s5, s7
	s_add_u32 s20, s20, s3
	s_addc_u32 s21, s21, s4
	s_lshl_b64 s[26:27], s[24:25], 3
	s_branch .LBB90_4
.LBB90_3:                               ;   in Loop: Header=BB90_4 Depth=1
	s_or_b32 exec_lo, exec_lo, s4
	v_add_nc_u32_e32 v10, s41, v10
	v_add_nc_u32_e32 v12, s41, v12
	s_add_i32 s14, s44, s14
	s_delay_alu instid0(SALU_CYCLE_1)
	s_cmp_le_i32 s14, s33
	s_cbranch_scc0 .LBB90_63
.LBB90_4:                               ; =>This Loop Header: Depth=1
                                        ;     Child Loop BB90_7 Depth 2
	s_lshl_b32 s3, s14, 5
	v_ashrrev_i32_e32 v11, 31, v10
	v_dual_mov_b32 v51, v15 :: v_dual_add_nc_u32 v16, s3, v38
	v_ashrrev_i32_e32 v13, 31, v12
	v_mov_b32_e32 v50, v15
	v_mov_b32_e32 v48, v15
	s_delay_alu instid0(VALU_DEP_4)
	v_ashrrev_i32_e32 v17, 31, v16
	v_mov_b32_e32 v49, v15
	v_mov_b32_e32 v46, v15
	;; [unrolled: 1-line block ×5, first 2 shown]
	s_sub_i32 s15, s10, s3
	s_delay_alu instid0(SALU_CYCLE_1)
	s_cmp_lt_i32 s15, 1
	s_cbranch_scc1 .LBB90_55
; %bb.5:                                ;   in Loop: Header=BB90_4 Depth=1
	v_lshlrev_b64 v[0:1], 3, v[10:11]
	v_sub_co_u32 v18, s3, v12, v10
	s_delay_alu instid0(VALU_DEP_1) | instskip(SKIP_1) | instid1(VALU_DEP_4)
	v_sub_co_ci_u32_e64 v19, s3, v13, v11, s3
	v_lshlrev_b64 v[22:23], 3, v[12:13]
	v_add_co_u32 v0, s3, 0x80, v0
	s_delay_alu instid0(VALU_DEP_1) | instskip(SKIP_1) | instid1(VALU_DEP_3)
	v_add_co_ci_u32_e64 v1, s3, 0, v1, s3
	v_mad_u64_u32 v[26:27], null, s26, v10, s[20:21]
	v_mul_lo_u32 v32, s25, v0
	v_mad_u64_u32 v[24:25], null, s24, v0, s[20:21]
	v_add_co_u32 v0, s3, 0x80, v22
	s_delay_alu instid0(VALU_DEP_1) | instskip(SKIP_3) | instid1(VALU_DEP_4)
	v_add_co_ci_u32_e64 v28, s3, 0, v23, s3
	v_mul_lo_u32 v1, s24, v1
	v_mul_lo_u32 v33, s26, v11
	;; [unrolled: 1-line block ×5, first 2 shown]
	v_mad_u64_u32 v[28:29], null, s36, v0, 0x80
	v_mad_u64_u32 v[20:21], null, s22, v12, 0x80
	v_mul_lo_u32 v2, s22, v13
	v_mul_lo_u32 v3, s23, v12
	v_add_co_u32 v30, s3, v16, 16
	s_delay_alu instid0(VALU_DEP_1)
	v_add_co_ci_u32_e64 v31, s3, 0, v17, s3
	v_add3_u32 v25, v32, v25, v1
	v_add_co_u32 v32, s5, v18, 16
	v_add3_u32 v27, v34, v27, v33
	v_add_co_ci_u32_e64 v33, s5, 0, v19, s5
	v_add_co_u32 v34, s5, v18, -16
	v_add3_u32 v29, v36, v29, v35
	v_cmp_le_i64_e64 s4, s[10:11], v[30:31]
	v_dual_mov_b32 v44, 0 :: v_dual_mov_b32 v37, v9
	v_add3_u32 v21, v3, v21, v2
	v_cmp_le_i32_e64 s3, s10, v16
	v_add_co_ci_u32_e64 v35, s5, -1, v19, s5
	v_dual_mov_b32 v36, v8 :: v_dual_mov_b32 v45, 0
	v_dual_mov_b32 v47, 0 :: v_dual_mov_b32 v46, 0
	;; [unrolled: 1-line block ×4, first 2 shown]
	s_mov_b64 s[30:31], 0
	s_branch .LBB90_7
.LBB90_6:                               ;   in Loop: Header=BB90_7 Depth=2
	s_or_b32 exec_lo, exec_lo, s5
	s_waitcnt lgkmcnt(0)
	s_waitcnt_vscnt null, 0x0
	s_barrier
	buffer_gl0_inv
	ds_load_2addr_b64 v[52:55], v41 offset1:32
	ds_load_b128 v[56:59], v39
	ds_load_2addr_b64 v[60:63], v43 offset1:32
	ds_load_b128 v[64:67], v39 offset:4096
	ds_load_b128 v[68:71], v39 offset:16
	;; [unrolled: 1-line block ×5, first 2 shown]
	v_add_co_u32 v36, s5, v36, s18
	s_delay_alu instid0(VALU_DEP_1) | instskip(SKIP_1) | instid1(VALU_DEP_1)
	v_add_co_ci_u32_e64 v37, s5, s19, v37, s5
	v_add_co_u32 v24, s5, v24, s12
	v_add_co_ci_u32_e64 v25, s5, s13, v25, s5
	v_add_co_u32 v26, s5, v26, s12
	s_delay_alu instid0(VALU_DEP_1)
	v_add_co_ci_u32_e64 v27, s5, s13, v27, s5
	s_add_u32 s30, s30, 32
	s_waitcnt lgkmcnt(6)
	v_mul_f32_e32 v80, v57, v53
	s_waitcnt lgkmcnt(5)
	v_mul_f32_e32 v82, v57, v61
	v_mul_f32_e32 v83, v56, v61
	s_waitcnt lgkmcnt(4)
	v_mul_f32_e32 v85, v65, v61
	v_mul_f32_e32 v61, v64, v61
	;; [unrolled: 1-line block ×3, first 2 shown]
	s_addc_u32 s31, s31, 0
	s_cmp_ge_i32 s30, s15
	s_delay_alu instid0(VALU_DEP_2) | instskip(NEXT) | instid1(VALU_DEP_1)
	v_fmac_f32_e32 v61, v65, v60
	v_dual_add_f32 v44, v44, v61 :: v_dual_mul_f32 v61, v59, v63
	v_fma_f32 v80, v56, v52, -v80
	s_delay_alu instid0(VALU_DEP_1) | instskip(NEXT) | instid1(VALU_DEP_1)
	v_dual_mul_f32 v81, v56, v53 :: v_dual_add_f32 v50, v50, v80
	v_fmac_f32_e32 v81, v57, v52
	v_fmac_f32_e32 v83, v57, v60
	v_mul_f32_e32 v53, v64, v53
	v_fma_f32 v57, v64, v52, -v84
	s_delay_alu instid0(VALU_DEP_3) | instskip(SKIP_3) | instid1(VALU_DEP_2)
	v_add_f32_e32 v80, v49, v83
	v_mul_f32_e32 v83, v67, v55
	v_fma_f32 v56, v56, v60, -v82
	v_dual_fmac_f32 v53, v65, v52 :: v_dual_mul_f32 v82, v58, v63
	v_add_f32_e32 v56, v48, v56
	v_fma_f32 v52, v64, v60, -v85
	v_mul_f32_e32 v60, v58, v55
	s_delay_alu instid0(VALU_DEP_2) | instskip(NEXT) | instid1(VALU_DEP_2)
	v_dual_fmac_f32 v82, v59, v62 :: v_dual_add_f32 v65, v45, v52
	v_fmac_f32_e32 v60, v59, v54
	v_add_f32_e32 v64, v51, v81
	v_dual_add_f32 v57, v46, v57 :: v_dual_mul_f32 v46, v59, v55
	v_mul_f32_e32 v55, v66, v55
	v_fma_f32 v59, v66, v54, -v83
	s_delay_alu instid0(VALU_DEP_4) | instskip(NEXT) | instid1(VALU_DEP_4)
	v_add_f32_e32 v60, v64, v60
	v_fma_f32 v49, v58, v54, -v46
	v_fma_f32 v58, v58, v62, -v61
	v_add_f32_e32 v53, v47, v53
	ds_load_2addr_b64 v[45:48], v41 offset0:64 offset1:96
	v_fmac_f32_e32 v55, v67, v54
	v_dual_add_f32 v81, v50, v49 :: v_dual_add_f32 v54, v57, v59
	ds_load_2addr_b64 v[49:52], v43 offset0:64 offset1:96
	v_dual_add_f32 v56, v56, v58 :: v_dual_add_f32 v53, v53, v55
	v_mul_f32_e32 v58, v67, v63
	s_delay_alu instid0(VALU_DEP_1) | instskip(NEXT) | instid1(VALU_DEP_1)
	v_fma_f32 v58, v66, v62, -v58
	v_dual_mul_f32 v57, v66, v63 :: v_dual_add_f32 v58, v65, v58
	s_waitcnt lgkmcnt(1)
	v_dual_mul_f32 v55, v68, v46 :: v_dual_mul_f32 v64, v79, v48
	s_delay_alu instid0(VALU_DEP_1) | instskip(NEXT) | instid1(VALU_DEP_1)
	v_fmac_f32_e32 v55, v69, v45
	v_add_f32_e32 v63, v60, v55
	v_mul_f32_e32 v55, v77, v46
	s_delay_alu instid0(VALU_DEP_1) | instskip(SKIP_3) | instid1(VALU_DEP_3)
	v_fma_f32 v55, v76, v45, -v55
	v_fmac_f32_e32 v57, v67, v62
	s_waitcnt lgkmcnt(0)
	v_mul_f32_e32 v67, v70, v52
	v_dual_add_f32 v66, v54, v55 :: v_dual_mul_f32 v59, v69, v46
	s_delay_alu instid0(VALU_DEP_3) | instskip(SKIP_4) | instid1(VALU_DEP_4)
	v_add_f32_e32 v44, v44, v57
	v_mul_f32_e32 v57, v68, v50
	v_mul_f32_e32 v46, v76, v46
	v_add_f32_e32 v61, v80, v82
	v_fma_f32 v59, v68, v45, -v59
	v_dual_mul_f32 v54, v71, v48 :: v_dual_fmac_f32 v57, v69, v49
	s_delay_alu instid0(VALU_DEP_4) | instskip(NEXT) | instid1(VALU_DEP_3)
	v_dual_fmac_f32 v46, v77, v45 :: v_dual_mul_f32 v45, v76, v50
	v_add_f32_e32 v59, v81, v59
	v_fmac_f32_e32 v67, v71, v51
	s_delay_alu instid0(VALU_DEP_4)
	v_add_f32_e32 v65, v61, v57
	v_fma_f32 v57, v70, v47, -v54
	v_mul_f32_e32 v62, v69, v50
	v_fmac_f32_e32 v45, v77, v49
	v_add_f32_e32 v46, v53, v46
	v_fma_f32 v69, v78, v47, -v64
	s_delay_alu instid0(VALU_DEP_3) | instskip(SKIP_2) | instid1(VALU_DEP_1)
	v_add_f32_e32 v44, v44, v45
	v_add_f32_e32 v45, v59, v57
	v_fma_f32 v62, v68, v49, -v62
	v_add_f32_e32 v62, v56, v62
	v_mul_f32_e32 v56, v77, v50
	s_delay_alu instid0(VALU_DEP_1)
	v_fma_f32 v50, v76, v49, -v56
	ds_load_2addr_b64 v[53:56], v41 offset0:128 offset1:160
	v_dual_add_f32 v49, v58, v50 :: v_dual_mul_f32 v58, v71, v52
	v_mul_f32_e32 v50, v70, v48
	v_dual_mul_f32 v48, v78, v48 :: v_dual_add_f32 v65, v65, v67
	v_mul_f32_e32 v67, v79, v52
	s_delay_alu instid0(VALU_DEP_4)
	v_fma_f32 v61, v70, v51, -v58
	ds_load_2addr_b64 v[57:60], v43 offset0:128 offset1:160
	v_fmac_f32_e32 v50, v71, v47
	v_dual_fmac_f32 v48, v79, v47 :: v_dual_mul_f32 v47, v78, v52
	v_add_f32_e32 v68, v62, v61
	v_add_f32_e32 v52, v66, v69
	s_delay_alu instid0(VALU_DEP_4)
	v_add_f32_e32 v50, v63, v50
	ds_load_b128 v[61:64], v39 offset:4128
	v_add_f32_e32 v48, v46, v48
	s_waitcnt lgkmcnt(2)
	v_mul_f32_e32 v66, v73, v54
	v_fma_f32 v67, v78, v51, -v67
	s_delay_alu instid0(VALU_DEP_2) | instskip(SKIP_1) | instid1(VALU_DEP_2)
	v_fma_f32 v46, v72, v53, -v66
	s_waitcnt lgkmcnt(1)
	v_dual_add_f32 v49, v49, v67 :: v_dual_mul_f32 v70, v72, v58
	v_dual_mul_f32 v66, v73, v58 :: v_dual_fmac_f32 v47, v79, v51
	s_delay_alu instid0(VALU_DEP_2) | instskip(NEXT) | instid1(VALU_DEP_2)
	v_dual_mul_f32 v51, v72, v54 :: v_dual_fmac_f32 v70, v73, v57
	v_fma_f32 v66, v72, v57, -v66
	s_delay_alu instid0(VALU_DEP_3) | instskip(NEXT) | instid1(VALU_DEP_3)
	v_add_f32_e32 v67, v44, v47
	v_fmac_f32_e32 v51, v73, v53
	v_add_f32_e32 v69, v45, v46
	ds_load_b128 v[44:47], v39 offset:4144
	s_waitcnt lgkmcnt(1)
	v_mul_f32_e32 v71, v62, v54
	v_add_f32_e32 v72, v50, v51
	v_mul_f32_e32 v50, v61, v54
	v_add_f32_e32 v54, v68, v66
	s_delay_alu instid0(VALU_DEP_4) | instskip(NEXT) | instid1(VALU_DEP_3)
	v_fma_f32 v51, v61, v53, -v71
	v_dual_mul_f32 v73, v64, v56 :: v_dual_fmac_f32 v50, v62, v53
	v_mul_f32_e32 v53, v61, v58
	v_add_f32_e32 v70, v65, v70
	s_delay_alu instid0(VALU_DEP_2) | instskip(SKIP_2) | instid1(VALU_DEP_3)
	v_dual_add_f32 v52, v52, v51 :: v_dual_fmac_f32 v53, v62, v57
	v_mul_f32_e32 v66, v62, v58
	v_mul_f32_e32 v58, v75, v56
	v_add_f32_e32 v53, v67, v53
	s_delay_alu instid0(VALU_DEP_3)
	v_fma_f32 v51, v61, v57, -v66
	v_add_f32_e32 v61, v48, v50
	v_mul_f32_e32 v57, v74, v56
	v_fma_f32 v58, v74, v55, -v58
	v_mul_f32_e32 v56, v63, v56
	v_add_f32_e32 v62, v49, v51
	ds_load_2addr_b64 v[48:51], v41 offset0:192 offset1:224
	v_dual_fmac_f32 v57, v75, v55 :: v_dual_add_f32 v58, v69, v58
	v_dual_mul_f32 v71, v75, v60 :: v_dual_fmac_f32 v56, v64, v55
	ds_load_2addr_b64 v[65:68], v43 offset0:192 offset1:224
	v_add_f32_e32 v57, v72, v57
	v_mul_f32_e32 v69, v74, v60
	v_fma_f32 v71, v74, v59, -v71
	v_add_f32_e32 v56, v61, v56
	s_delay_alu instid0(VALU_DEP_2) | instskip(SKIP_3) | instid1(VALU_DEP_3)
	v_add_f32_e32 v54, v54, v71
	v_fma_f32 v72, v63, v55, -v73
	v_fmac_f32_e32 v69, v75, v59
	v_mul_f32_e32 v55, v63, v60
	v_add_f32_e32 v52, v52, v72
	v_add_nc_u32_e32 v72, 0x800, v41
	s_delay_alu instid0(VALU_DEP_4) | instskip(SKIP_4) | instid1(VALU_DEP_2)
	v_add_f32_e32 v69, v70, v69
	s_waitcnt lgkmcnt(1)
	v_mul_f32_e32 v61, v0, v49
	s_waitcnt lgkmcnt(0)
	v_dual_fmac_f32 v55, v64, v59 :: v_dual_mul_f32 v74, v47, v68
	v_fmac_f32_e32 v61, v1, v48
	v_mul_f32_e32 v71, v64, v60
	s_delay_alu instid0(VALU_DEP_3) | instskip(NEXT) | instid1(VALU_DEP_3)
	v_add_f32_e32 v53, v53, v55
	v_dual_mul_f32 v55, v0, v66 :: v_dual_add_f32 v64, v57, v61
	s_delay_alu instid0(VALU_DEP_3) | instskip(SKIP_1) | instid1(VALU_DEP_3)
	v_fma_f32 v60, v63, v59, -v71
	v_mul_f32_e32 v63, v1, v49
	v_fmac_f32_e32 v55, v1, v65
	v_mul_f32_e32 v57, v45, v49
	v_mul_f32_e32 v61, v3, v68
	v_dual_add_f32 v59, v62, v60 :: v_dual_mul_f32 v62, v1, v66
	v_fma_f32 v60, v0, v48, -v63
	v_mul_f32_e32 v1, v44, v49
	s_delay_alu instid0(VALU_DEP_3) | instskip(NEXT) | instid1(VALU_DEP_3)
	v_fma_f32 v0, v0, v65, -v62
	v_dual_add_f32 v60, v58, v60 :: v_dual_mul_f32 v49, v45, v66
	s_delay_alu instid0(VALU_DEP_2) | instskip(SKIP_2) | instid1(VALU_DEP_1)
	v_add_f32_e32 v0, v54, v0
	v_fma_f32 v54, v44, v48, -v57
	v_dual_mul_f32 v57, v44, v66 :: v_dual_mul_f32 v66, v2, v51
	v_dual_fmac_f32 v57, v45, v65 :: v_dual_fmac_f32 v66, v3, v50
	s_delay_alu instid0(VALU_DEP_1) | instskip(SKIP_1) | instid1(VALU_DEP_1)
	v_add_f32_e32 v64, v64, v66
	v_mul_f32_e32 v66, v46, v51
	v_dual_fmac_f32 v66, v47, v50 :: v_dual_fmac_f32 v1, v45, v48
	v_dual_add_f32 v48, v69, v55 :: v_dual_mul_f32 v69, v2, v68
	v_mul_f32_e32 v68, v46, v68
	s_delay_alu instid0(VALU_DEP_1) | instskip(SKIP_1) | instid1(VALU_DEP_1)
	v_dual_fmac_f32 v68, v47, v67 :: v_dual_add_f32 v45, v56, v1
	v_mul_f32_e32 v1, v3, v51
	v_fma_f32 v1, v2, v50, -v1
	s_delay_alu instid0(VALU_DEP_1) | instskip(SKIP_3) | instid1(VALU_DEP_3)
	v_add_f32_e32 v70, v60, v1
	v_fma_f32 v44, v44, v65, -v49
	v_fma_f32 v1, v2, v67, -v61
	v_dual_mul_f32 v2, v47, v51 :: v_dual_add_f32 v49, v52, v54
	v_add_f32_e32 v44, v59, v44
	s_delay_alu instid0(VALU_DEP_2)
	v_fma_f32 v51, v46, v50, -v2
	v_fma_f32 v46, v46, v67, -v74
	v_add_f32_e32 v65, v53, v57
	ds_load_2addr_b64 v[52:55], v72 offset1:32
	ds_load_b128 v[56:59], v39 offset:64
	v_dual_add_f32 v74, v44, v46 :: v_dual_add_nc_u32 v73, 0x800, v43
	v_add_f32_e32 v68, v65, v68
	v_add_f32_e32 v66, v45, v66
	ds_load_2addr_b64 v[60:63], v73 offset1:32
	v_fmac_f32_e32 v69, v3, v67
	v_add_f32_e32 v71, v0, v1
	ds_load_b128 v[0:3], v39 offset:4160
	s_waitcnt lgkmcnt(2)
	v_mul_f32_e32 v76, v57, v53
	v_add_f32_e32 v75, v49, v51
	v_mul_f32_e32 v67, v56, v53
	s_delay_alu instid0(VALU_DEP_3) | instskip(SKIP_2) | instid1(VALU_DEP_2)
	v_fma_f32 v45, v56, v52, -v76
	s_waitcnt lgkmcnt(1)
	v_mul_f32_e32 v44, v57, v61
	v_dual_fmac_f32 v67, v57, v52 :: v_dual_add_f32 v70, v70, v45
	v_mul_f32_e32 v65, v56, v61
	s_delay_alu instid0(VALU_DEP_3)
	v_fma_f32 v56, v56, v60, -v44
	v_add_f32_e32 v69, v48, v69
	ds_load_b128 v[48:51], v39 offset:80
	s_waitcnt lgkmcnt(1)
	v_mul_f32_e32 v76, v1, v53
	v_mul_f32_e32 v53, v0, v53
	v_fmac_f32_e32 v65, v57, v60
	ds_load_b128 v[44:47], v39 offset:4176
	v_fma_f32 v57, v0, v52, -v76
	v_dual_fmac_f32 v53, v1, v52 :: v_dual_mul_f32 v52, v0, v61
	s_delay_alu instid0(VALU_DEP_1) | instskip(SKIP_2) | instid1(VALU_DEP_3)
	v_fmac_f32_e32 v52, v1, v60
	v_dual_add_f32 v56, v71, v56 :: v_dual_add_f32 v77, v64, v67
	v_dual_mul_f32 v64, v1, v61 :: v_dual_mul_f32 v61, v59, v55
	v_dual_add_f32 v57, v75, v57 :: v_dual_add_f32 v52, v68, v52
	s_delay_alu instid0(VALU_DEP_2) | instskip(NEXT) | instid1(VALU_DEP_3)
	v_fma_f32 v0, v0, v60, -v64
	v_fma_f32 v60, v58, v54, -v61
	s_delay_alu instid0(VALU_DEP_2) | instskip(SKIP_1) | instid1(VALU_DEP_3)
	v_add_f32_e32 v0, v74, v0
	v_mul_f32_e32 v74, v58, v63
	v_add_f32_e32 v60, v70, v60
	s_delay_alu instid0(VALU_DEP_2)
	v_dual_mul_f32 v1, v58, v55 :: v_dual_fmac_f32 v74, v59, v62
	v_add_f32_e32 v76, v69, v65
	ds_load_2addr_b64 v[68:71], v73 offset0:64 offset1:96
	v_mul_f32_e32 v61, v59, v63
	v_mul_f32_e32 v75, v3, v55
	v_fmac_f32_e32 v1, v59, v54
	s_delay_alu instid0(VALU_DEP_3) | instskip(NEXT) | instid1(VALU_DEP_3)
	v_fma_f32 v58, v58, v62, -v61
	v_fma_f32 v59, v2, v54, -v75
	v_add_f32_e32 v61, v76, v74
	s_delay_alu instid0(VALU_DEP_3)
	v_dual_mul_f32 v55, v2, v55 :: v_dual_add_f32 v56, v56, v58
	v_add_f32_e32 v53, v66, v53
	ds_load_2addr_b64 v[64:67], v72 offset0:64 offset1:96
	v_mul_f32_e32 v58, v3, v63
	v_dual_fmac_f32 v55, v3, v54 :: v_dual_add_f32 v54, v57, v59
	v_mul_f32_e32 v57, v2, v63
	s_delay_alu instid0(VALU_DEP_3) | instskip(SKIP_2) | instid1(VALU_DEP_3)
	v_fma_f32 v2, v2, v62, -v58
	s_waitcnt lgkmcnt(1)
	v_mul_f32_e32 v63, v50, v71
	v_fmac_f32_e32 v57, v3, v62
	s_delay_alu instid0(VALU_DEP_3) | instskip(SKIP_1) | instid1(VALU_DEP_3)
	v_dual_mul_f32 v3, v49, v69 :: v_dual_add_f32 v0, v0, v2
	s_waitcnt lgkmcnt(0)
	v_dual_fmac_f32 v63, v51, v70 :: v_dual_mul_f32 v58, v49, v65
	v_mul_f32_e32 v62, v50, v67
	v_add_f32_e32 v53, v53, v55
	s_delay_alu instid0(VALU_DEP_3) | instskip(NEXT) | instid1(VALU_DEP_3)
	v_fma_f32 v2, v48, v64, -v58
	v_fmac_f32_e32 v62, v51, v66
	v_mul_f32_e32 v58, v48, v69
	v_add_f32_e32 v1, v77, v1
	s_delay_alu instid0(VALU_DEP_4) | instskip(SKIP_1) | instid1(VALU_DEP_4)
	v_add_f32_e32 v59, v60, v2
	v_fma_f32 v2, v48, v68, -v3
	v_dual_mul_f32 v3, v44, v65 :: v_dual_fmac_f32 v58, v49, v68
	s_delay_alu instid0(VALU_DEP_1) | instskip(SKIP_1) | instid1(VALU_DEP_1)
	v_fmac_f32_e32 v3, v45, v64
	v_mul_f32_e32 v55, v48, v65
	v_fmac_f32_e32 v55, v49, v64
	v_dual_add_f32 v49, v56, v2 :: v_dual_mul_f32 v2, v45, v69
	v_mul_f32_e32 v56, v44, v69
	s_delay_alu instid0(VALU_DEP_2) | instskip(NEXT) | instid1(VALU_DEP_2)
	v_fma_f32 v2, v44, v68, -v2
	v_fmac_f32_e32 v56, v45, v68
	v_mul_f32_e32 v68, v47, v67
	v_add_f32_e32 v48, v1, v55
	v_add_f32_e32 v60, v61, v58
	v_dual_mul_f32 v1, v45, v65 :: v_dual_mul_f32 v58, v51, v71
	v_add_f32_e32 v45, v0, v2
	s_delay_alu instid0(VALU_DEP_4)
	v_add_f32_e32 v69, v48, v62
	v_fma_f32 v62, v46, v66, -v68
	v_add_f32_e32 v68, v60, v63
	v_fma_f32 v1, v44, v64, -v1
	v_mul_f32_e32 v44, v51, v67
	v_mul_f32_e32 v67, v46, v67
	v_add_f32_e32 v64, v53, v3
	s_delay_alu instid0(VALU_DEP_3) | instskip(NEXT) | instid1(VALU_DEP_3)
	v_fma_f32 v44, v50, v66, -v44
	v_fmac_f32_e32 v67, v47, v66
	v_dual_mul_f32 v66, v47, v71 :: v_dual_add_f32 v57, v52, v57
	s_delay_alu instid0(VALU_DEP_3) | instskip(SKIP_1) | instid1(VALU_DEP_3)
	v_dual_mul_f32 v71, v46, v71 :: v_dual_add_f32 v44, v59, v44
	v_fma_f32 v50, v50, v70, -v58
	v_fma_f32 v46, v46, v70, -v66
	s_delay_alu instid0(VALU_DEP_4) | instskip(NEXT) | instid1(VALU_DEP_4)
	v_add_f32_e32 v65, v57, v56
	v_fmac_f32_e32 v71, v47, v70
	v_add_f32_e32 v61, v54, v1
	ds_load_2addr_b64 v[0:3], v72 offset0:128 offset1:160
	ds_load_b128 v[52:55], v39 offset:96
	ds_load_2addr_b64 v[56:59], v73 offset0:128 offset1:160
	v_add_f32_e32 v64, v64, v67
	s_waitcnt lgkmcnt(1)
	v_mul_f32_e32 v76, v53, v1
	v_add_f32_e32 v74, v49, v50
	ds_load_b128 v[48:51], v39 offset:4192
	v_mul_f32_e32 v66, v52, v1
	v_add_f32_e32 v70, v65, v71
	v_fma_f32 v47, v52, v0, -v76
	s_delay_alu instid0(VALU_DEP_1)
	v_dual_fmac_f32 v66, v53, v0 :: v_dual_add_f32 v71, v44, v47
	v_add_f32_e32 v67, v45, v46
	s_waitcnt lgkmcnt(1)
	v_mul_f32_e32 v45, v53, v57
	v_add_f32_e32 v75, v61, v62
	ds_load_b128 v[60:63], v39 offset:112
	v_mul_f32_e32 v65, v52, v57
	v_fma_f32 v52, v52, v56, -v45
	ds_load_b128 v[44:47], v39 offset:4208
	s_waitcnt lgkmcnt(2)
	v_mul_f32_e32 v76, v49, v1
	v_dual_mul_f32 v1, v48, v1 :: v_dual_add_f32 v52, v74, v52
	v_fmac_f32_e32 v65, v53, v56
	s_delay_alu instid0(VALU_DEP_3) | instskip(NEXT) | instid1(VALU_DEP_3)
	v_fma_f32 v53, v48, v0, -v76
	v_dual_fmac_f32 v1, v49, v0 :: v_dual_mul_f32 v0, v48, v57
	s_delay_alu instid0(VALU_DEP_3) | instskip(NEXT) | instid1(VALU_DEP_2)
	v_add_f32_e32 v74, v68, v65
	v_dual_add_f32 v1, v64, v1 :: v_dual_fmac_f32 v0, v49, v56
	s_delay_alu instid0(VALU_DEP_1) | instskip(SKIP_2) | instid1(VALU_DEP_2)
	v_dual_add_f32 v0, v70, v0 :: v_dual_add_f32 v77, v69, v66
	v_dual_mul_f32 v66, v49, v57 :: v_dual_mul_f32 v57, v55, v3
	v_mul_f32_e32 v49, v54, v3
	v_fma_f32 v48, v48, v56, -v66
	s_delay_alu instid0(VALU_DEP_3) | instskip(SKIP_1) | instid1(VALU_DEP_2)
	v_fma_f32 v56, v54, v2, -v57
	v_mul_f32_e32 v57, v55, v59
	v_add_f32_e32 v56, v71, v56
	s_delay_alu instid0(VALU_DEP_4)
	v_add_f32_e32 v48, v67, v48
	ds_load_2addr_b64 v[64:67], v72 offset0:192 offset1:224
	v_mul_f32_e32 v72, v54, v59
	ds_load_2addr_b64 v[68:71], v73 offset0:192 offset1:224
	v_mul_f32_e32 v73, v51, v3
	v_fma_f32 v54, v54, v58, -v57
	v_add_f32_e32 v53, v75, v53
	v_fmac_f32_e32 v72, v55, v58
	v_fmac_f32_e32 v49, v55, v2
	s_delay_alu instid0(VALU_DEP_4) | instskip(NEXT) | instid1(VALU_DEP_3)
	v_dual_mul_f32 v3, v50, v3 :: v_dual_add_f32 v52, v52, v54
	v_dual_mul_f32 v54, v51, v59 :: v_dual_add_f32 v57, v74, v72
	v_add_nc_u32_e32 v72, 0x1000, v41
	v_fma_f32 v55, v50, v2, -v73
	s_delay_alu instid0(VALU_DEP_1) | instskip(SKIP_3) | instid1(VALU_DEP_2)
	v_dual_fmac_f32 v3, v51, v2 :: v_dual_add_f32 v2, v53, v55
	v_mul_f32_e32 v53, v50, v59
	v_fma_f32 v50, v50, v58, -v54
	s_waitcnt lgkmcnt(1)
	v_dual_mul_f32 v54, v61, v65 :: v_dual_fmac_f32 v53, v51, v58
	s_delay_alu instid0(VALU_DEP_2) | instskip(NEXT) | instid1(VALU_DEP_2)
	v_add_f32_e32 v48, v48, v50
	v_fma_f32 v50, v60, v64, -v54
	s_waitcnt lgkmcnt(0)
	v_mul_f32_e32 v51, v61, v69
	v_add_f32_e32 v0, v0, v53
	v_mul_f32_e32 v53, v60, v69
	v_add_f32_e32 v54, v56, v50
	s_delay_alu instid0(VALU_DEP_4) | instskip(SKIP_1) | instid1(VALU_DEP_2)
	v_fma_f32 v50, v60, v68, -v51
	v_mul_f32_e32 v51, v44, v69
	v_dual_add_f32 v58, v52, v50 :: v_dual_add_f32 v1, v1, v3
	v_mul_f32_e32 v3, v60, v65
	v_mul_f32_e32 v50, v45, v69
	v_add_f32_e32 v49, v77, v49
	v_fmac_f32_e32 v51, v45, v68
	s_delay_alu instid0(VALU_DEP_4) | instskip(NEXT) | instid1(VALU_DEP_1)
	v_fmac_f32_e32 v3, v61, v64
	v_dual_add_f32 v56, v49, v3 :: v_dual_mul_f32 v49, v44, v65
	v_mul_f32_e32 v3, v45, v65
	s_delay_alu instid0(VALU_DEP_2) | instskip(NEXT) | instid1(VALU_DEP_2)
	v_fmac_f32_e32 v49, v45, v64
	v_fma_f32 v3, v44, v64, -v3
	v_fma_f32 v44, v44, v68, -v50
	s_delay_alu instid0(VALU_DEP_3) | instskip(SKIP_1) | instid1(VALU_DEP_4)
	v_dual_add_f32 v64, v0, v51 :: v_dual_add_f32 v45, v1, v49
	v_mul_f32_e32 v1, v63, v67
	v_add_f32_e32 v60, v2, v3
	s_delay_alu instid0(VALU_DEP_4) | instskip(NEXT) | instid1(VALU_DEP_3)
	v_add_f32_e32 v44, v48, v44
	v_fma_f32 v52, v62, v66, -v1
	ds_load_2addr_b64 v[0:3], v72 offset1:32
	ds_load_b128 v[48:51], v39 offset:128
	v_fmac_f32_e32 v53, v61, v68
	v_add_nc_u32_e32 v73, 0x1000, v43
	v_mul_f32_e32 v61, v62, v71
	v_add_f32_e32 v65, v54, v52
	v_mul_f32_e32 v59, v62, v67
	v_add_f32_e32 v57, v57, v53
	v_mul_f32_e32 v53, v63, v71
	v_mul_f32_e32 v68, v47, v67
	v_fmac_f32_e32 v61, v63, v70
	v_fmac_f32_e32 v59, v63, v66
	s_delay_alu instid0(VALU_DEP_4)
	v_fma_f32 v62, v62, v70, -v53
	ds_load_2addr_b64 v[52:55], v73 offset1:32
	v_dual_add_f32 v69, v56, v59 :: v_dual_add_f32 v74, v58, v62
	v_fma_f32 v62, v46, v66, -v68
	v_add_f32_e32 v68, v57, v61
	ds_load_b128 v[56:59], v39 offset:4224
	s_waitcnt lgkmcnt(2)
	v_dual_mul_f32 v76, v49, v1 :: v_dual_add_f32 v75, v60, v62
	ds_load_b128 v[60:63], v39 offset:144
	v_mul_f32_e32 v67, v46, v67
	s_delay_alu instid0(VALU_DEP_1) | instskip(SKIP_2) | instid1(VALU_DEP_2)
	v_fmac_f32_e32 v67, v47, v66
	v_mul_f32_e32 v66, v47, v71
	v_mul_f32_e32 v71, v46, v71
	v_fma_f32 v46, v46, v70, -v66
	s_delay_alu instid0(VALU_DEP_2) | instskip(SKIP_2) | instid1(VALU_DEP_4)
	v_dual_add_f32 v66, v45, v67 :: v_dual_fmac_f32 v71, v47, v70
	v_fma_f32 v45, v48, v0, -v76
	v_mul_f32_e32 v67, v48, v1
	v_add_f32_e32 v70, v44, v46
	s_waitcnt lgkmcnt(2)
	v_dual_mul_f32 v44, v49, v53 :: v_dual_add_f32 v71, v64, v71
	v_add_f32_e32 v76, v65, v45
	v_mul_f32_e32 v64, v48, v53
	s_waitcnt lgkmcnt(1)
	v_mul_f32_e32 v65, v57, v1
	v_fma_f32 v48, v48, v52, -v44
	ds_load_b128 v[44:47], v39 offset:4240
	v_mul_f32_e32 v1, v56, v1
	v_fmac_f32_e32 v67, v49, v0
	v_fmac_f32_e32 v64, v49, v52
	v_fma_f32 v49, v56, v0, -v65
	v_mul_f32_e32 v65, v57, v53
	v_dual_fmac_f32 v1, v57, v0 :: v_dual_mul_f32 v0, v56, v53
	s_delay_alu instid0(VALU_DEP_3) | instskip(NEXT) | instid1(VALU_DEP_3)
	v_dual_add_f32 v48, v74, v48 :: v_dual_add_f32 v49, v75, v49
	v_fma_f32 v53, v56, v52, -v65
	v_mul_f32_e32 v56, v51, v3
	s_delay_alu instid0(VALU_DEP_4) | instskip(SKIP_2) | instid1(VALU_DEP_4)
	v_dual_fmac_f32 v0, v57, v52 :: v_dual_mul_f32 v57, v51, v55
	v_mul_f32_e32 v52, v50, v3
	v_mul_f32_e32 v75, v50, v55
	v_fma_f32 v56, v50, v2, -v56
	v_add_f32_e32 v53, v70, v53
	v_fma_f32 v50, v50, v54, -v57
	v_add_f32_e32 v74, v68, v64
	v_add_f32_e32 v0, v71, v0
	v_fmac_f32_e32 v52, v51, v2
	v_add_f32_e32 v56, v76, v56
	v_add_f32_e32 v48, v48, v50
	v_mul_f32_e32 v50, v59, v55
	v_mul_f32_e32 v76, v59, v3
	v_fmac_f32_e32 v75, v51, v54
	v_mul_f32_e32 v3, v58, v3
	s_delay_alu instid0(VALU_DEP_4) | instskip(NEXT) | instid1(VALU_DEP_4)
	v_fma_f32 v50, v58, v54, -v50
	v_fma_f32 v51, v58, v2, -v76
	s_delay_alu instid0(VALU_DEP_3) | instskip(NEXT) | instid1(VALU_DEP_3)
	v_fmac_f32_e32 v3, v59, v2
	v_add_f32_e32 v50, v53, v50
	v_add_f32_e32 v77, v69, v67
	ds_load_2addr_b64 v[68:71], v73 offset0:64 offset1:96
	v_add_f32_e32 v1, v66, v1
	ds_load_2addr_b64 v[64:67], v72 offset0:64 offset1:96
	v_add_f32_e32 v2, v49, v51
	v_dual_mul_f32 v49, v58, v55 :: v_dual_add_f32 v52, v77, v52
	v_add_f32_e32 v1, v1, v3
	s_delay_alu instid0(VALU_DEP_2) | instskip(NEXT) | instid1(VALU_DEP_1)
	v_fmac_f32_e32 v49, v59, v54
	v_add_f32_e32 v55, v0, v49
	s_waitcnt lgkmcnt(1)
	v_mul_f32_e32 v53, v61, v69
	v_mul_f32_e32 v54, v60, v69
	s_waitcnt lgkmcnt(0)
	v_mul_f32_e32 v3, v60, v65
	v_mul_f32_e32 v51, v61, v65
	v_mul_f32_e32 v49, v44, v65
	v_fma_f32 v0, v60, v68, -v53
	v_fmac_f32_e32 v54, v61, v68
	v_fmac_f32_e32 v3, v61, v64
	v_fma_f32 v51, v60, v64, -v51
	v_fmac_f32_e32 v49, v45, v64
	v_dual_add_f32 v59, v48, v0 :: v_dual_mul_f32 v0, v45, v69
	s_delay_alu instid0(VALU_DEP_4) | instskip(SKIP_2) | instid1(VALU_DEP_4)
	v_dual_add_f32 v58, v52, v3 :: v_dual_mul_f32 v3, v45, v65
	v_mul_f32_e32 v52, v44, v69
	v_add_f32_e32 v56, v56, v51
	v_fma_f32 v0, v44, v68, -v0
	v_mul_f32_e32 v61, v62, v67
	v_fma_f32 v3, v44, v64, -v3
	v_add_f32_e32 v64, v1, v49
	v_fmac_f32_e32 v52, v45, v68
	v_dual_add_f32 v45, v50, v0 :: v_dual_mul_f32 v44, v63, v67
	s_delay_alu instid0(VALU_DEP_4)
	v_add_f32_e32 v60, v2, v3
	ds_load_2addr_b64 v[0:3], v72 offset0:128 offset1:160
	ds_load_b128 v[48:51], v39 offset:160
	v_mul_f32_e32 v53, v63, v71
	v_fmac_f32_e32 v61, v63, v66
	v_fma_f32 v44, v62, v66, -v44
	v_dual_mul_f32 v68, v62, v71 :: v_dual_add_f32 v65, v55, v52
	s_delay_alu instid0(VALU_DEP_2) | instskip(SKIP_2) | instid1(VALU_DEP_4)
	v_dual_add_f32 v69, v58, v61 :: v_dual_add_f32 v44, v56, v44
	v_fma_f32 v56, v62, v70, -v53
	v_mul_f32_e32 v62, v47, v67
	v_dual_mul_f32 v67, v46, v67 :: v_dual_fmac_f32 v68, v63, v70
	s_delay_alu instid0(VALU_DEP_2) | instskip(NEXT) | instid1(VALU_DEP_2)
	v_fma_f32 v61, v46, v66, -v62
	v_fmac_f32_e32 v67, v47, v66
	v_mul_f32_e32 v66, v47, v71
	s_waitcnt lgkmcnt(0)
	v_dual_mul_f32 v71, v46, v71 :: v_dual_mul_f32 v76, v49, v1
	s_delay_alu instid0(VALU_DEP_3) | instskip(SKIP_1) | instid1(VALU_DEP_3)
	v_add_f32_e32 v64, v64, v67
	v_add_f32_e32 v57, v74, v75
	v_fmac_f32_e32 v71, v47, v70
	v_fma_f32 v46, v46, v70, -v66
	v_fma_f32 v47, v48, v0, -v76
	v_add_f32_e32 v74, v59, v56
	v_mul_f32_e32 v66, v48, v1
	v_add_f32_e32 v70, v65, v71
	v_add_f32_e32 v67, v45, v46
	;; [unrolled: 1-line block ×4, first 2 shown]
	ds_load_2addr_b64 v[52:55], v73 offset0:128 offset1:160
	v_fmac_f32_e32 v66, v49, v0
	v_add_f32_e32 v68, v57, v68
	ds_load_b128 v[56:59], v39 offset:4256
	v_add_f32_e32 v77, v69, v66
	s_waitcnt lgkmcnt(1)
	v_mul_f32_e32 v45, v49, v53
	v_mul_f32_e32 v65, v48, v53
	s_delay_alu instid0(VALU_DEP_2)
	v_fma_f32 v48, v48, v52, -v45
	ds_load_b128 v[44:47], v39 offset:4272
	v_add_f32_e32 v75, v60, v61
	ds_load_b128 v[60:63], v39 offset:176
	s_waitcnt lgkmcnt(2)
	v_mul_f32_e32 v76, v57, v1
	v_mul_f32_e32 v1, v56, v1
	;; [unrolled: 1-line block ×3, first 2 shown]
	v_fmac_f32_e32 v65, v49, v52
	v_add_f32_e32 v48, v74, v48
	v_fma_f32 v49, v56, v0, -v76
	v_dual_fmac_f32 v1, v57, v0 :: v_dual_mul_f32 v0, v56, v53
	v_fma_f32 v53, v56, v52, -v66
	v_mul_f32_e32 v56, v51, v3
	v_add_f32_e32 v74, v68, v65
	s_delay_alu instid0(VALU_DEP_4) | instskip(NEXT) | instid1(VALU_DEP_4)
	v_dual_add_f32 v1, v64, v1 :: v_dual_fmac_f32 v0, v57, v52
	v_add_f32_e32 v53, v67, v53
	s_delay_alu instid0(VALU_DEP_4)
	v_fma_f32 v56, v50, v2, -v56
	ds_load_2addr_b64 v[64:67], v72 offset0:192 offset1:224
	v_dual_mul_f32 v57, v51, v55 :: v_dual_add_f32 v0, v70, v0
	v_mul_f32_e32 v52, v50, v3
	v_add_f32_e32 v56, v71, v56
	ds_load_2addr_b64 v[68:71], v73 offset0:192 offset1:224
	v_mul_f32_e32 v72, v50, v55
	v_mul_f32_e32 v73, v59, v3
	v_fma_f32 v50, v50, v54, -v57
	v_mul_f32_e32 v3, v58, v3
	v_add_f32_e32 v49, v75, v49
	v_fmac_f32_e32 v52, v51, v2
	v_fmac_f32_e32 v72, v51, v54
	v_fma_f32 v51, v58, v2, -v73
	v_add_f32_e32 v48, v48, v50
	v_mul_f32_e32 v50, v59, v55
	v_fmac_f32_e32 v3, v59, v2
	s_delay_alu instid0(VALU_DEP_4) | instskip(SKIP_1) | instid1(VALU_DEP_4)
	v_dual_add_f32 v57, v74, v72 :: v_dual_add_f32 v2, v49, v51
	v_mul_f32_e32 v49, v58, v55
	v_fma_f32 v50, v58, v54, -v50
	s_waitcnt lgkmcnt(1)
	v_mul_f32_e32 v51, v61, v65
	v_add_f32_e32 v1, v1, v3
	v_mul_f32_e32 v3, v60, v65
	v_add_nc_u32_e32 v72, 0x1800, v41
	v_add_f32_e32 v52, v77, v52
	v_add_f32_e32 v50, v53, v50
	v_fma_f32 v51, v60, v64, -v51
	s_waitcnt lgkmcnt(0)
	v_mul_f32_e32 v53, v61, v69
	v_fmac_f32_e32 v3, v61, v64
	v_fmac_f32_e32 v49, v59, v54
	v_add_nc_u32_e32 v73, 0x1800, v43
	v_add_f32_e32 v54, v56, v51
	v_fma_f32 v51, v60, v68, -v53
	v_add_f32_e32 v56, v52, v3
	v_mul_f32_e32 v52, v44, v65
	v_add_f32_e32 v0, v0, v49
	v_mul_f32_e32 v49, v60, v69
	v_dual_mul_f32 v3, v45, v65 :: v_dual_add_f32 v58, v48, v51
	v_mul_f32_e32 v48, v45, v69
	v_dual_mul_f32 v51, v44, v69 :: v_dual_fmac_f32 v52, v45, v64
	s_delay_alu instid0(VALU_DEP_4) | instskip(NEXT) | instid1(VALU_DEP_4)
	v_fmac_f32_e32 v49, v61, v68
	v_fma_f32 v3, v44, v64, -v3
	s_delay_alu instid0(VALU_DEP_4) | instskip(NEXT) | instid1(VALU_DEP_4)
	v_fma_f32 v44, v44, v68, -v48
	v_fmac_f32_e32 v51, v45, v68
	v_add_f32_e32 v45, v1, v52
	v_mul_f32_e32 v1, v63, v67
	v_dual_add_f32 v57, v57, v49 :: v_dual_add_f32 v60, v2, v3
	v_add_f32_e32 v44, v50, v44
	v_add_f32_e32 v64, v0, v51
	s_delay_alu instid0(VALU_DEP_4)
	v_fma_f32 v52, v62, v66, -v1
	v_mul_f32_e32 v53, v63, v71
	ds_load_2addr_b64 v[0:3], v72 offset1:32
	ds_load_b128 v[48:51], v39 offset:192
	v_mul_f32_e32 v59, v62, v67
	v_mul_f32_e32 v61, v62, v71
	v_add_f32_e32 v65, v54, v52
	v_fma_f32 v62, v62, v70, -v53
	ds_load_2addr_b64 v[52:55], v73 offset1:32
	v_mul_f32_e32 v68, v47, v67
	v_mul_f32_e32 v67, v46, v67
	v_fmac_f32_e32 v59, v63, v66
	v_add_f32_e32 v74, v58, v62
	v_fmac_f32_e32 v61, v63, v70
	v_fma_f32 v62, v46, v66, -v68
	v_fmac_f32_e32 v67, v47, v66
	v_mul_f32_e32 v66, v47, v71
	s_delay_alu instid0(VALU_DEP_4) | instskip(NEXT) | instid1(VALU_DEP_4)
	v_dual_mul_f32 v71, v46, v71 :: v_dual_add_f32 v68, v57, v61
	v_add_f32_e32 v75, v60, v62
	ds_load_b128 v[60:63], v39 offset:208
	v_fma_f32 v46, v46, v70, -v66
	v_add_f32_e32 v66, v45, v67
	s_waitcnt lgkmcnt(2)
	v_dual_mul_f32 v76, v49, v1 :: v_dual_fmac_f32 v71, v47, v70
	v_mul_f32_e32 v67, v48, v1
	v_add_f32_e32 v70, v44, v46
	s_delay_alu instid0(VALU_DEP_3) | instskip(SKIP_3) | instid1(VALU_DEP_3)
	v_fma_f32 v45, v48, v0, -v76
	s_waitcnt lgkmcnt(1)
	v_dual_mul_f32 v44, v49, v53 :: v_dual_add_f32 v71, v64, v71
	v_mul_f32_e32 v64, v48, v53
	v_add_f32_e32 v76, v65, v45
	s_delay_alu instid0(VALU_DEP_3)
	v_fma_f32 v48, v48, v52, -v44
	ds_load_b128 v[44:47], v39 offset:4304
	v_add_f32_e32 v69, v56, v59
	ds_load_b128 v[56:59], v39 offset:4288
	v_fmac_f32_e32 v67, v49, v0
	v_fmac_f32_e32 v64, v49, v52
	s_delay_alu instid0(VALU_DEP_2) | instskip(SKIP_1) | instid1(VALU_DEP_2)
	v_dual_add_f32 v48, v74, v48 :: v_dual_add_f32 v77, v69, v67
	s_waitcnt lgkmcnt(0)
	v_dual_add_f32 v74, v68, v64 :: v_dual_mul_f32 v65, v57, v1
	v_mul_f32_e32 v1, v56, v1
	s_delay_alu instid0(VALU_DEP_2) | instskip(SKIP_1) | instid1(VALU_DEP_3)
	v_fma_f32 v49, v56, v0, -v65
	v_mul_f32_e32 v65, v57, v53
	v_dual_fmac_f32 v1, v57, v0 :: v_dual_mul_f32 v0, v56, v53
	s_delay_alu instid0(VALU_DEP_3) | instskip(NEXT) | instid1(VALU_DEP_3)
	v_add_f32_e32 v49, v75, v49
	v_fma_f32 v53, v56, v52, -v65
	v_mul_f32_e32 v56, v51, v3
	s_delay_alu instid0(VALU_DEP_4)
	v_dual_fmac_f32 v0, v57, v52 :: v_dual_add_f32 v1, v66, v1
	ds_load_2addr_b64 v[64:67], v72 offset0:64 offset1:96
	v_add_f32_e32 v53, v70, v53
	v_fma_f32 v56, v50, v2, -v56
	v_add_f32_e32 v0, v71, v0
	v_mul_f32_e32 v57, v51, v55
	ds_load_2addr_b64 v[68:71], v73 offset0:64 offset1:96
	v_mul_f32_e32 v52, v50, v3
	v_dual_add_f32 v56, v76, v56 :: v_dual_mul_f32 v75, v50, v55
	v_mul_f32_e32 v76, v59, v3
	v_fma_f32 v50, v50, v54, -v57
	s_delay_alu instid0(VALU_DEP_4) | instskip(NEXT) | instid1(VALU_DEP_4)
	v_dual_fmac_f32 v52, v51, v2 :: v_dual_mul_f32 v3, v58, v3
	v_fmac_f32_e32 v75, v51, v54
	s_delay_alu instid0(VALU_DEP_4) | instskip(NEXT) | instid1(VALU_DEP_4)
	v_fma_f32 v51, v58, v2, -v76
	v_add_f32_e32 v48, v48, v50
	v_mul_f32_e32 v50, v59, v55
	v_dual_fmac_f32 v3, v59, v2 :: v_dual_add_f32 v52, v77, v52
	s_delay_alu instid0(VALU_DEP_4) | instskip(SKIP_1) | instid1(VALU_DEP_4)
	v_add_f32_e32 v2, v49, v51
	v_mul_f32_e32 v49, v58, v55
	v_fma_f32 v50, v58, v54, -v50
	s_delay_alu instid0(VALU_DEP_4)
	v_add_f32_e32 v1, v1, v3
	s_waitcnt lgkmcnt(1)
	v_mul_f32_e32 v3, v60, v65
	v_mul_f32_e32 v51, v61, v65
	v_fmac_f32_e32 v49, v59, v54
	v_add_f32_e32 v50, v53, v50
	s_waitcnt lgkmcnt(0)
	v_mul_f32_e32 v53, v61, v69
	v_fmac_f32_e32 v3, v61, v64
	v_fma_f32 v51, v60, v64, -v51
	v_add_f32_e32 v55, v0, v49
	v_mul_f32_e32 v54, v60, v69
	v_fma_f32 v0, v60, v68, -v53
	v_dual_add_f32 v58, v52, v3 :: v_dual_mul_f32 v3, v45, v65
	v_mul_f32_e32 v49, v44, v65
	v_mul_f32_e32 v52, v44, v69
	s_delay_alu instid0(VALU_DEP_4) | instskip(NEXT) | instid1(VALU_DEP_4)
	v_dual_add_f32 v59, v48, v0 :: v_dual_mul_f32 v0, v45, v69
	v_fma_f32 v3, v44, v64, -v3
	v_add_f32_e32 v56, v56, v51
	v_dual_fmac_f32 v54, v61, v68 :: v_dual_mul_f32 v61, v62, v67
	s_delay_alu instid0(VALU_DEP_4) | instskip(SKIP_4) | instid1(VALU_DEP_4)
	v_fma_f32 v0, v44, v68, -v0
	v_mul_f32_e32 v44, v63, v67
	v_mul_f32_e32 v53, v63, v71
	;; [unrolled: 1-line block ×3, first 2 shown]
	v_dual_fmac_f32 v61, v63, v66 :: v_dual_fmac_f32 v52, v45, v68
	v_fma_f32 v44, v62, v66, -v44
	v_dual_fmac_f32 v49, v45, v64 :: v_dual_add_f32 v60, v2, v3
	s_delay_alu instid0(VALU_DEP_3) | instskip(NEXT) | instid1(VALU_DEP_3)
	v_dual_add_f32 v69, v58, v61 :: v_dual_add_f32 v68, v55, v52
	v_add_f32_e32 v44, v56, v44
	v_fma_f32 v56, v62, v70, -v53
	v_mul_f32_e32 v62, v47, v67
	v_dual_mul_f32 v67, v46, v67 :: v_dual_add_f32 v64, v1, v49
	v_add_f32_e32 v45, v50, v0
	ds_load_2addr_b64 v[0:3], v72 offset0:128 offset1:160
	ds_load_b128 v[48:51], v39 offset:224
	v_fma_f32 v61, v46, v66, -v62
	v_fmac_f32_e32 v67, v47, v66
	v_mul_f32_e32 v66, v47, v71
	v_mul_f32_e32 v71, v46, v71
	s_delay_alu instid0(VALU_DEP_3) | instskip(NEXT) | instid1(VALU_DEP_3)
	v_dual_fmac_f32 v65, v63, v70 :: v_dual_add_f32 v64, v64, v67
	v_fma_f32 v46, v46, v70, -v66
	s_delay_alu instid0(VALU_DEP_3) | instskip(NEXT) | instid1(VALU_DEP_1)
	v_fmac_f32_e32 v71, v47, v70
	v_dual_add_f32 v67, v45, v46 :: v_dual_add_f32 v68, v68, v71
	v_dual_add_f32 v57, v74, v75 :: v_dual_add_f32 v74, v59, v56
	s_delay_alu instid0(VALU_DEP_1) | instskip(SKIP_4) | instid1(VALU_DEP_2)
	v_add_f32_e32 v57, v57, v54
	ds_load_2addr_b64 v[52:55], v73 offset0:128 offset1:160
	s_waitcnt lgkmcnt(1)
	v_mul_f32_e32 v76, v49, v1
	v_mul_f32_e32 v66, v48, v1
	v_fma_f32 v47, v48, v0, -v76
	s_delay_alu instid0(VALU_DEP_2) | instskip(NEXT) | instid1(VALU_DEP_2)
	v_fmac_f32_e32 v66, v49, v0
	v_add_f32_e32 v70, v44, v47
	s_delay_alu instid0(VALU_DEP_2) | instskip(SKIP_3) | instid1(VALU_DEP_2)
	v_add_f32_e32 v76, v69, v66
	s_waitcnt lgkmcnt(0)
	v_mul_f32_e32 v45, v49, v53
	v_mul_f32_e32 v71, v48, v53
	v_fma_f32 v48, v48, v52, -v45
	ds_load_b128 v[44:47], v39 offset:4336
	v_add_f32_e32 v65, v57, v65
	ds_load_b128 v[56:59], v39 offset:4320
	v_add_f32_e32 v75, v60, v61
	ds_load_b128 v[60:63], v39 offset:240
	v_fmac_f32_e32 v71, v49, v52
	v_add_f32_e32 v48, v74, v48
	s_delay_alu instid0(VALU_DEP_2) | instskip(SKIP_4) | instid1(VALU_DEP_3)
	v_add_f32_e32 v74, v65, v71
	s_waitcnt lgkmcnt(1)
	v_mul_f32_e32 v66, v57, v1
	v_mul_f32_e32 v1, v56, v1
	;; [unrolled: 1-line block ×3, first 2 shown]
	v_fma_f32 v66, v56, v0, -v66
	s_delay_alu instid0(VALU_DEP_3) | instskip(NEXT) | instid1(VALU_DEP_3)
	v_dual_fmac_f32 v1, v57, v0 :: v_dual_mul_f32 v0, v56, v53
	v_fma_f32 v49, v56, v52, -v49
	v_mul_f32_e32 v56, v51, v3
	s_delay_alu instid0(VALU_DEP_4) | instskip(NEXT) | instid1(VALU_DEP_4)
	v_add_f32_e32 v53, v75, v66
	v_dual_add_f32 v1, v64, v1 :: v_dual_fmac_f32 v0, v57, v52
	s_delay_alu instid0(VALU_DEP_4) | instskip(NEXT) | instid1(VALU_DEP_4)
	v_add_f32_e32 v49, v67, v49
	v_fma_f32 v56, v50, v2, -v56
	ds_load_2addr_b64 v[64:67], v72 offset0:192 offset1:224
	v_dual_mul_f32 v57, v51, v55 :: v_dual_add_f32 v0, v68, v0
	v_mul_f32_e32 v52, v50, v3
	v_add_f32_e32 v56, v70, v56
	ds_load_2addr_b64 v[68:71], v73 offset0:192 offset1:224
	v_mul_f32_e32 v72, v50, v55
	v_fma_f32 v50, v50, v54, -v57
	v_mul_f32_e32 v57, v59, v3
	v_dual_fmac_f32 v52, v51, v2 :: v_dual_mul_f32 v3, v58, v3
	s_delay_alu instid0(VALU_DEP_4) | instskip(NEXT) | instid1(VALU_DEP_4)
	v_fmac_f32_e32 v72, v51, v54
	v_add_f32_e32 v48, v48, v50
	s_delay_alu instid0(VALU_DEP_4) | instskip(SKIP_3) | instid1(VALU_DEP_4)
	v_fma_f32 v50, v58, v2, -v57
	v_mul_f32_e32 v51, v59, v55
	v_fmac_f32_e32 v3, v59, v2
	v_dual_mul_f32 v55, v58, v55 :: v_dual_add_f32 v52, v76, v52
	v_add_f32_e32 v2, v53, v50
	s_delay_alu instid0(VALU_DEP_4)
	v_fma_f32 v50, v58, v54, -v51
	s_waitcnt lgkmcnt(1)
	v_mul_f32_e32 v51, v61, v65
	v_fmac_f32_e32 v55, v59, v54
	v_add_f32_e32 v1, v1, v3
	v_mul_f32_e32 v3, v60, v65
	v_add_f32_e32 v49, v49, v50
	v_fma_f32 v50, v60, v64, -v51
	s_waitcnt lgkmcnt(0)
	v_mul_f32_e32 v51, v61, v69
	v_mul_f32_e32 v54, v45, v65
	v_dual_fmac_f32 v3, v61, v64 :: v_dual_add_f32 v0, v0, v55
	v_mul_f32_e32 v55, v62, v67
	s_delay_alu instid0(VALU_DEP_4) | instskip(NEXT) | instid1(VALU_DEP_4)
	v_fma_f32 v51, v60, v68, -v51
	v_fma_f32 v54, v44, v64, -v54
	s_delay_alu instid0(VALU_DEP_4)
	v_add_f32_e32 v3, v52, v3
	v_mul_f32_e32 v52, v44, v65
	v_mul_f32_e32 v53, v60, v69
	v_dual_add_f32 v48, v48, v51 :: v_dual_mul_f32 v51, v45, v69
	v_add_f32_e32 v2, v2, v54
	v_mul_f32_e32 v54, v44, v69
	v_add_f32_e32 v50, v56, v50
	v_fmac_f32_e32 v52, v45, v64
	v_fma_f32 v44, v44, v68, -v51
	s_delay_alu instid0(VALU_DEP_4) | instskip(SKIP_2) | instid1(VALU_DEP_4)
	v_dual_mul_f32 v51, v63, v67 :: v_dual_fmac_f32 v54, v45, v68
	v_fmac_f32_e32 v55, v63, v66
	v_add_f32_e32 v57, v74, v72
	v_add_f32_e32 v44, v49, v44
	s_delay_alu instid0(VALU_DEP_4)
	v_fma_f32 v45, v62, v66, -v51
	v_mul_f32_e32 v49, v63, v71
	v_fmac_f32_e32 v53, v61, v68
	v_dual_add_f32 v1, v1, v52 :: v_dual_mul_f32 v52, v62, v71
	v_add_f32_e32 v0, v0, v54
	v_dual_add_f32 v50, v50, v45 :: v_dual_add_f32 v51, v3, v55
	v_fma_f32 v3, v62, v70, -v49
	v_mul_f32_e32 v45, v47, v67
	v_mul_f32_e32 v54, v46, v67
	;; [unrolled: 1-line block ×4, first 2 shown]
	v_dual_add_f32 v53, v57, v53 :: v_dual_fmac_f32 v52, v63, v70
	s_delay_alu instid0(VALU_DEP_4)
	v_fmac_f32_e32 v54, v47, v66
	v_add_f32_e32 v48, v48, v3
	v_fma_f32 v3, v46, v66, -v45
	v_fma_f32 v45, v46, v70, -v49
	v_fmac_f32_e32 v55, v47, v70
	v_add_f32_e32 v49, v53, v52
	s_delay_alu instid0(VALU_DEP_4) | instskip(NEXT) | instid1(VALU_DEP_4)
	v_dual_add_f32 v47, v1, v54 :: v_dual_add_f32 v46, v2, v3
	v_add_f32_e32 v45, v44, v45
	s_delay_alu instid0(VALU_DEP_4)
	v_add_f32_e32 v44, v0, v55
	s_barrier
	buffer_gl0_inv
	s_cbranch_scc1 .LBB90_55
.LBB90_7:                               ;   Parent Loop BB90_4 Depth=1
                                        ; =>  This Inner Loop Header: Depth=2
	v_add_co_u32 v0, s5, v10, s30
	s_delay_alu instid0(VALU_DEP_1) | instskip(SKIP_1) | instid1(VALU_DEP_2)
	v_add_co_ci_u32_e64 v1, s5, s31, v11, s5
	v_cmp_eq_u64_e64 s7, s[30:31], v[18:19]
	v_cmp_lt_i64_e64 s5, v[0:1], v[16:17]
	v_cmp_le_i64_e64 s6, s[10:11], v[0:1]
	s_delay_alu instid0(VALU_DEP_3) | instskip(SKIP_1) | instid1(VALU_DEP_3)
	s_and_b32 s43, s40, s7
	v_add_co_u32 v2, s7, v26, v22
	s_or_b32 s8, s3, s5
	v_add_co_ci_u32_e64 v3, s7, v27, v23, s7
	s_delay_alu instid0(VALU_DEP_3) | instskip(NEXT) | instid1(SALU_CYCLE_1)
	s_or_b32 s8, s6, s8
	s_or_b32 s7, s8, s43
	s_delay_alu instid0(SALU_CYCLE_1) | instskip(NEXT) | instid1(SALU_CYCLE_1)
	s_xor_b32 s7, s7, -1
	s_and_saveexec_b32 s8, s7
	s_delay_alu instid0(SALU_CYCLE_1)
	s_xor_b32 s7, exec_lo, s8
	s_cbranch_execz .LBB90_9
; %bb.8:                                ;   in Loop: Header=BB90_7 Depth=2
	global_load_b64 v[52:53], v[2:3], off
	s_waitcnt vmcnt(0)
	ds_store_b64 v40, v[52:53]
.LBB90_9:                               ;   in Loop: Header=BB90_7 Depth=2
	s_or_saveexec_b32 s7, s7
	s_xor_b32 s42, s43, -1
	s_xor_b32 exec_lo, exec_lo, s7
	s_cbranch_execz .LBB90_15
; %bb.10:                               ;   in Loop: Header=BB90_7 Depth=2
	s_and_saveexec_b32 s8, s42
	s_delay_alu instid0(SALU_CYCLE_1)
	s_xor_b32 s8, exec_lo, s8
	s_cbranch_execz .LBB90_12
; %bb.11:                               ;   in Loop: Header=BB90_7 Depth=2
	v_mov_b32_e32 v52, v15
	v_mov_b32_e32 v53, v15
	ds_store_b64 v40, v[52:53]
.LBB90_12:                              ;   in Loop: Header=BB90_7 Depth=2
	s_and_not1_saveexec_b32 s8, s8
	s_cbranch_execz .LBB90_14
; %bb.13:                               ;   in Loop: Header=BB90_7 Depth=2
	ds_store_b64 v40, v[14:15]
.LBB90_14:                              ;   in Loop: Header=BB90_7 Depth=2
	s_or_b32 exec_lo, exec_lo, s8
.LBB90_15:                              ;   in Loop: Header=BB90_7 Depth=2
	s_delay_alu instid0(SALU_CYCLE_1) | instskip(SKIP_1) | instid1(VALU_DEP_1)
	s_or_b32 exec_lo, exec_lo, s7
	v_add_co_u32 v52, s7, v0, 16
	v_add_co_ci_u32_e64 v53, s7, 0, v1, s7
	v_cmp_eq_u64_e64 s9, s[30:31], v[34:35]
	s_delay_alu instid0(VALU_DEP_2) | instskip(SKIP_1) | instid1(VALU_DEP_3)
	v_cmp_lt_i64_e64 s8, v[52:53], v[16:17]
	v_cmp_le_i64_e64 s7, s[10:11], v[52:53]
	s_and_b32 s9, s40, s9
	s_delay_alu instid0(VALU_DEP_2)
	s_or_b32 s8, s3, s8
	s_delay_alu instid0(VALU_DEP_1) | instid1(SALU_CYCLE_1)
	s_or_b32 s8, s7, s8
	s_delay_alu instid0(SALU_CYCLE_1) | instskip(NEXT) | instid1(SALU_CYCLE_1)
	s_or_b32 s8, s8, s9
	s_xor_b32 s8, s8, -1
	s_delay_alu instid0(SALU_CYCLE_1) | instskip(NEXT) | instid1(SALU_CYCLE_1)
	s_and_saveexec_b32 s45, s8
	s_xor_b32 s45, exec_lo, s45
	s_cbranch_execz .LBB90_17
; %bb.16:                               ;   in Loop: Header=BB90_7 Depth=2
	v_add_co_u32 v52, s8, v24, v22
	s_delay_alu instid0(VALU_DEP_1)
	v_add_co_ci_u32_e64 v53, s8, v25, v23, s8
	global_load_b64 v[52:53], v[52:53], off
	s_waitcnt vmcnt(0)
	ds_store_b64 v40, v[52:53] offset:128
.LBB90_17:                              ;   in Loop: Header=BB90_7 Depth=2
	s_and_not1_saveexec_b32 s8, s45
	s_cbranch_execz .LBB90_23
; %bb.18:                               ;   in Loop: Header=BB90_7 Depth=2
	s_xor_b32 s9, s9, -1
	s_delay_alu instid0(SALU_CYCLE_1) | instskip(NEXT) | instid1(SALU_CYCLE_1)
	s_and_saveexec_b32 s45, s9
	s_xor_b32 s9, exec_lo, s45
	s_cbranch_execz .LBB90_20
; %bb.19:                               ;   in Loop: Header=BB90_7 Depth=2
	v_mov_b32_e32 v52, v15
	v_mov_b32_e32 v53, v15
	ds_store_b64 v40, v[52:53] offset:128
.LBB90_20:                              ;   in Loop: Header=BB90_7 Depth=2
	s_and_not1_saveexec_b32 s9, s9
	s_cbranch_execz .LBB90_22
; %bb.21:                               ;   in Loop: Header=BB90_7 Depth=2
	ds_store_b64 v40, v[14:15] offset:128
.LBB90_22:                              ;   in Loop: Header=BB90_7 Depth=2
	s_or_b32 exec_lo, exec_lo, s9
.LBB90_23:                              ;   in Loop: Header=BB90_7 Depth=2
	s_delay_alu instid0(SALU_CYCLE_1) | instskip(SKIP_2) | instid1(VALU_DEP_2)
	s_or_b32 exec_lo, exec_lo, s8
	v_cmp_eq_u64_e64 s8, s[30:31], v[32:33]
	v_cmp_lt_i64_e64 s9, v[0:1], v[30:31]
	s_and_b32 s8, s40, s8
	s_delay_alu instid0(VALU_DEP_1) | instskip(NEXT) | instid1(SALU_CYCLE_1)
	s_or_b32 s9, s4, s9
	s_or_b32 s9, s9, s8
	s_delay_alu instid0(SALU_CYCLE_1) | instskip(NEXT) | instid1(SALU_CYCLE_1)
	s_or_b32 s6, s6, s9
	s_xor_b32 s6, s6, -1
	s_delay_alu instid0(SALU_CYCLE_1) | instskip(NEXT) | instid1(SALU_CYCLE_1)
	s_and_saveexec_b32 s9, s6
	s_xor_b32 s6, exec_lo, s9
	s_cbranch_execz .LBB90_25
; %bb.24:                               ;   in Loop: Header=BB90_7 Depth=2
	global_load_b64 v[0:1], v[2:3], off offset:128
	s_waitcnt vmcnt(0)
	ds_store_b64 v40, v[0:1] offset:4096
.LBB90_25:                              ;   in Loop: Header=BB90_7 Depth=2
	s_and_not1_saveexec_b32 s6, s6
	s_cbranch_execz .LBB90_31
; %bb.26:                               ;   in Loop: Header=BB90_7 Depth=2
	s_xor_b32 s8, s8, -1
	s_delay_alu instid0(SALU_CYCLE_1) | instskip(NEXT) | instid1(SALU_CYCLE_1)
	s_and_saveexec_b32 s9, s8
	s_xor_b32 s8, exec_lo, s9
	s_cbranch_execz .LBB90_28
; %bb.27:                               ;   in Loop: Header=BB90_7 Depth=2
	v_mov_b32_e32 v0, v15
	v_mov_b32_e32 v1, v15
	ds_store_b64 v40, v[0:1] offset:4096
.LBB90_28:                              ;   in Loop: Header=BB90_7 Depth=2
	s_and_not1_saveexec_b32 s8, s8
	s_cbranch_execz .LBB90_30
; %bb.29:                               ;   in Loop: Header=BB90_7 Depth=2
	ds_store_b64 v40, v[14:15] offset:4096
.LBB90_30:                              ;   in Loop: Header=BB90_7 Depth=2
	s_or_b32 exec_lo, exec_lo, s8
.LBB90_31:                              ;   in Loop: Header=BB90_7 Depth=2
	s_delay_alu instid0(SALU_CYCLE_1) | instskip(SKIP_1) | instid1(SALU_CYCLE_1)
	s_or_b32 exec_lo, exec_lo, s6
	s_or_b32 s5, s4, s5
	s_or_b32 s5, s7, s5
	s_delay_alu instid0(SALU_CYCLE_1) | instskip(NEXT) | instid1(SALU_CYCLE_1)
	s_or_b32 s5, s5, s43
	s_xor_b32 s5, s5, -1
	s_delay_alu instid0(SALU_CYCLE_1) | instskip(NEXT) | instid1(SALU_CYCLE_1)
	s_and_saveexec_b32 s6, s5
	s_xor_b32 s6, exec_lo, s6
	s_cbranch_execz .LBB90_33
; %bb.32:                               ;   in Loop: Header=BB90_7 Depth=2
	v_add_co_u32 v0, s5, v24, v22
	s_delay_alu instid0(VALU_DEP_1)
	v_add_co_ci_u32_e64 v1, s5, v25, v23, s5
	global_load_b64 v[0:1], v[0:1], off offset:128
	s_waitcnt vmcnt(0)
	ds_store_b64 v40, v[0:1] offset:4224
.LBB90_33:                              ;   in Loop: Header=BB90_7 Depth=2
	s_and_not1_saveexec_b32 s5, s6
	s_cbranch_execz .LBB90_39
; %bb.34:                               ;   in Loop: Header=BB90_7 Depth=2
	s_and_saveexec_b32 s6, s42
	s_delay_alu instid0(SALU_CYCLE_1)
	s_xor_b32 s6, exec_lo, s6
	s_cbranch_execz .LBB90_36
; %bb.35:                               ;   in Loop: Header=BB90_7 Depth=2
	v_mov_b32_e32 v0, v15
	v_mov_b32_e32 v1, v15
	ds_store_b64 v40, v[0:1] offset:4224
.LBB90_36:                              ;   in Loop: Header=BB90_7 Depth=2
	s_and_not1_saveexec_b32 s6, s6
	s_cbranch_execz .LBB90_38
; %bb.37:                               ;   in Loop: Header=BB90_7 Depth=2
	ds_store_b64 v40, v[14:15] offset:4224
.LBB90_38:                              ;   in Loop: Header=BB90_7 Depth=2
	s_or_b32 exec_lo, exec_lo, s6
.LBB90_39:                              ;   in Loop: Header=BB90_7 Depth=2
	s_delay_alu instid0(SALU_CYCLE_1) | instskip(SKIP_1) | instid1(VALU_DEP_1)
	s_or_b32 exec_lo, exec_lo, s5
	v_add_co_u32 v0, s5, v12, s30
	v_add_co_ci_u32_e64 v1, s5, s31, v13, s5
	v_add_co_u32 v2, s6, v36, v20
	s_delay_alu instid0(VALU_DEP_1) | instskip(NEXT) | instid1(VALU_DEP_3)
	v_add_co_ci_u32_e64 v3, s6, v37, v21, s6
	v_cmp_le_i64_e64 s5, s[10:11], v[0:1]
	s_delay_alu instid0(VALU_DEP_1) | instskip(NEXT) | instid1(SALU_CYCLE_1)
	s_or_b32 s6, s5, vcc_lo
	s_xor_b32 s6, s6, -1
	s_delay_alu instid0(SALU_CYCLE_1) | instskip(NEXT) | instid1(SALU_CYCLE_1)
	s_and_saveexec_b32 s7, s6
	s_xor_b32 s6, exec_lo, s7
	s_cbranch_execz .LBB90_41
; %bb.40:                               ;   in Loop: Header=BB90_7 Depth=2
	global_load_b64 v[52:53], v[2:3], off offset:-128
	s_waitcnt vmcnt(0)
	ds_store_b64 v42, v[52:53]
.LBB90_41:                              ;   in Loop: Header=BB90_7 Depth=2
	s_and_not1_saveexec_b32 s6, s6
	s_cbranch_execz .LBB90_43
; %bb.42:                               ;   in Loop: Header=BB90_7 Depth=2
	v_mov_b32_e32 v52, v15
	v_mov_b32_e32 v53, v15
	ds_store_b64 v42, v[52:53]
.LBB90_43:                              ;   in Loop: Header=BB90_7 Depth=2
	s_or_b32 exec_lo, exec_lo, s6
	s_or_b32 s5, s5, s0
	s_delay_alu instid0(SALU_CYCLE_1) | instskip(NEXT) | instid1(SALU_CYCLE_1)
	s_xor_b32 s5, s5, -1
	s_and_saveexec_b32 s6, s5
	s_delay_alu instid0(SALU_CYCLE_1)
	s_xor_b32 s5, exec_lo, s6
	s_cbranch_execz .LBB90_45
; %bb.44:                               ;   in Loop: Header=BB90_7 Depth=2
	global_load_b64 v[2:3], v[2:3], off
	s_waitcnt vmcnt(0)
	ds_store_b64 v42, v[2:3] offset:128
.LBB90_45:                              ;   in Loop: Header=BB90_7 Depth=2
	s_and_not1_saveexec_b32 s5, s5
	s_cbranch_execz .LBB90_47
; %bb.46:                               ;   in Loop: Header=BB90_7 Depth=2
	v_mov_b32_e32 v2, v15
	v_mov_b32_e32 v3, v15
	ds_store_b64 v42, v[2:3] offset:128
.LBB90_47:                              ;   in Loop: Header=BB90_7 Depth=2
	s_or_b32 exec_lo, exec_lo, s5
	v_cmp_le_i64_e64 s5, s[28:29], v[0:1]
	s_delay_alu instid0(VALU_DEP_1) | instskip(NEXT) | instid1(SALU_CYCLE_1)
	s_or_b32 s6, s5, vcc_lo
	s_xor_b32 s6, s6, -1
	s_delay_alu instid0(SALU_CYCLE_1) | instskip(NEXT) | instid1(SALU_CYCLE_1)
	s_and_saveexec_b32 s7, s6
	s_xor_b32 s7, exec_lo, s7
	s_cbranch_execz .LBB90_49
; %bb.48:                               ;   in Loop: Header=BB90_7 Depth=2
	v_add_co_u32 v0, s6, v36, v28
	s_delay_alu instid0(VALU_DEP_1)
	v_add_co_ci_u32_e64 v1, s6, v37, v29, s6
	global_load_b64 v[0:1], v[0:1], off offset:-128
	s_waitcnt vmcnt(0)
	ds_store_b64 v42, v[0:1] offset:4096
.LBB90_49:                              ;   in Loop: Header=BB90_7 Depth=2
	s_and_not1_saveexec_b32 s6, s7
	s_cbranch_execz .LBB90_51
; %bb.50:                               ;   in Loop: Header=BB90_7 Depth=2
	v_mov_b32_e32 v0, v15
	v_mov_b32_e32 v1, v15
	ds_store_b64 v42, v[0:1] offset:4096
.LBB90_51:                              ;   in Loop: Header=BB90_7 Depth=2
	s_or_b32 exec_lo, exec_lo, s6
	s_or_b32 s5, s5, s0
	s_delay_alu instid0(SALU_CYCLE_1) | instskip(NEXT) | instid1(SALU_CYCLE_1)
	s_xor_b32 s5, s5, -1
	s_and_saveexec_b32 s6, s5
	s_delay_alu instid0(SALU_CYCLE_1)
	s_xor_b32 s6, exec_lo, s6
	s_cbranch_execz .LBB90_53
; %bb.52:                               ;   in Loop: Header=BB90_7 Depth=2
	v_add_co_u32 v0, s5, v36, v28
	s_delay_alu instid0(VALU_DEP_1)
	v_add_co_ci_u32_e64 v1, s5, v37, v29, s5
	global_load_b64 v[0:1], v[0:1], off
	s_waitcnt vmcnt(0)
	ds_store_b64 v42, v[0:1] offset:4224
.LBB90_53:                              ;   in Loop: Header=BB90_7 Depth=2
	s_and_not1_saveexec_b32 s5, s6
	s_cbranch_execz .LBB90_6
; %bb.54:                               ;   in Loop: Header=BB90_7 Depth=2
	v_mov_b32_e32 v0, v15
	v_mov_b32_e32 v1, v15
	ds_store_b64 v42, v[0:1] offset:4224
	s_branch .LBB90_6
.LBB90_55:                              ;   in Loop: Header=BB90_4 Depth=1
	v_mul_lo_u32 v2, v17, s16
	v_mul_lo_u32 v3, v16, s17
	v_mad_u64_u32 v[0:1], null, v16, s16, 0
	v_cmp_gt_i32_e64 s3, s10, v16
	s_delay_alu instid0(VALU_DEP_2) | instskip(NEXT) | instid1(VALU_DEP_1)
	v_add3_u32 v1, v1, v3, v2
	v_lshlrev_b64 v[0:1], 3, v[0:1]
	s_delay_alu instid0(VALU_DEP_1) | instskip(NEXT) | instid1(VALU_DEP_1)
	v_add_co_u32 v0, s4, s38, v0
	v_add_co_ci_u32_e64 v1, s4, s39, v1, s4
	s_and_b32 s4, s1, s3
	s_delay_alu instid0(SALU_CYCLE_1)
	s_and_saveexec_b32 s5, s4
	s_cbranch_execz .LBB90_57
; %bb.56:                               ;   in Loop: Header=BB90_4 Depth=1
	v_add_co_u32 v2, s4, v0, v6
	s_delay_alu instid0(VALU_DEP_1) | instskip(SKIP_4) | instid1(VALU_DEP_1)
	v_add_co_ci_u32_e64 v3, s4, v1, v7, s4
	v_mul_f32_e32 v13, s34, v51
	global_load_b64 v[17:18], v[2:3], off
	v_fmac_f32_e32 v13, s35, v50
	s_waitcnt vmcnt(0)
	v_dual_mul_f32 v11, s35, v51 :: v_dual_add_f32 v18, v18, v13
	s_delay_alu instid0(VALU_DEP_1) | instskip(NEXT) | instid1(VALU_DEP_1)
	v_fma_f32 v11, v50, s34, -v11
	v_add_f32_e32 v17, v17, v11
	global_store_b64 v[2:3], v[17:18], off
.LBB90_57:                              ;   in Loop: Header=BB90_4 Depth=1
	s_or_b32 exec_lo, exec_lo, s5
	s_and_b32 s3, s2, s3
	s_delay_alu instid0(SALU_CYCLE_1)
	s_and_saveexec_b32 s4, s3
	s_cbranch_execz .LBB90_59
; %bb.58:                               ;   in Loop: Header=BB90_4 Depth=1
	v_lshlrev_b64 v[2:3], 3, v[4:5]
	v_mul_f32_e32 v11, s35, v49
	s_delay_alu instid0(VALU_DEP_1) | instskip(NEXT) | instid1(VALU_DEP_3)
	v_fma_f32 v11, v48, s34, -v11
	v_add_co_u32 v0, s3, v0, v2
	s_delay_alu instid0(VALU_DEP_1) | instskip(SKIP_3) | instid1(VALU_DEP_1)
	v_add_co_ci_u32_e64 v1, s3, v1, v3, s3
	global_load_b64 v[2:3], v[0:1], off
	s_waitcnt vmcnt(0)
	v_dual_mul_f32 v13, s34, v49 :: v_dual_add_f32 v2, v2, v11
	v_fmac_f32_e32 v13, s35, v48
	s_delay_alu instid0(VALU_DEP_1)
	v_add_f32_e32 v3, v3, v13
	global_store_b64 v[0:1], v[2:3], off
.LBB90_59:                              ;   in Loop: Header=BB90_4 Depth=1
	s_or_b32 exec_lo, exec_lo, s4
	v_add_nc_u32_e32 v2, 16, v16
	s_delay_alu instid0(VALU_DEP_1) | instskip(SKIP_3) | instid1(VALU_DEP_4)
	v_ashrrev_i32_e32 v3, 31, v2
	v_mul_lo_u32 v11, v2, s17
	v_mad_u64_u32 v[0:1], null, v2, s16, 0
	v_cmp_gt_i32_e64 s3, s10, v2
	v_mul_lo_u32 v3, v3, s16
	s_delay_alu instid0(VALU_DEP_1) | instskip(NEXT) | instid1(VALU_DEP_1)
	v_add3_u32 v1, v1, v11, v3
	v_lshlrev_b64 v[0:1], 3, v[0:1]
	s_delay_alu instid0(VALU_DEP_1) | instskip(NEXT) | instid1(VALU_DEP_1)
	v_add_co_u32 v0, s4, s38, v0
	v_add_co_ci_u32_e64 v1, s4, s39, v1, s4
	s_and_b32 s4, s1, s3
	s_delay_alu instid0(SALU_CYCLE_1)
	s_and_saveexec_b32 s5, s4
	s_cbranch_execz .LBB90_61
; %bb.60:                               ;   in Loop: Header=BB90_4 Depth=1
	v_add_co_u32 v2, s4, v0, v6
	s_delay_alu instid0(VALU_DEP_1)
	v_add_co_ci_u32_e64 v3, s4, v1, v7, s4
	v_mul_f32_e32 v11, s35, v47
	v_mul_f32_e32 v13, s34, v47
	global_load_b64 v[16:17], v[2:3], off
	v_fma_f32 v11, v46, s34, -v11
	s_waitcnt vmcnt(0)
	s_delay_alu instid0(VALU_DEP_1) | instskip(NEXT) | instid1(VALU_DEP_1)
	v_dual_fmac_f32 v13, s35, v46 :: v_dual_add_f32 v16, v16, v11
	v_add_f32_e32 v17, v17, v13
	global_store_b64 v[2:3], v[16:17], off
.LBB90_61:                              ;   in Loop: Header=BB90_4 Depth=1
	s_or_b32 exec_lo, exec_lo, s5
	s_and_b32 s3, s2, s3
	s_delay_alu instid0(SALU_CYCLE_1)
	s_and_saveexec_b32 s4, s3
	s_cbranch_execz .LBB90_3
; %bb.62:                               ;   in Loop: Header=BB90_4 Depth=1
	v_lshlrev_b64 v[2:3], 3, v[4:5]
	v_mul_f32_e32 v11, s35, v44
	s_delay_alu instid0(VALU_DEP_1) | instskip(NEXT) | instid1(VALU_DEP_3)
	v_fma_f32 v11, v45, s34, -v11
	v_add_co_u32 v0, s3, v0, v2
	s_delay_alu instid0(VALU_DEP_1) | instskip(SKIP_3) | instid1(VALU_DEP_1)
	v_add_co_ci_u32_e64 v1, s3, v1, v3, s3
	global_load_b64 v[2:3], v[0:1], off
	s_waitcnt vmcnt(0)
	v_dual_mul_f32 v13, s34, v44 :: v_dual_add_f32 v2, v2, v11
	v_fmac_f32_e32 v13, s35, v45
	s_delay_alu instid0(VALU_DEP_1)
	v_add_f32_e32 v3, v3, v13
	global_store_b64 v[0:1], v[2:3], off
	s_branch .LBB90_3
.LBB90_63:
	s_nop 0
	s_sendmsg sendmsg(MSG_DEALLOC_VGPRS)
	s_endpgm
	.section	.rodata,"a",@progbits
	.p2align	6, 0x0
	.amdhsa_kernel _ZL30rocblas_trmm_outofplace_kernelI19rocblas_complex_numIfELi32ELi2ELb0ELb1ELb1ELb0EPKS1_S2_S1_Ev17rocblas_diagonal_iiT6_lPT7_lllS7_lllPT8_llli
		.amdhsa_group_segment_fixed_size 16384
		.amdhsa_private_segment_fixed_size 0
		.amdhsa_kernarg_size 392
		.amdhsa_user_sgpr_count 13
		.amdhsa_user_sgpr_dispatch_ptr 0
		.amdhsa_user_sgpr_queue_ptr 0
		.amdhsa_user_sgpr_kernarg_segment_ptr 1
		.amdhsa_user_sgpr_dispatch_id 0
		.amdhsa_user_sgpr_private_segment_size 0
		.amdhsa_wavefront_size32 1
		.amdhsa_uses_dynamic_stack 0
		.amdhsa_enable_private_segment 0
		.amdhsa_system_sgpr_workgroup_id_x 1
		.amdhsa_system_sgpr_workgroup_id_y 1
		.amdhsa_system_sgpr_workgroup_id_z 1
		.amdhsa_system_sgpr_workgroup_info 0
		.amdhsa_system_vgpr_workitem_id 1
		.amdhsa_next_free_vgpr 86
		.amdhsa_next_free_sgpr 46
		.amdhsa_reserve_vcc 1
		.amdhsa_float_round_mode_32 0
		.amdhsa_float_round_mode_16_64 0
		.amdhsa_float_denorm_mode_32 3
		.amdhsa_float_denorm_mode_16_64 3
		.amdhsa_dx10_clamp 1
		.amdhsa_ieee_mode 1
		.amdhsa_fp16_overflow 0
		.amdhsa_workgroup_processor_mode 1
		.amdhsa_memory_ordered 1
		.amdhsa_forward_progress 0
		.amdhsa_shared_vgpr_count 0
		.amdhsa_exception_fp_ieee_invalid_op 0
		.amdhsa_exception_fp_denorm_src 0
		.amdhsa_exception_fp_ieee_div_zero 0
		.amdhsa_exception_fp_ieee_overflow 0
		.amdhsa_exception_fp_ieee_underflow 0
		.amdhsa_exception_fp_ieee_inexact 0
		.amdhsa_exception_int_div_zero 0
	.end_amdhsa_kernel
	.section	.text._ZL30rocblas_trmm_outofplace_kernelI19rocblas_complex_numIfELi32ELi2ELb0ELb1ELb1ELb0EPKS1_S2_S1_Ev17rocblas_diagonal_iiT6_lPT7_lllS7_lllPT8_llli,"axG",@progbits,_ZL30rocblas_trmm_outofplace_kernelI19rocblas_complex_numIfELi32ELi2ELb0ELb1ELb1ELb0EPKS1_S2_S1_Ev17rocblas_diagonal_iiT6_lPT7_lllS7_lllPT8_llli,comdat
.Lfunc_end90:
	.size	_ZL30rocblas_trmm_outofplace_kernelI19rocblas_complex_numIfELi32ELi2ELb0ELb1ELb1ELb0EPKS1_S2_S1_Ev17rocblas_diagonal_iiT6_lPT7_lllS7_lllPT8_llli, .Lfunc_end90-_ZL30rocblas_trmm_outofplace_kernelI19rocblas_complex_numIfELi32ELi2ELb0ELb1ELb1ELb0EPKS1_S2_S1_Ev17rocblas_diagonal_iiT6_lPT7_lllS7_lllPT8_llli
                                        ; -- End function
	.section	.AMDGPU.csdata,"",@progbits
; Kernel info:
; codeLenInByte = 7464
; NumSgprs: 48
; NumVgprs: 86
; ScratchSize: 0
; MemoryBound: 1
; FloatMode: 240
; IeeeMode: 1
; LDSByteSize: 16384 bytes/workgroup (compile time only)
; SGPRBlocks: 5
; VGPRBlocks: 10
; NumSGPRsForWavesPerEU: 48
; NumVGPRsForWavesPerEU: 86
; Occupancy: 16
; WaveLimiterHint : 0
; COMPUTE_PGM_RSRC2:SCRATCH_EN: 0
; COMPUTE_PGM_RSRC2:USER_SGPR: 13
; COMPUTE_PGM_RSRC2:TRAP_HANDLER: 0
; COMPUTE_PGM_RSRC2:TGID_X_EN: 1
; COMPUTE_PGM_RSRC2:TGID_Y_EN: 1
; COMPUTE_PGM_RSRC2:TGID_Z_EN: 1
; COMPUTE_PGM_RSRC2:TIDIG_COMP_CNT: 1
	.section	.text._ZL30rocblas_trmm_outofplace_kernelI19rocblas_complex_numIfELi32ELi2ELb0ELb1ELb1ELb0ES1_KS1_S1_Ev17rocblas_diagonal_iiT6_lPT7_lllS6_lllPT8_llli,"axG",@progbits,_ZL30rocblas_trmm_outofplace_kernelI19rocblas_complex_numIfELi32ELi2ELb0ELb1ELb1ELb0ES1_KS1_S1_Ev17rocblas_diagonal_iiT6_lPT7_lllS6_lllPT8_llli,comdat
	.globl	_ZL30rocblas_trmm_outofplace_kernelI19rocblas_complex_numIfELi32ELi2ELb0ELb1ELb1ELb0ES1_KS1_S1_Ev17rocblas_diagonal_iiT6_lPT7_lllS6_lllPT8_llli ; -- Begin function _ZL30rocblas_trmm_outofplace_kernelI19rocblas_complex_numIfELi32ELi2ELb0ELb1ELb1ELb0ES1_KS1_S1_Ev17rocblas_diagonal_iiT6_lPT7_lllS6_lllPT8_llli
	.p2align	8
	.type	_ZL30rocblas_trmm_outofplace_kernelI19rocblas_complex_numIfELi32ELi2ELb0ELb1ELb1ELb0ES1_KS1_S1_Ev17rocblas_diagonal_iiT6_lPT7_lllS6_lllPT8_llli,@function
_ZL30rocblas_trmm_outofplace_kernelI19rocblas_complex_numIfELi32ELi2ELb0ELb1ELb1ELb0ES1_KS1_S1_Ev17rocblas_diagonal_iiT6_lPT7_lllS6_lllPT8_llli: ; @_ZL30rocblas_trmm_outofplace_kernelI19rocblas_complex_numIfELi32ELi2ELb0ELb1ELb1ELb0ES1_KS1_S1_Ev17rocblas_diagonal_iiT6_lPT7_lllS6_lllPT8_llli
; %bb.0:
	s_clause 0x1
	s_load_b128 s[8:11], s[0:1], 0x0
	s_load_b32 s33, s[0:1], 0x10
	s_waitcnt lgkmcnt(0)
	s_or_b32 s2, s11, s33
	s_delay_alu instid0(SALU_CYCLE_1) | instskip(NEXT) | instid1(SALU_CYCLE_1)
	s_bitset0_b32 s2, 31
	s_cmp_eq_u32 s2, 0
	s_cbranch_scc1 .LBB91_63
; %bb.1:
	s_add_i32 s2, s10, -1
	s_delay_alu instid0(SALU_CYCLE_1) | instskip(NEXT) | instid1(SALU_CYCLE_1)
	s_ashr_i32 s3, s2, 31
	s_lshr_b32 s3, s3, 27
	s_delay_alu instid0(SALU_CYCLE_1) | instskip(NEXT) | instid1(SALU_CYCLE_1)
	s_add_i32 s2, s2, s3
	s_ashr_i32 s44, s2, 5
	s_delay_alu instid0(SALU_CYCLE_1)
	s_cmp_gt_i32 s14, s44
	s_cbranch_scc1 .LBB91_63
; %bb.2:
	s_clause 0x2
	s_load_b512 s[16:31], s[0:1], 0x20
	s_load_b256 s[36:43], s[0:1], 0x60
	s_load_b32 s45, s[0:1], 0x8c
	v_dual_mov_b32 v15, 0 :: v_dual_and_b32 v10, 0x3ff, v0
	v_bfe_u32 v38, v0, 10, 10
	v_mov_b32_e32 v14, 1.0
	s_mov_b32 s12, s10
	s_delay_alu instid0(VALU_DEP_3) | instskip(SKIP_2) | instid1(VALU_DEP_3)
	v_lshl_add_u32 v0, s13, 5, v10
	v_lshlrev_b32_e32 v11, 3, v10
	v_lshlrev_b32_e32 v39, 8, v38
	v_ashrrev_i32_e32 v1, 31, v0
	v_sub_co_u32 v2, vcc_lo, s9, v0
	s_delay_alu instid0(VALU_DEP_4) | instskip(SKIP_1) | instid1(VALU_DEP_4)
	v_or_b32_e32 v41, 0x2000, v11
	v_add_nc_u32_e32 v8, 16, v0
	v_lshlrev_b64 v[4:5], 3, v[0:1]
	v_add_nc_u32_e32 v40, v39, v11
	s_waitcnt lgkmcnt(0)
	s_mul_i32 s1, s15, s31
	s_mul_hi_u32 s2, s15, s30
	s_mul_i32 s0, s15, s30
	s_add_i32 s1, s2, s1
	s_mul_i32 s3, s15, s43
	s_lshl_b64 s[0:1], s[0:1], 3
	s_mul_hi_u32 s4, s15, s42
	s_add_u32 s5, s24, s0
	s_addc_u32 s6, s25, s1
	s_lshl_b64 s[0:1], s[26:27], 3
	s_mul_i32 s2, s15, s42
	s_add_u32 s5, s5, s0
	s_addc_u32 s6, s6, s1
	s_add_i32 s3, s4, s3
	s_mul_i32 s4, s23, s15
	s_lshl_b64 s[0:1], s[2:3], 3
	v_add_nc_u32_e32 v42, v41, v39
	s_add_u32 s2, s36, s0
	s_addc_u32 s3, s37, s1
	s_lshl_b64 s[0:1], s[38:39], 3
	v_ashrrev_i32_e32 v9, 31, v8
	s_add_u32 s36, s2, s0
	s_addc_u32 s37, s3, s1
	s_cmpk_eq_i32 s8, 0x84
	v_cmp_gt_i32_e64 s1, s9, v0
	s_cselect_b32 s38, -1, 0
	s_ashr_i32 s0, s9, 31
	s_ashr_i32 s13, s10, 31
	v_sub_co_ci_u32_e32 v3, vcc_lo, s0, v1, vcc_lo
	v_add_co_u32 v6, vcc_lo, s5, v4
	s_lshl_b64 s[24:25], s[20:21], 8
	s_lshl_b64 s[26:27], s[28:29], 8
	s_mul_hi_u32 s5, s22, s15
	s_add_u32 s30, s10, -16
	s_addc_u32 s31, s13, -1
	s_add_i32 s5, s5, s4
	s_mul_i32 s4, s22, s15
	v_add_co_ci_u32_e32 v7, vcc_lo, s6, v5, vcc_lo
	s_lshl_b32 s3, s14, 5
	s_lshl_b64 s[4:5], s[4:5], 3
	s_lshl_b64 s[6:7], s[18:19], 3
	v_cmp_gt_i64_e32 vcc_lo, 1, v[2:3]
	v_cmp_gt_i64_e64 s0, 17, v[2:3]
	s_lshl_b32 s39, s45, 5
	s_lshl_b64 s[18:19], s[28:29], 3
	v_cmp_gt_i32_e64 s2, s9, v8
	v_add_nc_u32_e32 v43, 0x2080, v11
	v_add_nc_u32_e32 v10, s3, v10
	;; [unrolled: 1-line block ×3, first 2 shown]
	s_add_u32 s3, s4, s6
	s_addc_u32 s4, s5, s7
	s_add_u32 s16, s16, s3
	s_addc_u32 s17, s17, s4
	s_lshl_b64 s[22:23], s[20:21], 3
	s_branch .LBB91_4
.LBB91_3:                               ;   in Loop: Header=BB91_4 Depth=1
	s_or_b32 exec_lo, exec_lo, s4
	v_add_nc_u32_e32 v10, s39, v10
	v_add_nc_u32_e32 v12, s39, v12
	s_add_i32 s14, s45, s14
	s_delay_alu instid0(SALU_CYCLE_1)
	s_cmp_le_i32 s14, s44
	s_cbranch_scc0 .LBB91_63
.LBB91_4:                               ; =>This Loop Header: Depth=1
                                        ;     Child Loop BB91_7 Depth 2
	s_lshl_b32 s3, s14, 5
	v_ashrrev_i32_e32 v11, 31, v10
	v_dual_mov_b32 v51, v15 :: v_dual_add_nc_u32 v16, s3, v38
	v_ashrrev_i32_e32 v13, 31, v12
	v_mov_b32_e32 v50, v15
	v_mov_b32_e32 v48, v15
	s_delay_alu instid0(VALU_DEP_4)
	v_ashrrev_i32_e32 v17, 31, v16
	v_mov_b32_e32 v49, v15
	v_mov_b32_e32 v46, v15
	;; [unrolled: 1-line block ×5, first 2 shown]
	s_sub_i32 s15, s10, s3
	s_delay_alu instid0(SALU_CYCLE_1)
	s_cmp_lt_i32 s15, 1
	s_cbranch_scc1 .LBB91_55
; %bb.5:                                ;   in Loop: Header=BB91_4 Depth=1
	v_lshlrev_b64 v[0:1], 3, v[10:11]
	v_sub_co_u32 v18, s3, v12, v10
	s_delay_alu instid0(VALU_DEP_1) | instskip(SKIP_1) | instid1(VALU_DEP_4)
	v_sub_co_ci_u32_e64 v19, s3, v13, v11, s3
	v_lshlrev_b64 v[22:23], 3, v[12:13]
	v_add_co_u32 v0, s3, 0x80, v0
	s_delay_alu instid0(VALU_DEP_1) | instskip(SKIP_1) | instid1(VALU_DEP_3)
	v_add_co_ci_u32_e64 v1, s3, 0, v1, s3
	v_mad_u64_u32 v[26:27], null, s22, v10, s[16:17]
	v_mul_lo_u32 v32, s21, v0
	v_mad_u64_u32 v[24:25], null, s20, v0, s[16:17]
	v_add_co_u32 v0, s3, 0x80, v22
	s_delay_alu instid0(VALU_DEP_1) | instskip(SKIP_3) | instid1(VALU_DEP_4)
	v_add_co_ci_u32_e64 v28, s3, 0, v23, s3
	v_mul_lo_u32 v1, s20, v1
	v_mul_lo_u32 v33, s22, v11
	;; [unrolled: 1-line block ×5, first 2 shown]
	v_mad_u64_u32 v[28:29], null, s28, v0, 0x80
	v_mad_u64_u32 v[20:21], null, s18, v12, 0x80
	v_mul_lo_u32 v2, s18, v13
	v_mul_lo_u32 v3, s19, v12
	v_add_co_u32 v30, s3, v16, 16
	s_delay_alu instid0(VALU_DEP_1)
	v_add_co_ci_u32_e64 v31, s3, 0, v17, s3
	v_add3_u32 v25, v32, v25, v1
	v_add_co_u32 v32, s5, v18, 16
	v_add3_u32 v27, v34, v27, v33
	v_add_co_ci_u32_e64 v33, s5, 0, v19, s5
	v_add_co_u32 v34, s5, v18, -16
	v_add3_u32 v29, v36, v29, v35
	v_cmp_le_i64_e64 s4, s[12:13], v[30:31]
	v_dual_mov_b32 v44, 0 :: v_dual_mov_b32 v37, v7
	v_add3_u32 v21, v3, v21, v2
	v_cmp_le_i32_e64 s3, s10, v16
	v_add_co_ci_u32_e64 v35, s5, -1, v19, s5
	v_dual_mov_b32 v36, v6 :: v_dual_mov_b32 v45, 0
	v_dual_mov_b32 v47, 0 :: v_dual_mov_b32 v46, 0
	;; [unrolled: 1-line block ×4, first 2 shown]
	s_mov_b64 s[34:35], 0
	s_branch .LBB91_7
.LBB91_6:                               ;   in Loop: Header=BB91_7 Depth=2
	s_or_b32 exec_lo, exec_lo, s5
	s_waitcnt lgkmcnt(0)
	s_waitcnt_vscnt null, 0x0
	s_barrier
	buffer_gl0_inv
	ds_load_2addr_b64 v[52:55], v41 offset1:32
	ds_load_b128 v[56:59], v39
	ds_load_2addr_b64 v[60:63], v43 offset1:32
	ds_load_b128 v[64:67], v39 offset:4096
	ds_load_b128 v[68:71], v39 offset:16
	;; [unrolled: 1-line block ×5, first 2 shown]
	v_add_co_u32 v36, s5, v36, s26
	s_delay_alu instid0(VALU_DEP_1) | instskip(SKIP_1) | instid1(VALU_DEP_1)
	v_add_co_ci_u32_e64 v37, s5, s27, v37, s5
	v_add_co_u32 v24, s5, v24, s24
	v_add_co_ci_u32_e64 v25, s5, s25, v25, s5
	v_add_co_u32 v26, s5, v26, s24
	s_delay_alu instid0(VALU_DEP_1)
	v_add_co_ci_u32_e64 v27, s5, s25, v27, s5
	s_add_u32 s34, s34, 32
	s_waitcnt lgkmcnt(6)
	v_mul_f32_e32 v80, v57, v53
	s_waitcnt lgkmcnt(5)
	v_mul_f32_e32 v82, v57, v61
	v_mul_f32_e32 v83, v56, v61
	s_waitcnt lgkmcnt(4)
	v_mul_f32_e32 v85, v65, v61
	v_mul_f32_e32 v61, v64, v61
	;; [unrolled: 1-line block ×3, first 2 shown]
	s_addc_u32 s35, s35, 0
	s_cmp_ge_i32 s34, s15
	s_delay_alu instid0(VALU_DEP_2) | instskip(NEXT) | instid1(VALU_DEP_1)
	v_fmac_f32_e32 v61, v65, v60
	v_dual_add_f32 v44, v44, v61 :: v_dual_mul_f32 v61, v59, v63
	v_fma_f32 v80, v56, v52, -v80
	s_delay_alu instid0(VALU_DEP_1) | instskip(NEXT) | instid1(VALU_DEP_1)
	v_dual_mul_f32 v81, v56, v53 :: v_dual_add_f32 v50, v50, v80
	v_fmac_f32_e32 v81, v57, v52
	v_fmac_f32_e32 v83, v57, v60
	v_mul_f32_e32 v53, v64, v53
	v_fma_f32 v57, v64, v52, -v84
	s_delay_alu instid0(VALU_DEP_3) | instskip(SKIP_3) | instid1(VALU_DEP_2)
	v_add_f32_e32 v80, v49, v83
	v_mul_f32_e32 v83, v67, v55
	v_fma_f32 v56, v56, v60, -v82
	v_dual_fmac_f32 v53, v65, v52 :: v_dual_mul_f32 v82, v58, v63
	v_add_f32_e32 v56, v48, v56
	v_fma_f32 v52, v64, v60, -v85
	v_mul_f32_e32 v60, v58, v55
	s_delay_alu instid0(VALU_DEP_2) | instskip(NEXT) | instid1(VALU_DEP_2)
	v_dual_fmac_f32 v82, v59, v62 :: v_dual_add_f32 v65, v45, v52
	v_fmac_f32_e32 v60, v59, v54
	v_add_f32_e32 v64, v51, v81
	v_dual_add_f32 v57, v46, v57 :: v_dual_mul_f32 v46, v59, v55
	v_mul_f32_e32 v55, v66, v55
	v_fma_f32 v59, v66, v54, -v83
	s_delay_alu instid0(VALU_DEP_4) | instskip(NEXT) | instid1(VALU_DEP_4)
	v_add_f32_e32 v60, v64, v60
	v_fma_f32 v49, v58, v54, -v46
	v_fma_f32 v58, v58, v62, -v61
	v_add_f32_e32 v53, v47, v53
	ds_load_2addr_b64 v[45:48], v41 offset0:64 offset1:96
	v_fmac_f32_e32 v55, v67, v54
	v_dual_add_f32 v81, v50, v49 :: v_dual_add_f32 v54, v57, v59
	ds_load_2addr_b64 v[49:52], v43 offset0:64 offset1:96
	v_dual_add_f32 v56, v56, v58 :: v_dual_add_f32 v53, v53, v55
	v_mul_f32_e32 v58, v67, v63
	s_delay_alu instid0(VALU_DEP_1) | instskip(NEXT) | instid1(VALU_DEP_1)
	v_fma_f32 v58, v66, v62, -v58
	v_dual_mul_f32 v57, v66, v63 :: v_dual_add_f32 v58, v65, v58
	s_waitcnt lgkmcnt(1)
	v_dual_mul_f32 v55, v68, v46 :: v_dual_mul_f32 v64, v79, v48
	s_delay_alu instid0(VALU_DEP_1) | instskip(NEXT) | instid1(VALU_DEP_1)
	v_fmac_f32_e32 v55, v69, v45
	v_add_f32_e32 v63, v60, v55
	v_mul_f32_e32 v55, v77, v46
	s_delay_alu instid0(VALU_DEP_1) | instskip(SKIP_3) | instid1(VALU_DEP_3)
	v_fma_f32 v55, v76, v45, -v55
	v_fmac_f32_e32 v57, v67, v62
	s_waitcnt lgkmcnt(0)
	v_mul_f32_e32 v67, v70, v52
	v_dual_add_f32 v66, v54, v55 :: v_dual_mul_f32 v59, v69, v46
	s_delay_alu instid0(VALU_DEP_3) | instskip(SKIP_4) | instid1(VALU_DEP_4)
	v_add_f32_e32 v44, v44, v57
	v_mul_f32_e32 v57, v68, v50
	v_mul_f32_e32 v46, v76, v46
	v_add_f32_e32 v61, v80, v82
	v_fma_f32 v59, v68, v45, -v59
	v_dual_mul_f32 v54, v71, v48 :: v_dual_fmac_f32 v57, v69, v49
	s_delay_alu instid0(VALU_DEP_4) | instskip(NEXT) | instid1(VALU_DEP_3)
	v_dual_fmac_f32 v46, v77, v45 :: v_dual_mul_f32 v45, v76, v50
	v_add_f32_e32 v59, v81, v59
	v_fmac_f32_e32 v67, v71, v51
	s_delay_alu instid0(VALU_DEP_4)
	v_add_f32_e32 v65, v61, v57
	v_fma_f32 v57, v70, v47, -v54
	v_mul_f32_e32 v62, v69, v50
	v_fmac_f32_e32 v45, v77, v49
	v_add_f32_e32 v46, v53, v46
	v_fma_f32 v69, v78, v47, -v64
	s_delay_alu instid0(VALU_DEP_3) | instskip(SKIP_2) | instid1(VALU_DEP_1)
	v_add_f32_e32 v44, v44, v45
	v_add_f32_e32 v45, v59, v57
	v_fma_f32 v62, v68, v49, -v62
	v_add_f32_e32 v62, v56, v62
	v_mul_f32_e32 v56, v77, v50
	s_delay_alu instid0(VALU_DEP_1)
	v_fma_f32 v50, v76, v49, -v56
	ds_load_2addr_b64 v[53:56], v41 offset0:128 offset1:160
	v_dual_add_f32 v49, v58, v50 :: v_dual_mul_f32 v58, v71, v52
	v_mul_f32_e32 v50, v70, v48
	v_dual_mul_f32 v48, v78, v48 :: v_dual_add_f32 v65, v65, v67
	v_mul_f32_e32 v67, v79, v52
	s_delay_alu instid0(VALU_DEP_4)
	v_fma_f32 v61, v70, v51, -v58
	ds_load_2addr_b64 v[57:60], v43 offset0:128 offset1:160
	v_fmac_f32_e32 v50, v71, v47
	v_dual_fmac_f32 v48, v79, v47 :: v_dual_mul_f32 v47, v78, v52
	v_add_f32_e32 v68, v62, v61
	v_add_f32_e32 v52, v66, v69
	s_delay_alu instid0(VALU_DEP_4)
	v_add_f32_e32 v50, v63, v50
	ds_load_b128 v[61:64], v39 offset:4128
	v_add_f32_e32 v48, v46, v48
	s_waitcnt lgkmcnt(2)
	v_mul_f32_e32 v66, v73, v54
	v_fma_f32 v67, v78, v51, -v67
	s_delay_alu instid0(VALU_DEP_2) | instskip(SKIP_1) | instid1(VALU_DEP_2)
	v_fma_f32 v46, v72, v53, -v66
	s_waitcnt lgkmcnt(1)
	v_dual_add_f32 v49, v49, v67 :: v_dual_mul_f32 v70, v72, v58
	v_dual_mul_f32 v66, v73, v58 :: v_dual_fmac_f32 v47, v79, v51
	s_delay_alu instid0(VALU_DEP_2) | instskip(NEXT) | instid1(VALU_DEP_2)
	v_dual_mul_f32 v51, v72, v54 :: v_dual_fmac_f32 v70, v73, v57
	v_fma_f32 v66, v72, v57, -v66
	s_delay_alu instid0(VALU_DEP_3) | instskip(NEXT) | instid1(VALU_DEP_3)
	v_add_f32_e32 v67, v44, v47
	v_fmac_f32_e32 v51, v73, v53
	v_add_f32_e32 v69, v45, v46
	ds_load_b128 v[44:47], v39 offset:4144
	s_waitcnt lgkmcnt(1)
	v_mul_f32_e32 v71, v62, v54
	v_add_f32_e32 v72, v50, v51
	v_mul_f32_e32 v50, v61, v54
	v_add_f32_e32 v54, v68, v66
	s_delay_alu instid0(VALU_DEP_4) | instskip(NEXT) | instid1(VALU_DEP_3)
	v_fma_f32 v51, v61, v53, -v71
	v_dual_mul_f32 v73, v64, v56 :: v_dual_fmac_f32 v50, v62, v53
	v_mul_f32_e32 v53, v61, v58
	v_add_f32_e32 v70, v65, v70
	s_delay_alu instid0(VALU_DEP_2) | instskip(SKIP_2) | instid1(VALU_DEP_3)
	v_dual_add_f32 v52, v52, v51 :: v_dual_fmac_f32 v53, v62, v57
	v_mul_f32_e32 v66, v62, v58
	v_mul_f32_e32 v58, v75, v56
	v_add_f32_e32 v53, v67, v53
	s_delay_alu instid0(VALU_DEP_3)
	v_fma_f32 v51, v61, v57, -v66
	v_add_f32_e32 v61, v48, v50
	v_mul_f32_e32 v57, v74, v56
	v_fma_f32 v58, v74, v55, -v58
	v_mul_f32_e32 v56, v63, v56
	v_add_f32_e32 v62, v49, v51
	ds_load_2addr_b64 v[48:51], v41 offset0:192 offset1:224
	v_dual_fmac_f32 v57, v75, v55 :: v_dual_add_f32 v58, v69, v58
	v_dual_mul_f32 v71, v75, v60 :: v_dual_fmac_f32 v56, v64, v55
	ds_load_2addr_b64 v[65:68], v43 offset0:192 offset1:224
	v_add_f32_e32 v57, v72, v57
	v_mul_f32_e32 v69, v74, v60
	v_fma_f32 v71, v74, v59, -v71
	v_add_f32_e32 v56, v61, v56
	s_delay_alu instid0(VALU_DEP_2) | instskip(SKIP_3) | instid1(VALU_DEP_3)
	v_add_f32_e32 v54, v54, v71
	v_fma_f32 v72, v63, v55, -v73
	v_fmac_f32_e32 v69, v75, v59
	v_mul_f32_e32 v55, v63, v60
	v_add_f32_e32 v52, v52, v72
	v_add_nc_u32_e32 v72, 0x800, v41
	s_delay_alu instid0(VALU_DEP_4) | instskip(SKIP_4) | instid1(VALU_DEP_2)
	v_add_f32_e32 v69, v70, v69
	s_waitcnt lgkmcnt(1)
	v_mul_f32_e32 v61, v0, v49
	s_waitcnt lgkmcnt(0)
	v_dual_fmac_f32 v55, v64, v59 :: v_dual_mul_f32 v74, v47, v68
	v_fmac_f32_e32 v61, v1, v48
	v_mul_f32_e32 v71, v64, v60
	s_delay_alu instid0(VALU_DEP_3) | instskip(NEXT) | instid1(VALU_DEP_3)
	v_add_f32_e32 v53, v53, v55
	v_dual_mul_f32 v55, v0, v66 :: v_dual_add_f32 v64, v57, v61
	s_delay_alu instid0(VALU_DEP_3) | instskip(SKIP_1) | instid1(VALU_DEP_3)
	v_fma_f32 v60, v63, v59, -v71
	v_mul_f32_e32 v63, v1, v49
	v_fmac_f32_e32 v55, v1, v65
	v_mul_f32_e32 v57, v45, v49
	v_mul_f32_e32 v61, v3, v68
	v_dual_add_f32 v59, v62, v60 :: v_dual_mul_f32 v62, v1, v66
	v_fma_f32 v60, v0, v48, -v63
	v_mul_f32_e32 v1, v44, v49
	s_delay_alu instid0(VALU_DEP_3) | instskip(NEXT) | instid1(VALU_DEP_3)
	v_fma_f32 v0, v0, v65, -v62
	v_dual_add_f32 v60, v58, v60 :: v_dual_mul_f32 v49, v45, v66
	s_delay_alu instid0(VALU_DEP_2) | instskip(SKIP_2) | instid1(VALU_DEP_1)
	v_add_f32_e32 v0, v54, v0
	v_fma_f32 v54, v44, v48, -v57
	v_dual_mul_f32 v57, v44, v66 :: v_dual_mul_f32 v66, v2, v51
	v_dual_fmac_f32 v57, v45, v65 :: v_dual_fmac_f32 v66, v3, v50
	s_delay_alu instid0(VALU_DEP_1) | instskip(SKIP_1) | instid1(VALU_DEP_1)
	v_add_f32_e32 v64, v64, v66
	v_mul_f32_e32 v66, v46, v51
	v_dual_fmac_f32 v66, v47, v50 :: v_dual_fmac_f32 v1, v45, v48
	v_dual_add_f32 v48, v69, v55 :: v_dual_mul_f32 v69, v2, v68
	v_mul_f32_e32 v68, v46, v68
	s_delay_alu instid0(VALU_DEP_1) | instskip(SKIP_1) | instid1(VALU_DEP_1)
	v_dual_fmac_f32 v68, v47, v67 :: v_dual_add_f32 v45, v56, v1
	v_mul_f32_e32 v1, v3, v51
	v_fma_f32 v1, v2, v50, -v1
	s_delay_alu instid0(VALU_DEP_1) | instskip(SKIP_3) | instid1(VALU_DEP_3)
	v_add_f32_e32 v70, v60, v1
	v_fma_f32 v44, v44, v65, -v49
	v_fma_f32 v1, v2, v67, -v61
	v_dual_mul_f32 v2, v47, v51 :: v_dual_add_f32 v49, v52, v54
	v_add_f32_e32 v44, v59, v44
	s_delay_alu instid0(VALU_DEP_2)
	v_fma_f32 v51, v46, v50, -v2
	v_fma_f32 v46, v46, v67, -v74
	v_add_f32_e32 v65, v53, v57
	ds_load_2addr_b64 v[52:55], v72 offset1:32
	ds_load_b128 v[56:59], v39 offset:64
	v_dual_add_f32 v74, v44, v46 :: v_dual_add_nc_u32 v73, 0x800, v43
	v_add_f32_e32 v68, v65, v68
	v_add_f32_e32 v66, v45, v66
	ds_load_2addr_b64 v[60:63], v73 offset1:32
	v_fmac_f32_e32 v69, v3, v67
	v_add_f32_e32 v71, v0, v1
	ds_load_b128 v[0:3], v39 offset:4160
	s_waitcnt lgkmcnt(2)
	v_mul_f32_e32 v76, v57, v53
	v_add_f32_e32 v75, v49, v51
	v_mul_f32_e32 v67, v56, v53
	s_delay_alu instid0(VALU_DEP_3) | instskip(SKIP_2) | instid1(VALU_DEP_2)
	v_fma_f32 v45, v56, v52, -v76
	s_waitcnt lgkmcnt(1)
	v_mul_f32_e32 v44, v57, v61
	v_dual_fmac_f32 v67, v57, v52 :: v_dual_add_f32 v70, v70, v45
	v_mul_f32_e32 v65, v56, v61
	s_delay_alu instid0(VALU_DEP_3)
	v_fma_f32 v56, v56, v60, -v44
	v_add_f32_e32 v69, v48, v69
	ds_load_b128 v[48:51], v39 offset:80
	s_waitcnt lgkmcnt(1)
	v_mul_f32_e32 v76, v1, v53
	v_mul_f32_e32 v53, v0, v53
	v_fmac_f32_e32 v65, v57, v60
	ds_load_b128 v[44:47], v39 offset:4176
	v_fma_f32 v57, v0, v52, -v76
	v_dual_fmac_f32 v53, v1, v52 :: v_dual_mul_f32 v52, v0, v61
	s_delay_alu instid0(VALU_DEP_1) | instskip(SKIP_2) | instid1(VALU_DEP_3)
	v_fmac_f32_e32 v52, v1, v60
	v_dual_add_f32 v56, v71, v56 :: v_dual_add_f32 v77, v64, v67
	v_dual_mul_f32 v64, v1, v61 :: v_dual_mul_f32 v61, v59, v55
	v_dual_add_f32 v57, v75, v57 :: v_dual_add_f32 v52, v68, v52
	s_delay_alu instid0(VALU_DEP_2) | instskip(NEXT) | instid1(VALU_DEP_3)
	v_fma_f32 v0, v0, v60, -v64
	v_fma_f32 v60, v58, v54, -v61
	s_delay_alu instid0(VALU_DEP_2) | instskip(SKIP_1) | instid1(VALU_DEP_3)
	v_add_f32_e32 v0, v74, v0
	v_mul_f32_e32 v74, v58, v63
	v_add_f32_e32 v60, v70, v60
	s_delay_alu instid0(VALU_DEP_2)
	v_dual_mul_f32 v1, v58, v55 :: v_dual_fmac_f32 v74, v59, v62
	v_add_f32_e32 v76, v69, v65
	ds_load_2addr_b64 v[68:71], v73 offset0:64 offset1:96
	v_mul_f32_e32 v61, v59, v63
	v_mul_f32_e32 v75, v3, v55
	v_fmac_f32_e32 v1, v59, v54
	s_delay_alu instid0(VALU_DEP_3) | instskip(NEXT) | instid1(VALU_DEP_3)
	v_fma_f32 v58, v58, v62, -v61
	v_fma_f32 v59, v2, v54, -v75
	v_add_f32_e32 v61, v76, v74
	s_delay_alu instid0(VALU_DEP_3)
	v_dual_mul_f32 v55, v2, v55 :: v_dual_add_f32 v56, v56, v58
	v_add_f32_e32 v53, v66, v53
	ds_load_2addr_b64 v[64:67], v72 offset0:64 offset1:96
	v_mul_f32_e32 v58, v3, v63
	v_dual_fmac_f32 v55, v3, v54 :: v_dual_add_f32 v54, v57, v59
	v_mul_f32_e32 v57, v2, v63
	s_delay_alu instid0(VALU_DEP_3) | instskip(SKIP_2) | instid1(VALU_DEP_3)
	v_fma_f32 v2, v2, v62, -v58
	s_waitcnt lgkmcnt(1)
	v_mul_f32_e32 v63, v50, v71
	v_fmac_f32_e32 v57, v3, v62
	s_delay_alu instid0(VALU_DEP_3) | instskip(SKIP_1) | instid1(VALU_DEP_3)
	v_dual_mul_f32 v3, v49, v69 :: v_dual_add_f32 v0, v0, v2
	s_waitcnt lgkmcnt(0)
	v_dual_fmac_f32 v63, v51, v70 :: v_dual_mul_f32 v58, v49, v65
	v_mul_f32_e32 v62, v50, v67
	v_add_f32_e32 v53, v53, v55
	s_delay_alu instid0(VALU_DEP_3) | instskip(NEXT) | instid1(VALU_DEP_3)
	v_fma_f32 v2, v48, v64, -v58
	v_fmac_f32_e32 v62, v51, v66
	v_mul_f32_e32 v58, v48, v69
	v_add_f32_e32 v1, v77, v1
	s_delay_alu instid0(VALU_DEP_4) | instskip(SKIP_1) | instid1(VALU_DEP_4)
	v_add_f32_e32 v59, v60, v2
	v_fma_f32 v2, v48, v68, -v3
	v_dual_mul_f32 v3, v44, v65 :: v_dual_fmac_f32 v58, v49, v68
	s_delay_alu instid0(VALU_DEP_1) | instskip(SKIP_1) | instid1(VALU_DEP_1)
	v_fmac_f32_e32 v3, v45, v64
	v_mul_f32_e32 v55, v48, v65
	v_fmac_f32_e32 v55, v49, v64
	v_dual_add_f32 v49, v56, v2 :: v_dual_mul_f32 v2, v45, v69
	v_mul_f32_e32 v56, v44, v69
	s_delay_alu instid0(VALU_DEP_2) | instskip(NEXT) | instid1(VALU_DEP_2)
	v_fma_f32 v2, v44, v68, -v2
	v_fmac_f32_e32 v56, v45, v68
	v_mul_f32_e32 v68, v47, v67
	v_add_f32_e32 v48, v1, v55
	v_add_f32_e32 v60, v61, v58
	v_dual_mul_f32 v1, v45, v65 :: v_dual_mul_f32 v58, v51, v71
	v_add_f32_e32 v45, v0, v2
	s_delay_alu instid0(VALU_DEP_4)
	v_add_f32_e32 v69, v48, v62
	v_fma_f32 v62, v46, v66, -v68
	v_add_f32_e32 v68, v60, v63
	v_fma_f32 v1, v44, v64, -v1
	v_mul_f32_e32 v44, v51, v67
	v_mul_f32_e32 v67, v46, v67
	v_add_f32_e32 v64, v53, v3
	s_delay_alu instid0(VALU_DEP_3) | instskip(NEXT) | instid1(VALU_DEP_3)
	v_fma_f32 v44, v50, v66, -v44
	v_fmac_f32_e32 v67, v47, v66
	v_dual_mul_f32 v66, v47, v71 :: v_dual_add_f32 v57, v52, v57
	s_delay_alu instid0(VALU_DEP_3) | instskip(SKIP_1) | instid1(VALU_DEP_3)
	v_dual_mul_f32 v71, v46, v71 :: v_dual_add_f32 v44, v59, v44
	v_fma_f32 v50, v50, v70, -v58
	v_fma_f32 v46, v46, v70, -v66
	s_delay_alu instid0(VALU_DEP_4) | instskip(NEXT) | instid1(VALU_DEP_4)
	v_add_f32_e32 v65, v57, v56
	v_fmac_f32_e32 v71, v47, v70
	v_add_f32_e32 v61, v54, v1
	ds_load_2addr_b64 v[0:3], v72 offset0:128 offset1:160
	ds_load_b128 v[52:55], v39 offset:96
	ds_load_2addr_b64 v[56:59], v73 offset0:128 offset1:160
	v_add_f32_e32 v64, v64, v67
	s_waitcnt lgkmcnt(1)
	v_mul_f32_e32 v76, v53, v1
	v_add_f32_e32 v74, v49, v50
	ds_load_b128 v[48:51], v39 offset:4192
	v_mul_f32_e32 v66, v52, v1
	v_add_f32_e32 v70, v65, v71
	v_fma_f32 v47, v52, v0, -v76
	s_delay_alu instid0(VALU_DEP_1)
	v_dual_fmac_f32 v66, v53, v0 :: v_dual_add_f32 v71, v44, v47
	v_add_f32_e32 v67, v45, v46
	s_waitcnt lgkmcnt(1)
	v_mul_f32_e32 v45, v53, v57
	v_add_f32_e32 v75, v61, v62
	ds_load_b128 v[60:63], v39 offset:112
	v_mul_f32_e32 v65, v52, v57
	v_fma_f32 v52, v52, v56, -v45
	ds_load_b128 v[44:47], v39 offset:4208
	s_waitcnt lgkmcnt(2)
	v_mul_f32_e32 v76, v49, v1
	v_dual_mul_f32 v1, v48, v1 :: v_dual_add_f32 v52, v74, v52
	v_fmac_f32_e32 v65, v53, v56
	s_delay_alu instid0(VALU_DEP_3) | instskip(NEXT) | instid1(VALU_DEP_3)
	v_fma_f32 v53, v48, v0, -v76
	v_dual_fmac_f32 v1, v49, v0 :: v_dual_mul_f32 v0, v48, v57
	s_delay_alu instid0(VALU_DEP_3) | instskip(NEXT) | instid1(VALU_DEP_2)
	v_add_f32_e32 v74, v68, v65
	v_dual_add_f32 v1, v64, v1 :: v_dual_fmac_f32 v0, v49, v56
	s_delay_alu instid0(VALU_DEP_1) | instskip(SKIP_2) | instid1(VALU_DEP_2)
	v_dual_add_f32 v0, v70, v0 :: v_dual_add_f32 v77, v69, v66
	v_dual_mul_f32 v66, v49, v57 :: v_dual_mul_f32 v57, v55, v3
	v_mul_f32_e32 v49, v54, v3
	v_fma_f32 v48, v48, v56, -v66
	s_delay_alu instid0(VALU_DEP_3) | instskip(SKIP_1) | instid1(VALU_DEP_2)
	v_fma_f32 v56, v54, v2, -v57
	v_mul_f32_e32 v57, v55, v59
	v_add_f32_e32 v56, v71, v56
	s_delay_alu instid0(VALU_DEP_4)
	v_add_f32_e32 v48, v67, v48
	ds_load_2addr_b64 v[64:67], v72 offset0:192 offset1:224
	v_mul_f32_e32 v72, v54, v59
	ds_load_2addr_b64 v[68:71], v73 offset0:192 offset1:224
	v_mul_f32_e32 v73, v51, v3
	v_fma_f32 v54, v54, v58, -v57
	v_add_f32_e32 v53, v75, v53
	v_fmac_f32_e32 v72, v55, v58
	v_fmac_f32_e32 v49, v55, v2
	s_delay_alu instid0(VALU_DEP_4) | instskip(NEXT) | instid1(VALU_DEP_3)
	v_dual_mul_f32 v3, v50, v3 :: v_dual_add_f32 v52, v52, v54
	v_dual_mul_f32 v54, v51, v59 :: v_dual_add_f32 v57, v74, v72
	v_add_nc_u32_e32 v72, 0x1000, v41
	v_fma_f32 v55, v50, v2, -v73
	s_delay_alu instid0(VALU_DEP_1) | instskip(SKIP_3) | instid1(VALU_DEP_2)
	v_dual_fmac_f32 v3, v51, v2 :: v_dual_add_f32 v2, v53, v55
	v_mul_f32_e32 v53, v50, v59
	v_fma_f32 v50, v50, v58, -v54
	s_waitcnt lgkmcnt(1)
	v_dual_mul_f32 v54, v61, v65 :: v_dual_fmac_f32 v53, v51, v58
	s_delay_alu instid0(VALU_DEP_2) | instskip(NEXT) | instid1(VALU_DEP_2)
	v_add_f32_e32 v48, v48, v50
	v_fma_f32 v50, v60, v64, -v54
	s_waitcnt lgkmcnt(0)
	v_mul_f32_e32 v51, v61, v69
	v_add_f32_e32 v0, v0, v53
	v_mul_f32_e32 v53, v60, v69
	v_add_f32_e32 v54, v56, v50
	s_delay_alu instid0(VALU_DEP_4) | instskip(SKIP_1) | instid1(VALU_DEP_2)
	v_fma_f32 v50, v60, v68, -v51
	v_mul_f32_e32 v51, v44, v69
	v_dual_add_f32 v58, v52, v50 :: v_dual_add_f32 v1, v1, v3
	v_mul_f32_e32 v3, v60, v65
	v_mul_f32_e32 v50, v45, v69
	v_add_f32_e32 v49, v77, v49
	v_fmac_f32_e32 v51, v45, v68
	s_delay_alu instid0(VALU_DEP_4) | instskip(NEXT) | instid1(VALU_DEP_1)
	v_fmac_f32_e32 v3, v61, v64
	v_dual_add_f32 v56, v49, v3 :: v_dual_mul_f32 v49, v44, v65
	v_mul_f32_e32 v3, v45, v65
	s_delay_alu instid0(VALU_DEP_2) | instskip(NEXT) | instid1(VALU_DEP_2)
	v_fmac_f32_e32 v49, v45, v64
	v_fma_f32 v3, v44, v64, -v3
	v_fma_f32 v44, v44, v68, -v50
	s_delay_alu instid0(VALU_DEP_3) | instskip(SKIP_1) | instid1(VALU_DEP_4)
	v_dual_add_f32 v64, v0, v51 :: v_dual_add_f32 v45, v1, v49
	v_mul_f32_e32 v1, v63, v67
	v_add_f32_e32 v60, v2, v3
	s_delay_alu instid0(VALU_DEP_4) | instskip(NEXT) | instid1(VALU_DEP_3)
	v_add_f32_e32 v44, v48, v44
	v_fma_f32 v52, v62, v66, -v1
	ds_load_2addr_b64 v[0:3], v72 offset1:32
	ds_load_b128 v[48:51], v39 offset:128
	v_fmac_f32_e32 v53, v61, v68
	v_add_nc_u32_e32 v73, 0x1000, v43
	v_mul_f32_e32 v61, v62, v71
	v_add_f32_e32 v65, v54, v52
	v_mul_f32_e32 v59, v62, v67
	v_add_f32_e32 v57, v57, v53
	v_mul_f32_e32 v53, v63, v71
	v_mul_f32_e32 v68, v47, v67
	v_fmac_f32_e32 v61, v63, v70
	v_fmac_f32_e32 v59, v63, v66
	s_delay_alu instid0(VALU_DEP_4)
	v_fma_f32 v62, v62, v70, -v53
	ds_load_2addr_b64 v[52:55], v73 offset1:32
	v_dual_add_f32 v69, v56, v59 :: v_dual_add_f32 v74, v58, v62
	v_fma_f32 v62, v46, v66, -v68
	v_add_f32_e32 v68, v57, v61
	ds_load_b128 v[56:59], v39 offset:4224
	s_waitcnt lgkmcnt(2)
	v_dual_mul_f32 v76, v49, v1 :: v_dual_add_f32 v75, v60, v62
	ds_load_b128 v[60:63], v39 offset:144
	v_mul_f32_e32 v67, v46, v67
	s_delay_alu instid0(VALU_DEP_1) | instskip(SKIP_2) | instid1(VALU_DEP_2)
	v_fmac_f32_e32 v67, v47, v66
	v_mul_f32_e32 v66, v47, v71
	v_mul_f32_e32 v71, v46, v71
	v_fma_f32 v46, v46, v70, -v66
	s_delay_alu instid0(VALU_DEP_2) | instskip(SKIP_2) | instid1(VALU_DEP_4)
	v_dual_add_f32 v66, v45, v67 :: v_dual_fmac_f32 v71, v47, v70
	v_fma_f32 v45, v48, v0, -v76
	v_mul_f32_e32 v67, v48, v1
	v_add_f32_e32 v70, v44, v46
	s_waitcnt lgkmcnt(2)
	v_dual_mul_f32 v44, v49, v53 :: v_dual_add_f32 v71, v64, v71
	v_add_f32_e32 v76, v65, v45
	v_mul_f32_e32 v64, v48, v53
	s_waitcnt lgkmcnt(1)
	v_mul_f32_e32 v65, v57, v1
	v_fma_f32 v48, v48, v52, -v44
	ds_load_b128 v[44:47], v39 offset:4240
	v_mul_f32_e32 v1, v56, v1
	v_fmac_f32_e32 v67, v49, v0
	v_fmac_f32_e32 v64, v49, v52
	v_fma_f32 v49, v56, v0, -v65
	v_mul_f32_e32 v65, v57, v53
	v_dual_fmac_f32 v1, v57, v0 :: v_dual_mul_f32 v0, v56, v53
	s_delay_alu instid0(VALU_DEP_3) | instskip(NEXT) | instid1(VALU_DEP_3)
	v_dual_add_f32 v48, v74, v48 :: v_dual_add_f32 v49, v75, v49
	v_fma_f32 v53, v56, v52, -v65
	v_mul_f32_e32 v56, v51, v3
	s_delay_alu instid0(VALU_DEP_4) | instskip(SKIP_2) | instid1(VALU_DEP_4)
	v_dual_fmac_f32 v0, v57, v52 :: v_dual_mul_f32 v57, v51, v55
	v_mul_f32_e32 v52, v50, v3
	v_mul_f32_e32 v75, v50, v55
	v_fma_f32 v56, v50, v2, -v56
	v_add_f32_e32 v53, v70, v53
	v_fma_f32 v50, v50, v54, -v57
	v_add_f32_e32 v74, v68, v64
	v_add_f32_e32 v0, v71, v0
	v_fmac_f32_e32 v52, v51, v2
	v_add_f32_e32 v56, v76, v56
	v_add_f32_e32 v48, v48, v50
	v_mul_f32_e32 v50, v59, v55
	v_mul_f32_e32 v76, v59, v3
	v_fmac_f32_e32 v75, v51, v54
	v_mul_f32_e32 v3, v58, v3
	s_delay_alu instid0(VALU_DEP_4) | instskip(NEXT) | instid1(VALU_DEP_4)
	v_fma_f32 v50, v58, v54, -v50
	v_fma_f32 v51, v58, v2, -v76
	s_delay_alu instid0(VALU_DEP_3) | instskip(NEXT) | instid1(VALU_DEP_3)
	v_fmac_f32_e32 v3, v59, v2
	v_add_f32_e32 v50, v53, v50
	v_add_f32_e32 v77, v69, v67
	ds_load_2addr_b64 v[68:71], v73 offset0:64 offset1:96
	v_add_f32_e32 v1, v66, v1
	ds_load_2addr_b64 v[64:67], v72 offset0:64 offset1:96
	v_add_f32_e32 v2, v49, v51
	v_dual_mul_f32 v49, v58, v55 :: v_dual_add_f32 v52, v77, v52
	v_add_f32_e32 v1, v1, v3
	s_delay_alu instid0(VALU_DEP_2) | instskip(NEXT) | instid1(VALU_DEP_1)
	v_fmac_f32_e32 v49, v59, v54
	v_add_f32_e32 v55, v0, v49
	s_waitcnt lgkmcnt(1)
	v_mul_f32_e32 v53, v61, v69
	v_mul_f32_e32 v54, v60, v69
	s_waitcnt lgkmcnt(0)
	v_mul_f32_e32 v3, v60, v65
	v_mul_f32_e32 v51, v61, v65
	;; [unrolled: 1-line block ×3, first 2 shown]
	v_fma_f32 v0, v60, v68, -v53
	v_fmac_f32_e32 v54, v61, v68
	v_fmac_f32_e32 v3, v61, v64
	v_fma_f32 v51, v60, v64, -v51
	v_fmac_f32_e32 v49, v45, v64
	v_dual_add_f32 v59, v48, v0 :: v_dual_mul_f32 v0, v45, v69
	s_delay_alu instid0(VALU_DEP_4) | instskip(SKIP_2) | instid1(VALU_DEP_4)
	v_dual_add_f32 v58, v52, v3 :: v_dual_mul_f32 v3, v45, v65
	v_mul_f32_e32 v52, v44, v69
	v_add_f32_e32 v56, v56, v51
	v_fma_f32 v0, v44, v68, -v0
	v_mul_f32_e32 v61, v62, v67
	v_fma_f32 v3, v44, v64, -v3
	v_add_f32_e32 v64, v1, v49
	v_fmac_f32_e32 v52, v45, v68
	v_dual_add_f32 v45, v50, v0 :: v_dual_mul_f32 v44, v63, v67
	s_delay_alu instid0(VALU_DEP_4)
	v_add_f32_e32 v60, v2, v3
	ds_load_2addr_b64 v[0:3], v72 offset0:128 offset1:160
	ds_load_b128 v[48:51], v39 offset:160
	v_mul_f32_e32 v53, v63, v71
	v_fmac_f32_e32 v61, v63, v66
	v_fma_f32 v44, v62, v66, -v44
	v_dual_mul_f32 v68, v62, v71 :: v_dual_add_f32 v65, v55, v52
	s_delay_alu instid0(VALU_DEP_2) | instskip(SKIP_2) | instid1(VALU_DEP_4)
	v_dual_add_f32 v69, v58, v61 :: v_dual_add_f32 v44, v56, v44
	v_fma_f32 v56, v62, v70, -v53
	v_mul_f32_e32 v62, v47, v67
	v_dual_mul_f32 v67, v46, v67 :: v_dual_fmac_f32 v68, v63, v70
	s_delay_alu instid0(VALU_DEP_2) | instskip(NEXT) | instid1(VALU_DEP_2)
	v_fma_f32 v61, v46, v66, -v62
	v_fmac_f32_e32 v67, v47, v66
	v_mul_f32_e32 v66, v47, v71
	s_waitcnt lgkmcnt(0)
	v_dual_mul_f32 v71, v46, v71 :: v_dual_mul_f32 v76, v49, v1
	s_delay_alu instid0(VALU_DEP_3) | instskip(SKIP_1) | instid1(VALU_DEP_3)
	v_add_f32_e32 v64, v64, v67
	v_add_f32_e32 v57, v74, v75
	v_fmac_f32_e32 v71, v47, v70
	v_fma_f32 v46, v46, v70, -v66
	v_fma_f32 v47, v48, v0, -v76
	v_add_f32_e32 v74, v59, v56
	v_mul_f32_e32 v66, v48, v1
	v_add_f32_e32 v70, v65, v71
	v_add_f32_e32 v67, v45, v46
	;; [unrolled: 1-line block ×4, first 2 shown]
	ds_load_2addr_b64 v[52:55], v73 offset0:128 offset1:160
	v_fmac_f32_e32 v66, v49, v0
	v_add_f32_e32 v68, v57, v68
	ds_load_b128 v[56:59], v39 offset:4256
	v_add_f32_e32 v77, v69, v66
	s_waitcnt lgkmcnt(1)
	v_mul_f32_e32 v45, v49, v53
	v_mul_f32_e32 v65, v48, v53
	s_delay_alu instid0(VALU_DEP_2)
	v_fma_f32 v48, v48, v52, -v45
	ds_load_b128 v[44:47], v39 offset:4272
	v_add_f32_e32 v75, v60, v61
	ds_load_b128 v[60:63], v39 offset:176
	s_waitcnt lgkmcnt(2)
	v_mul_f32_e32 v76, v57, v1
	v_mul_f32_e32 v1, v56, v1
	;; [unrolled: 1-line block ×3, first 2 shown]
	v_fmac_f32_e32 v65, v49, v52
	v_add_f32_e32 v48, v74, v48
	v_fma_f32 v49, v56, v0, -v76
	v_dual_fmac_f32 v1, v57, v0 :: v_dual_mul_f32 v0, v56, v53
	v_fma_f32 v53, v56, v52, -v66
	v_mul_f32_e32 v56, v51, v3
	v_add_f32_e32 v74, v68, v65
	s_delay_alu instid0(VALU_DEP_4) | instskip(NEXT) | instid1(VALU_DEP_4)
	v_dual_add_f32 v1, v64, v1 :: v_dual_fmac_f32 v0, v57, v52
	v_add_f32_e32 v53, v67, v53
	s_delay_alu instid0(VALU_DEP_4)
	v_fma_f32 v56, v50, v2, -v56
	ds_load_2addr_b64 v[64:67], v72 offset0:192 offset1:224
	v_dual_mul_f32 v57, v51, v55 :: v_dual_add_f32 v0, v70, v0
	v_mul_f32_e32 v52, v50, v3
	v_add_f32_e32 v56, v71, v56
	ds_load_2addr_b64 v[68:71], v73 offset0:192 offset1:224
	v_mul_f32_e32 v72, v50, v55
	v_mul_f32_e32 v73, v59, v3
	v_fma_f32 v50, v50, v54, -v57
	v_mul_f32_e32 v3, v58, v3
	v_add_f32_e32 v49, v75, v49
	v_fmac_f32_e32 v52, v51, v2
	v_fmac_f32_e32 v72, v51, v54
	v_fma_f32 v51, v58, v2, -v73
	v_add_f32_e32 v48, v48, v50
	v_mul_f32_e32 v50, v59, v55
	v_fmac_f32_e32 v3, v59, v2
	s_delay_alu instid0(VALU_DEP_4) | instskip(SKIP_1) | instid1(VALU_DEP_4)
	v_dual_add_f32 v57, v74, v72 :: v_dual_add_f32 v2, v49, v51
	v_mul_f32_e32 v49, v58, v55
	v_fma_f32 v50, v58, v54, -v50
	s_waitcnt lgkmcnt(1)
	v_mul_f32_e32 v51, v61, v65
	v_add_f32_e32 v1, v1, v3
	v_mul_f32_e32 v3, v60, v65
	v_add_nc_u32_e32 v72, 0x1800, v41
	v_add_f32_e32 v52, v77, v52
	v_add_f32_e32 v50, v53, v50
	v_fma_f32 v51, v60, v64, -v51
	s_waitcnt lgkmcnt(0)
	v_mul_f32_e32 v53, v61, v69
	v_fmac_f32_e32 v3, v61, v64
	v_fmac_f32_e32 v49, v59, v54
	v_add_nc_u32_e32 v73, 0x1800, v43
	v_add_f32_e32 v54, v56, v51
	v_fma_f32 v51, v60, v68, -v53
	v_add_f32_e32 v56, v52, v3
	v_mul_f32_e32 v52, v44, v65
	v_add_f32_e32 v0, v0, v49
	v_mul_f32_e32 v49, v60, v69
	v_dual_mul_f32 v3, v45, v65 :: v_dual_add_f32 v58, v48, v51
	v_mul_f32_e32 v48, v45, v69
	v_dual_mul_f32 v51, v44, v69 :: v_dual_fmac_f32 v52, v45, v64
	s_delay_alu instid0(VALU_DEP_4) | instskip(NEXT) | instid1(VALU_DEP_4)
	v_fmac_f32_e32 v49, v61, v68
	v_fma_f32 v3, v44, v64, -v3
	s_delay_alu instid0(VALU_DEP_4) | instskip(NEXT) | instid1(VALU_DEP_4)
	v_fma_f32 v44, v44, v68, -v48
	v_fmac_f32_e32 v51, v45, v68
	v_add_f32_e32 v45, v1, v52
	v_mul_f32_e32 v1, v63, v67
	v_dual_add_f32 v57, v57, v49 :: v_dual_add_f32 v60, v2, v3
	v_add_f32_e32 v44, v50, v44
	v_add_f32_e32 v64, v0, v51
	s_delay_alu instid0(VALU_DEP_4)
	v_fma_f32 v52, v62, v66, -v1
	v_mul_f32_e32 v53, v63, v71
	ds_load_2addr_b64 v[0:3], v72 offset1:32
	ds_load_b128 v[48:51], v39 offset:192
	v_mul_f32_e32 v59, v62, v67
	v_mul_f32_e32 v61, v62, v71
	v_add_f32_e32 v65, v54, v52
	v_fma_f32 v62, v62, v70, -v53
	ds_load_2addr_b64 v[52:55], v73 offset1:32
	v_mul_f32_e32 v68, v47, v67
	v_mul_f32_e32 v67, v46, v67
	v_fmac_f32_e32 v59, v63, v66
	v_add_f32_e32 v74, v58, v62
	v_fmac_f32_e32 v61, v63, v70
	v_fma_f32 v62, v46, v66, -v68
	v_fmac_f32_e32 v67, v47, v66
	v_mul_f32_e32 v66, v47, v71
	s_delay_alu instid0(VALU_DEP_4) | instskip(NEXT) | instid1(VALU_DEP_4)
	v_dual_mul_f32 v71, v46, v71 :: v_dual_add_f32 v68, v57, v61
	v_add_f32_e32 v75, v60, v62
	ds_load_b128 v[60:63], v39 offset:208
	v_fma_f32 v46, v46, v70, -v66
	v_add_f32_e32 v66, v45, v67
	s_waitcnt lgkmcnt(2)
	v_dual_mul_f32 v76, v49, v1 :: v_dual_fmac_f32 v71, v47, v70
	v_mul_f32_e32 v67, v48, v1
	v_add_f32_e32 v70, v44, v46
	s_delay_alu instid0(VALU_DEP_3) | instskip(SKIP_3) | instid1(VALU_DEP_3)
	v_fma_f32 v45, v48, v0, -v76
	s_waitcnt lgkmcnt(1)
	v_dual_mul_f32 v44, v49, v53 :: v_dual_add_f32 v71, v64, v71
	v_mul_f32_e32 v64, v48, v53
	v_add_f32_e32 v76, v65, v45
	s_delay_alu instid0(VALU_DEP_3)
	v_fma_f32 v48, v48, v52, -v44
	ds_load_b128 v[44:47], v39 offset:4304
	v_add_f32_e32 v69, v56, v59
	ds_load_b128 v[56:59], v39 offset:4288
	v_fmac_f32_e32 v67, v49, v0
	v_fmac_f32_e32 v64, v49, v52
	s_delay_alu instid0(VALU_DEP_2) | instskip(SKIP_1) | instid1(VALU_DEP_2)
	v_dual_add_f32 v48, v74, v48 :: v_dual_add_f32 v77, v69, v67
	s_waitcnt lgkmcnt(0)
	v_dual_add_f32 v74, v68, v64 :: v_dual_mul_f32 v65, v57, v1
	v_mul_f32_e32 v1, v56, v1
	s_delay_alu instid0(VALU_DEP_2) | instskip(SKIP_1) | instid1(VALU_DEP_3)
	v_fma_f32 v49, v56, v0, -v65
	v_mul_f32_e32 v65, v57, v53
	v_dual_fmac_f32 v1, v57, v0 :: v_dual_mul_f32 v0, v56, v53
	s_delay_alu instid0(VALU_DEP_3) | instskip(NEXT) | instid1(VALU_DEP_3)
	v_add_f32_e32 v49, v75, v49
	v_fma_f32 v53, v56, v52, -v65
	v_mul_f32_e32 v56, v51, v3
	s_delay_alu instid0(VALU_DEP_4)
	v_dual_fmac_f32 v0, v57, v52 :: v_dual_add_f32 v1, v66, v1
	ds_load_2addr_b64 v[64:67], v72 offset0:64 offset1:96
	v_add_f32_e32 v53, v70, v53
	v_fma_f32 v56, v50, v2, -v56
	v_add_f32_e32 v0, v71, v0
	v_mul_f32_e32 v57, v51, v55
	ds_load_2addr_b64 v[68:71], v73 offset0:64 offset1:96
	v_mul_f32_e32 v52, v50, v3
	v_dual_add_f32 v56, v76, v56 :: v_dual_mul_f32 v75, v50, v55
	v_mul_f32_e32 v76, v59, v3
	v_fma_f32 v50, v50, v54, -v57
	s_delay_alu instid0(VALU_DEP_4) | instskip(NEXT) | instid1(VALU_DEP_4)
	v_dual_fmac_f32 v52, v51, v2 :: v_dual_mul_f32 v3, v58, v3
	v_fmac_f32_e32 v75, v51, v54
	s_delay_alu instid0(VALU_DEP_4) | instskip(NEXT) | instid1(VALU_DEP_4)
	v_fma_f32 v51, v58, v2, -v76
	v_add_f32_e32 v48, v48, v50
	v_mul_f32_e32 v50, v59, v55
	v_dual_fmac_f32 v3, v59, v2 :: v_dual_add_f32 v52, v77, v52
	s_delay_alu instid0(VALU_DEP_4) | instskip(SKIP_1) | instid1(VALU_DEP_4)
	v_add_f32_e32 v2, v49, v51
	v_mul_f32_e32 v49, v58, v55
	v_fma_f32 v50, v58, v54, -v50
	s_delay_alu instid0(VALU_DEP_4)
	v_add_f32_e32 v1, v1, v3
	s_waitcnt lgkmcnt(1)
	v_mul_f32_e32 v3, v60, v65
	v_mul_f32_e32 v51, v61, v65
	v_fmac_f32_e32 v49, v59, v54
	v_add_f32_e32 v50, v53, v50
	s_waitcnt lgkmcnt(0)
	v_mul_f32_e32 v53, v61, v69
	v_fmac_f32_e32 v3, v61, v64
	v_fma_f32 v51, v60, v64, -v51
	v_add_f32_e32 v55, v0, v49
	v_mul_f32_e32 v54, v60, v69
	v_fma_f32 v0, v60, v68, -v53
	v_dual_add_f32 v58, v52, v3 :: v_dual_mul_f32 v3, v45, v65
	v_mul_f32_e32 v49, v44, v65
	v_mul_f32_e32 v52, v44, v69
	s_delay_alu instid0(VALU_DEP_4) | instskip(NEXT) | instid1(VALU_DEP_4)
	v_dual_add_f32 v59, v48, v0 :: v_dual_mul_f32 v0, v45, v69
	v_fma_f32 v3, v44, v64, -v3
	v_add_f32_e32 v56, v56, v51
	v_dual_fmac_f32 v54, v61, v68 :: v_dual_mul_f32 v61, v62, v67
	s_delay_alu instid0(VALU_DEP_4) | instskip(SKIP_4) | instid1(VALU_DEP_4)
	v_fma_f32 v0, v44, v68, -v0
	v_mul_f32_e32 v44, v63, v67
	v_mul_f32_e32 v53, v63, v71
	v_mul_f32_e32 v65, v62, v71
	v_dual_fmac_f32 v61, v63, v66 :: v_dual_fmac_f32 v52, v45, v68
	v_fma_f32 v44, v62, v66, -v44
	v_dual_fmac_f32 v49, v45, v64 :: v_dual_add_f32 v60, v2, v3
	s_delay_alu instid0(VALU_DEP_3) | instskip(NEXT) | instid1(VALU_DEP_3)
	v_dual_add_f32 v69, v58, v61 :: v_dual_add_f32 v68, v55, v52
	v_add_f32_e32 v44, v56, v44
	v_fma_f32 v56, v62, v70, -v53
	v_mul_f32_e32 v62, v47, v67
	v_dual_mul_f32 v67, v46, v67 :: v_dual_add_f32 v64, v1, v49
	v_add_f32_e32 v45, v50, v0
	ds_load_2addr_b64 v[0:3], v72 offset0:128 offset1:160
	ds_load_b128 v[48:51], v39 offset:224
	v_fma_f32 v61, v46, v66, -v62
	v_fmac_f32_e32 v67, v47, v66
	v_mul_f32_e32 v66, v47, v71
	v_mul_f32_e32 v71, v46, v71
	s_delay_alu instid0(VALU_DEP_3) | instskip(NEXT) | instid1(VALU_DEP_3)
	v_dual_fmac_f32 v65, v63, v70 :: v_dual_add_f32 v64, v64, v67
	v_fma_f32 v46, v46, v70, -v66
	s_delay_alu instid0(VALU_DEP_3) | instskip(NEXT) | instid1(VALU_DEP_1)
	v_fmac_f32_e32 v71, v47, v70
	v_dual_add_f32 v67, v45, v46 :: v_dual_add_f32 v68, v68, v71
	v_dual_add_f32 v57, v74, v75 :: v_dual_add_f32 v74, v59, v56
	s_delay_alu instid0(VALU_DEP_1) | instskip(SKIP_4) | instid1(VALU_DEP_2)
	v_add_f32_e32 v57, v57, v54
	ds_load_2addr_b64 v[52:55], v73 offset0:128 offset1:160
	s_waitcnt lgkmcnt(1)
	v_mul_f32_e32 v76, v49, v1
	v_mul_f32_e32 v66, v48, v1
	v_fma_f32 v47, v48, v0, -v76
	s_delay_alu instid0(VALU_DEP_2) | instskip(NEXT) | instid1(VALU_DEP_2)
	v_fmac_f32_e32 v66, v49, v0
	v_add_f32_e32 v70, v44, v47
	s_delay_alu instid0(VALU_DEP_2) | instskip(SKIP_3) | instid1(VALU_DEP_2)
	v_add_f32_e32 v76, v69, v66
	s_waitcnt lgkmcnt(0)
	v_mul_f32_e32 v45, v49, v53
	v_mul_f32_e32 v71, v48, v53
	v_fma_f32 v48, v48, v52, -v45
	ds_load_b128 v[44:47], v39 offset:4336
	v_add_f32_e32 v65, v57, v65
	ds_load_b128 v[56:59], v39 offset:4320
	v_add_f32_e32 v75, v60, v61
	ds_load_b128 v[60:63], v39 offset:240
	v_fmac_f32_e32 v71, v49, v52
	v_add_f32_e32 v48, v74, v48
	s_delay_alu instid0(VALU_DEP_2) | instskip(SKIP_4) | instid1(VALU_DEP_3)
	v_add_f32_e32 v74, v65, v71
	s_waitcnt lgkmcnt(1)
	v_mul_f32_e32 v66, v57, v1
	v_mul_f32_e32 v1, v56, v1
	;; [unrolled: 1-line block ×3, first 2 shown]
	v_fma_f32 v66, v56, v0, -v66
	s_delay_alu instid0(VALU_DEP_3) | instskip(NEXT) | instid1(VALU_DEP_3)
	v_dual_fmac_f32 v1, v57, v0 :: v_dual_mul_f32 v0, v56, v53
	v_fma_f32 v49, v56, v52, -v49
	v_mul_f32_e32 v56, v51, v3
	s_delay_alu instid0(VALU_DEP_4) | instskip(NEXT) | instid1(VALU_DEP_4)
	v_add_f32_e32 v53, v75, v66
	v_dual_add_f32 v1, v64, v1 :: v_dual_fmac_f32 v0, v57, v52
	s_delay_alu instid0(VALU_DEP_4) | instskip(NEXT) | instid1(VALU_DEP_4)
	v_add_f32_e32 v49, v67, v49
	v_fma_f32 v56, v50, v2, -v56
	ds_load_2addr_b64 v[64:67], v72 offset0:192 offset1:224
	v_dual_mul_f32 v57, v51, v55 :: v_dual_add_f32 v0, v68, v0
	v_mul_f32_e32 v52, v50, v3
	v_add_f32_e32 v56, v70, v56
	ds_load_2addr_b64 v[68:71], v73 offset0:192 offset1:224
	v_mul_f32_e32 v72, v50, v55
	v_fma_f32 v50, v50, v54, -v57
	v_mul_f32_e32 v57, v59, v3
	v_dual_fmac_f32 v52, v51, v2 :: v_dual_mul_f32 v3, v58, v3
	s_delay_alu instid0(VALU_DEP_4) | instskip(NEXT) | instid1(VALU_DEP_4)
	v_fmac_f32_e32 v72, v51, v54
	v_add_f32_e32 v48, v48, v50
	s_delay_alu instid0(VALU_DEP_4) | instskip(SKIP_3) | instid1(VALU_DEP_4)
	v_fma_f32 v50, v58, v2, -v57
	v_mul_f32_e32 v51, v59, v55
	v_fmac_f32_e32 v3, v59, v2
	v_dual_mul_f32 v55, v58, v55 :: v_dual_add_f32 v52, v76, v52
	v_add_f32_e32 v2, v53, v50
	s_delay_alu instid0(VALU_DEP_4)
	v_fma_f32 v50, v58, v54, -v51
	s_waitcnt lgkmcnt(1)
	v_mul_f32_e32 v51, v61, v65
	v_fmac_f32_e32 v55, v59, v54
	v_add_f32_e32 v1, v1, v3
	v_mul_f32_e32 v3, v60, v65
	v_add_f32_e32 v49, v49, v50
	v_fma_f32 v50, v60, v64, -v51
	s_waitcnt lgkmcnt(0)
	v_mul_f32_e32 v51, v61, v69
	v_mul_f32_e32 v54, v45, v65
	v_dual_fmac_f32 v3, v61, v64 :: v_dual_add_f32 v0, v0, v55
	v_mul_f32_e32 v55, v62, v67
	s_delay_alu instid0(VALU_DEP_4) | instskip(NEXT) | instid1(VALU_DEP_4)
	v_fma_f32 v51, v60, v68, -v51
	v_fma_f32 v54, v44, v64, -v54
	s_delay_alu instid0(VALU_DEP_4)
	v_add_f32_e32 v3, v52, v3
	v_mul_f32_e32 v52, v44, v65
	v_mul_f32_e32 v53, v60, v69
	v_dual_add_f32 v48, v48, v51 :: v_dual_mul_f32 v51, v45, v69
	v_add_f32_e32 v2, v2, v54
	v_mul_f32_e32 v54, v44, v69
	v_add_f32_e32 v50, v56, v50
	v_fmac_f32_e32 v52, v45, v64
	v_fma_f32 v44, v44, v68, -v51
	s_delay_alu instid0(VALU_DEP_4) | instskip(SKIP_2) | instid1(VALU_DEP_4)
	v_dual_mul_f32 v51, v63, v67 :: v_dual_fmac_f32 v54, v45, v68
	v_fmac_f32_e32 v55, v63, v66
	v_add_f32_e32 v57, v74, v72
	v_add_f32_e32 v44, v49, v44
	s_delay_alu instid0(VALU_DEP_4)
	v_fma_f32 v45, v62, v66, -v51
	v_mul_f32_e32 v49, v63, v71
	v_fmac_f32_e32 v53, v61, v68
	v_dual_add_f32 v1, v1, v52 :: v_dual_mul_f32 v52, v62, v71
	v_add_f32_e32 v0, v0, v54
	v_dual_add_f32 v50, v50, v45 :: v_dual_add_f32 v51, v3, v55
	v_fma_f32 v3, v62, v70, -v49
	v_mul_f32_e32 v45, v47, v67
	v_mul_f32_e32 v54, v46, v67
	;; [unrolled: 1-line block ×4, first 2 shown]
	v_dual_add_f32 v53, v57, v53 :: v_dual_fmac_f32 v52, v63, v70
	s_delay_alu instid0(VALU_DEP_4)
	v_fmac_f32_e32 v54, v47, v66
	v_add_f32_e32 v48, v48, v3
	v_fma_f32 v3, v46, v66, -v45
	v_fma_f32 v45, v46, v70, -v49
	v_fmac_f32_e32 v55, v47, v70
	v_add_f32_e32 v49, v53, v52
	s_delay_alu instid0(VALU_DEP_4) | instskip(NEXT) | instid1(VALU_DEP_4)
	v_dual_add_f32 v47, v1, v54 :: v_dual_add_f32 v46, v2, v3
	v_add_f32_e32 v45, v44, v45
	s_delay_alu instid0(VALU_DEP_4)
	v_add_f32_e32 v44, v0, v55
	s_barrier
	buffer_gl0_inv
	s_cbranch_scc1 .LBB91_55
.LBB91_7:                               ;   Parent Loop BB91_4 Depth=1
                                        ; =>  This Inner Loop Header: Depth=2
	v_add_co_u32 v0, s5, v10, s34
	s_delay_alu instid0(VALU_DEP_1) | instskip(SKIP_1) | instid1(VALU_DEP_2)
	v_add_co_ci_u32_e64 v1, s5, s35, v11, s5
	v_cmp_eq_u64_e64 s7, s[34:35], v[18:19]
	v_cmp_lt_i64_e64 s5, v[0:1], v[16:17]
	v_cmp_le_i64_e64 s6, s[12:13], v[0:1]
	s_delay_alu instid0(VALU_DEP_3) | instskip(SKIP_1) | instid1(VALU_DEP_3)
	s_and_b32 s43, s38, s7
	v_add_co_u32 v2, s7, v26, v22
	s_or_b32 s8, s3, s5
	v_add_co_ci_u32_e64 v3, s7, v27, v23, s7
	s_delay_alu instid0(VALU_DEP_3) | instskip(NEXT) | instid1(SALU_CYCLE_1)
	s_or_b32 s8, s6, s8
	s_or_b32 s7, s8, s43
	s_delay_alu instid0(SALU_CYCLE_1) | instskip(NEXT) | instid1(SALU_CYCLE_1)
	s_xor_b32 s7, s7, -1
	s_and_saveexec_b32 s8, s7
	s_delay_alu instid0(SALU_CYCLE_1)
	s_xor_b32 s7, exec_lo, s8
	s_cbranch_execz .LBB91_9
; %bb.8:                                ;   in Loop: Header=BB91_7 Depth=2
	global_load_b64 v[52:53], v[2:3], off
	s_waitcnt vmcnt(0)
	ds_store_b64 v40, v[52:53]
.LBB91_9:                               ;   in Loop: Header=BB91_7 Depth=2
	s_or_saveexec_b32 s7, s7
	s_xor_b32 s42, s43, -1
	s_xor_b32 exec_lo, exec_lo, s7
	s_cbranch_execz .LBB91_15
; %bb.10:                               ;   in Loop: Header=BB91_7 Depth=2
	s_and_saveexec_b32 s8, s42
	s_delay_alu instid0(SALU_CYCLE_1)
	s_xor_b32 s8, exec_lo, s8
	s_cbranch_execz .LBB91_12
; %bb.11:                               ;   in Loop: Header=BB91_7 Depth=2
	v_mov_b32_e32 v52, v15
	v_mov_b32_e32 v53, v15
	ds_store_b64 v40, v[52:53]
.LBB91_12:                              ;   in Loop: Header=BB91_7 Depth=2
	s_and_not1_saveexec_b32 s8, s8
	s_cbranch_execz .LBB91_14
; %bb.13:                               ;   in Loop: Header=BB91_7 Depth=2
	ds_store_b64 v40, v[14:15]
.LBB91_14:                              ;   in Loop: Header=BB91_7 Depth=2
	s_or_b32 exec_lo, exec_lo, s8
.LBB91_15:                              ;   in Loop: Header=BB91_7 Depth=2
	s_delay_alu instid0(SALU_CYCLE_1) | instskip(SKIP_1) | instid1(VALU_DEP_1)
	s_or_b32 exec_lo, exec_lo, s7
	v_add_co_u32 v52, s7, v0, 16
	v_add_co_ci_u32_e64 v53, s7, 0, v1, s7
	v_cmp_eq_u64_e64 s9, s[34:35], v[34:35]
	s_delay_alu instid0(VALU_DEP_2) | instskip(SKIP_1) | instid1(VALU_DEP_3)
	v_cmp_lt_i64_e64 s8, v[52:53], v[16:17]
	v_cmp_le_i64_e64 s7, s[12:13], v[52:53]
	s_and_b32 s9, s38, s9
	s_delay_alu instid0(VALU_DEP_2)
	s_or_b32 s8, s3, s8
	s_delay_alu instid0(VALU_DEP_1) | instid1(SALU_CYCLE_1)
	s_or_b32 s8, s7, s8
	s_delay_alu instid0(SALU_CYCLE_1) | instskip(NEXT) | instid1(SALU_CYCLE_1)
	s_or_b32 s8, s8, s9
	s_xor_b32 s8, s8, -1
	s_delay_alu instid0(SALU_CYCLE_1) | instskip(NEXT) | instid1(SALU_CYCLE_1)
	s_and_saveexec_b32 s46, s8
	s_xor_b32 s46, exec_lo, s46
	s_cbranch_execz .LBB91_17
; %bb.16:                               ;   in Loop: Header=BB91_7 Depth=2
	v_add_co_u32 v52, s8, v24, v22
	s_delay_alu instid0(VALU_DEP_1)
	v_add_co_ci_u32_e64 v53, s8, v25, v23, s8
	global_load_b64 v[52:53], v[52:53], off
	s_waitcnt vmcnt(0)
	ds_store_b64 v40, v[52:53] offset:128
.LBB91_17:                              ;   in Loop: Header=BB91_7 Depth=2
	s_and_not1_saveexec_b32 s8, s46
	s_cbranch_execz .LBB91_23
; %bb.18:                               ;   in Loop: Header=BB91_7 Depth=2
	s_xor_b32 s9, s9, -1
	s_delay_alu instid0(SALU_CYCLE_1) | instskip(NEXT) | instid1(SALU_CYCLE_1)
	s_and_saveexec_b32 s46, s9
	s_xor_b32 s9, exec_lo, s46
	s_cbranch_execz .LBB91_20
; %bb.19:                               ;   in Loop: Header=BB91_7 Depth=2
	v_mov_b32_e32 v52, v15
	v_mov_b32_e32 v53, v15
	ds_store_b64 v40, v[52:53] offset:128
.LBB91_20:                              ;   in Loop: Header=BB91_7 Depth=2
	s_and_not1_saveexec_b32 s9, s9
	s_cbranch_execz .LBB91_22
; %bb.21:                               ;   in Loop: Header=BB91_7 Depth=2
	ds_store_b64 v40, v[14:15] offset:128
.LBB91_22:                              ;   in Loop: Header=BB91_7 Depth=2
	s_or_b32 exec_lo, exec_lo, s9
.LBB91_23:                              ;   in Loop: Header=BB91_7 Depth=2
	s_delay_alu instid0(SALU_CYCLE_1) | instskip(SKIP_2) | instid1(VALU_DEP_2)
	s_or_b32 exec_lo, exec_lo, s8
	v_cmp_eq_u64_e64 s8, s[34:35], v[32:33]
	v_cmp_lt_i64_e64 s9, v[0:1], v[30:31]
	s_and_b32 s8, s38, s8
	s_delay_alu instid0(VALU_DEP_1) | instskip(NEXT) | instid1(SALU_CYCLE_1)
	s_or_b32 s9, s4, s9
	s_or_b32 s9, s9, s8
	s_delay_alu instid0(SALU_CYCLE_1) | instskip(NEXT) | instid1(SALU_CYCLE_1)
	s_or_b32 s6, s6, s9
	s_xor_b32 s6, s6, -1
	s_delay_alu instid0(SALU_CYCLE_1) | instskip(NEXT) | instid1(SALU_CYCLE_1)
	s_and_saveexec_b32 s9, s6
	s_xor_b32 s6, exec_lo, s9
	s_cbranch_execz .LBB91_25
; %bb.24:                               ;   in Loop: Header=BB91_7 Depth=2
	global_load_b64 v[0:1], v[2:3], off offset:128
	s_waitcnt vmcnt(0)
	ds_store_b64 v40, v[0:1] offset:4096
.LBB91_25:                              ;   in Loop: Header=BB91_7 Depth=2
	s_and_not1_saveexec_b32 s6, s6
	s_cbranch_execz .LBB91_31
; %bb.26:                               ;   in Loop: Header=BB91_7 Depth=2
	s_xor_b32 s8, s8, -1
	s_delay_alu instid0(SALU_CYCLE_1) | instskip(NEXT) | instid1(SALU_CYCLE_1)
	s_and_saveexec_b32 s9, s8
	s_xor_b32 s8, exec_lo, s9
	s_cbranch_execz .LBB91_28
; %bb.27:                               ;   in Loop: Header=BB91_7 Depth=2
	v_mov_b32_e32 v0, v15
	v_mov_b32_e32 v1, v15
	ds_store_b64 v40, v[0:1] offset:4096
.LBB91_28:                              ;   in Loop: Header=BB91_7 Depth=2
	s_and_not1_saveexec_b32 s8, s8
	s_cbranch_execz .LBB91_30
; %bb.29:                               ;   in Loop: Header=BB91_7 Depth=2
	ds_store_b64 v40, v[14:15] offset:4096
.LBB91_30:                              ;   in Loop: Header=BB91_7 Depth=2
	s_or_b32 exec_lo, exec_lo, s8
.LBB91_31:                              ;   in Loop: Header=BB91_7 Depth=2
	s_delay_alu instid0(SALU_CYCLE_1) | instskip(SKIP_1) | instid1(SALU_CYCLE_1)
	s_or_b32 exec_lo, exec_lo, s6
	s_or_b32 s5, s4, s5
	s_or_b32 s5, s7, s5
	s_delay_alu instid0(SALU_CYCLE_1) | instskip(NEXT) | instid1(SALU_CYCLE_1)
	s_or_b32 s5, s5, s43
	s_xor_b32 s5, s5, -1
	s_delay_alu instid0(SALU_CYCLE_1) | instskip(NEXT) | instid1(SALU_CYCLE_1)
	s_and_saveexec_b32 s6, s5
	s_xor_b32 s6, exec_lo, s6
	s_cbranch_execz .LBB91_33
; %bb.32:                               ;   in Loop: Header=BB91_7 Depth=2
	v_add_co_u32 v0, s5, v24, v22
	s_delay_alu instid0(VALU_DEP_1)
	v_add_co_ci_u32_e64 v1, s5, v25, v23, s5
	global_load_b64 v[0:1], v[0:1], off offset:128
	s_waitcnt vmcnt(0)
	ds_store_b64 v40, v[0:1] offset:4224
.LBB91_33:                              ;   in Loop: Header=BB91_7 Depth=2
	s_and_not1_saveexec_b32 s5, s6
	s_cbranch_execz .LBB91_39
; %bb.34:                               ;   in Loop: Header=BB91_7 Depth=2
	s_and_saveexec_b32 s6, s42
	s_delay_alu instid0(SALU_CYCLE_1)
	s_xor_b32 s6, exec_lo, s6
	s_cbranch_execz .LBB91_36
; %bb.35:                               ;   in Loop: Header=BB91_7 Depth=2
	v_mov_b32_e32 v0, v15
	v_mov_b32_e32 v1, v15
	ds_store_b64 v40, v[0:1] offset:4224
.LBB91_36:                              ;   in Loop: Header=BB91_7 Depth=2
	s_and_not1_saveexec_b32 s6, s6
	s_cbranch_execz .LBB91_38
; %bb.37:                               ;   in Loop: Header=BB91_7 Depth=2
	ds_store_b64 v40, v[14:15] offset:4224
.LBB91_38:                              ;   in Loop: Header=BB91_7 Depth=2
	s_or_b32 exec_lo, exec_lo, s6
.LBB91_39:                              ;   in Loop: Header=BB91_7 Depth=2
	s_delay_alu instid0(SALU_CYCLE_1) | instskip(SKIP_1) | instid1(VALU_DEP_1)
	s_or_b32 exec_lo, exec_lo, s5
	v_add_co_u32 v0, s5, v12, s34
	v_add_co_ci_u32_e64 v1, s5, s35, v13, s5
	v_add_co_u32 v2, s6, v36, v20
	s_delay_alu instid0(VALU_DEP_1) | instskip(NEXT) | instid1(VALU_DEP_3)
	v_add_co_ci_u32_e64 v3, s6, v37, v21, s6
	v_cmp_le_i64_e64 s5, s[12:13], v[0:1]
	s_delay_alu instid0(VALU_DEP_1) | instskip(NEXT) | instid1(SALU_CYCLE_1)
	s_or_b32 s6, s5, vcc_lo
	s_xor_b32 s6, s6, -1
	s_delay_alu instid0(SALU_CYCLE_1) | instskip(NEXT) | instid1(SALU_CYCLE_1)
	s_and_saveexec_b32 s7, s6
	s_xor_b32 s6, exec_lo, s7
	s_cbranch_execz .LBB91_41
; %bb.40:                               ;   in Loop: Header=BB91_7 Depth=2
	global_load_b64 v[52:53], v[2:3], off offset:-128
	s_waitcnt vmcnt(0)
	ds_store_b64 v42, v[52:53]
.LBB91_41:                              ;   in Loop: Header=BB91_7 Depth=2
	s_and_not1_saveexec_b32 s6, s6
	s_cbranch_execz .LBB91_43
; %bb.42:                               ;   in Loop: Header=BB91_7 Depth=2
	v_mov_b32_e32 v52, v15
	v_mov_b32_e32 v53, v15
	ds_store_b64 v42, v[52:53]
.LBB91_43:                              ;   in Loop: Header=BB91_7 Depth=2
	s_or_b32 exec_lo, exec_lo, s6
	s_or_b32 s5, s5, s0
	s_delay_alu instid0(SALU_CYCLE_1) | instskip(NEXT) | instid1(SALU_CYCLE_1)
	s_xor_b32 s5, s5, -1
	s_and_saveexec_b32 s6, s5
	s_delay_alu instid0(SALU_CYCLE_1)
	s_xor_b32 s5, exec_lo, s6
	s_cbranch_execz .LBB91_45
; %bb.44:                               ;   in Loop: Header=BB91_7 Depth=2
	global_load_b64 v[2:3], v[2:3], off
	s_waitcnt vmcnt(0)
	ds_store_b64 v42, v[2:3] offset:128
.LBB91_45:                              ;   in Loop: Header=BB91_7 Depth=2
	s_and_not1_saveexec_b32 s5, s5
	s_cbranch_execz .LBB91_47
; %bb.46:                               ;   in Loop: Header=BB91_7 Depth=2
	v_mov_b32_e32 v2, v15
	v_mov_b32_e32 v3, v15
	ds_store_b64 v42, v[2:3] offset:128
.LBB91_47:                              ;   in Loop: Header=BB91_7 Depth=2
	s_or_b32 exec_lo, exec_lo, s5
	v_cmp_le_i64_e64 s5, s[30:31], v[0:1]
	s_delay_alu instid0(VALU_DEP_1) | instskip(NEXT) | instid1(SALU_CYCLE_1)
	s_or_b32 s6, s5, vcc_lo
	s_xor_b32 s6, s6, -1
	s_delay_alu instid0(SALU_CYCLE_1) | instskip(NEXT) | instid1(SALU_CYCLE_1)
	s_and_saveexec_b32 s7, s6
	s_xor_b32 s7, exec_lo, s7
	s_cbranch_execz .LBB91_49
; %bb.48:                               ;   in Loop: Header=BB91_7 Depth=2
	v_add_co_u32 v0, s6, v36, v28
	s_delay_alu instid0(VALU_DEP_1)
	v_add_co_ci_u32_e64 v1, s6, v37, v29, s6
	global_load_b64 v[0:1], v[0:1], off offset:-128
	s_waitcnt vmcnt(0)
	ds_store_b64 v42, v[0:1] offset:4096
.LBB91_49:                              ;   in Loop: Header=BB91_7 Depth=2
	s_and_not1_saveexec_b32 s6, s7
	s_cbranch_execz .LBB91_51
; %bb.50:                               ;   in Loop: Header=BB91_7 Depth=2
	v_mov_b32_e32 v0, v15
	v_mov_b32_e32 v1, v15
	ds_store_b64 v42, v[0:1] offset:4096
.LBB91_51:                              ;   in Loop: Header=BB91_7 Depth=2
	s_or_b32 exec_lo, exec_lo, s6
	s_or_b32 s5, s5, s0
	s_delay_alu instid0(SALU_CYCLE_1) | instskip(NEXT) | instid1(SALU_CYCLE_1)
	s_xor_b32 s5, s5, -1
	s_and_saveexec_b32 s6, s5
	s_delay_alu instid0(SALU_CYCLE_1)
	s_xor_b32 s6, exec_lo, s6
	s_cbranch_execz .LBB91_53
; %bb.52:                               ;   in Loop: Header=BB91_7 Depth=2
	v_add_co_u32 v0, s5, v36, v28
	s_delay_alu instid0(VALU_DEP_1)
	v_add_co_ci_u32_e64 v1, s5, v37, v29, s5
	global_load_b64 v[0:1], v[0:1], off
	s_waitcnt vmcnt(0)
	ds_store_b64 v42, v[0:1] offset:4224
.LBB91_53:                              ;   in Loop: Header=BB91_7 Depth=2
	s_and_not1_saveexec_b32 s5, s6
	s_cbranch_execz .LBB91_6
; %bb.54:                               ;   in Loop: Header=BB91_7 Depth=2
	v_mov_b32_e32 v0, v15
	v_mov_b32_e32 v1, v15
	ds_store_b64 v42, v[0:1] offset:4224
	s_branch .LBB91_6
.LBB91_55:                              ;   in Loop: Header=BB91_4 Depth=1
	v_mul_lo_u32 v2, v17, s40
	v_mul_lo_u32 v3, v16, s41
	v_mad_u64_u32 v[0:1], null, v16, s40, 0
	v_cmp_gt_i32_e64 s3, s10, v16
	s_delay_alu instid0(VALU_DEP_2) | instskip(NEXT) | instid1(VALU_DEP_1)
	v_add3_u32 v1, v1, v3, v2
	v_lshlrev_b64 v[0:1], 3, v[0:1]
	s_delay_alu instid0(VALU_DEP_1) | instskip(NEXT) | instid1(VALU_DEP_1)
	v_add_co_u32 v0, s4, s36, v0
	v_add_co_ci_u32_e64 v1, s4, s37, v1, s4
	s_and_b32 s4, s1, s3
	s_delay_alu instid0(SALU_CYCLE_1)
	s_and_saveexec_b32 s5, s4
	s_cbranch_execz .LBB91_57
; %bb.56:                               ;   in Loop: Header=BB91_4 Depth=1
	v_add_co_u32 v2, s4, v0, v4
	s_delay_alu instid0(VALU_DEP_1) | instskip(SKIP_4) | instid1(VALU_DEP_1)
	v_add_co_ci_u32_e64 v3, s4, v1, v5, s4
	v_mul_f32_e32 v13, s11, v51
	global_load_b64 v[17:18], v[2:3], off
	v_fmac_f32_e32 v13, s33, v50
	s_waitcnt vmcnt(0)
	v_dual_mul_f32 v11, s33, v51 :: v_dual_add_f32 v18, v18, v13
	s_delay_alu instid0(VALU_DEP_1) | instskip(NEXT) | instid1(VALU_DEP_1)
	v_fma_f32 v11, v50, s11, -v11
	v_add_f32_e32 v17, v17, v11
	global_store_b64 v[2:3], v[17:18], off
.LBB91_57:                              ;   in Loop: Header=BB91_4 Depth=1
	s_or_b32 exec_lo, exec_lo, s5
	s_and_b32 s3, s2, s3
	s_delay_alu instid0(SALU_CYCLE_1)
	s_and_saveexec_b32 s4, s3
	s_cbranch_execz .LBB91_59
; %bb.58:                               ;   in Loop: Header=BB91_4 Depth=1
	v_lshlrev_b64 v[2:3], 3, v[8:9]
	v_mul_f32_e32 v11, s33, v49
	s_delay_alu instid0(VALU_DEP_1) | instskip(NEXT) | instid1(VALU_DEP_3)
	v_fma_f32 v11, v48, s11, -v11
	v_add_co_u32 v0, s3, v0, v2
	s_delay_alu instid0(VALU_DEP_1) | instskip(SKIP_3) | instid1(VALU_DEP_1)
	v_add_co_ci_u32_e64 v1, s3, v1, v3, s3
	global_load_b64 v[2:3], v[0:1], off
	s_waitcnt vmcnt(0)
	v_dual_mul_f32 v13, s11, v49 :: v_dual_add_f32 v2, v2, v11
	v_fmac_f32_e32 v13, s33, v48
	s_delay_alu instid0(VALU_DEP_1)
	v_add_f32_e32 v3, v3, v13
	global_store_b64 v[0:1], v[2:3], off
.LBB91_59:                              ;   in Loop: Header=BB91_4 Depth=1
	s_or_b32 exec_lo, exec_lo, s4
	v_add_nc_u32_e32 v2, 16, v16
	s_delay_alu instid0(VALU_DEP_1) | instskip(SKIP_3) | instid1(VALU_DEP_4)
	v_ashrrev_i32_e32 v3, 31, v2
	v_mul_lo_u32 v11, v2, s41
	v_mad_u64_u32 v[0:1], null, v2, s40, 0
	v_cmp_gt_i32_e64 s3, s10, v2
	v_mul_lo_u32 v3, v3, s40
	s_delay_alu instid0(VALU_DEP_1) | instskip(NEXT) | instid1(VALU_DEP_1)
	v_add3_u32 v1, v1, v11, v3
	v_lshlrev_b64 v[0:1], 3, v[0:1]
	s_delay_alu instid0(VALU_DEP_1) | instskip(NEXT) | instid1(VALU_DEP_1)
	v_add_co_u32 v0, s4, s36, v0
	v_add_co_ci_u32_e64 v1, s4, s37, v1, s4
	s_and_b32 s4, s1, s3
	s_delay_alu instid0(SALU_CYCLE_1)
	s_and_saveexec_b32 s5, s4
	s_cbranch_execz .LBB91_61
; %bb.60:                               ;   in Loop: Header=BB91_4 Depth=1
	v_add_co_u32 v2, s4, v0, v4
	s_delay_alu instid0(VALU_DEP_1)
	v_add_co_ci_u32_e64 v3, s4, v1, v5, s4
	v_mul_f32_e32 v11, s33, v47
	v_mul_f32_e32 v13, s11, v47
	global_load_b64 v[16:17], v[2:3], off
	v_fma_f32 v11, v46, s11, -v11
	s_waitcnt vmcnt(0)
	s_delay_alu instid0(VALU_DEP_1) | instskip(NEXT) | instid1(VALU_DEP_1)
	v_dual_fmac_f32 v13, s33, v46 :: v_dual_add_f32 v16, v16, v11
	v_add_f32_e32 v17, v17, v13
	global_store_b64 v[2:3], v[16:17], off
.LBB91_61:                              ;   in Loop: Header=BB91_4 Depth=1
	s_or_b32 exec_lo, exec_lo, s5
	s_and_b32 s3, s2, s3
	s_delay_alu instid0(SALU_CYCLE_1)
	s_and_saveexec_b32 s4, s3
	s_cbranch_execz .LBB91_3
; %bb.62:                               ;   in Loop: Header=BB91_4 Depth=1
	v_lshlrev_b64 v[2:3], 3, v[8:9]
	v_mul_f32_e32 v11, s33, v44
	s_delay_alu instid0(VALU_DEP_1) | instskip(NEXT) | instid1(VALU_DEP_3)
	v_fma_f32 v11, v45, s11, -v11
	v_add_co_u32 v0, s3, v0, v2
	s_delay_alu instid0(VALU_DEP_1) | instskip(SKIP_3) | instid1(VALU_DEP_1)
	v_add_co_ci_u32_e64 v1, s3, v1, v3, s3
	global_load_b64 v[2:3], v[0:1], off
	s_waitcnt vmcnt(0)
	v_dual_mul_f32 v13, s11, v44 :: v_dual_add_f32 v2, v2, v11
	v_fmac_f32_e32 v13, s33, v45
	s_delay_alu instid0(VALU_DEP_1)
	v_add_f32_e32 v3, v3, v13
	global_store_b64 v[0:1], v[2:3], off
	s_branch .LBB91_3
.LBB91_63:
	s_nop 0
	s_sendmsg sendmsg(MSG_DEALLOC_VGPRS)
	s_endpgm
	.section	.rodata,"a",@progbits
	.p2align	6, 0x0
	.amdhsa_kernel _ZL30rocblas_trmm_outofplace_kernelI19rocblas_complex_numIfELi32ELi2ELb0ELb1ELb1ELb0ES1_KS1_S1_Ev17rocblas_diagonal_iiT6_lPT7_lllS6_lllPT8_llli
		.amdhsa_group_segment_fixed_size 16384
		.amdhsa_private_segment_fixed_size 0
		.amdhsa_kernarg_size 392
		.amdhsa_user_sgpr_count 13
		.amdhsa_user_sgpr_dispatch_ptr 0
		.amdhsa_user_sgpr_queue_ptr 0
		.amdhsa_user_sgpr_kernarg_segment_ptr 1
		.amdhsa_user_sgpr_dispatch_id 0
		.amdhsa_user_sgpr_private_segment_size 0
		.amdhsa_wavefront_size32 1
		.amdhsa_uses_dynamic_stack 0
		.amdhsa_enable_private_segment 0
		.amdhsa_system_sgpr_workgroup_id_x 1
		.amdhsa_system_sgpr_workgroup_id_y 1
		.amdhsa_system_sgpr_workgroup_id_z 1
		.amdhsa_system_sgpr_workgroup_info 0
		.amdhsa_system_vgpr_workitem_id 1
		.amdhsa_next_free_vgpr 86
		.amdhsa_next_free_sgpr 47
		.amdhsa_reserve_vcc 1
		.amdhsa_float_round_mode_32 0
		.amdhsa_float_round_mode_16_64 0
		.amdhsa_float_denorm_mode_32 3
		.amdhsa_float_denorm_mode_16_64 3
		.amdhsa_dx10_clamp 1
		.amdhsa_ieee_mode 1
		.amdhsa_fp16_overflow 0
		.amdhsa_workgroup_processor_mode 1
		.amdhsa_memory_ordered 1
		.amdhsa_forward_progress 0
		.amdhsa_shared_vgpr_count 0
		.amdhsa_exception_fp_ieee_invalid_op 0
		.amdhsa_exception_fp_denorm_src 0
		.amdhsa_exception_fp_ieee_div_zero 0
		.amdhsa_exception_fp_ieee_overflow 0
		.amdhsa_exception_fp_ieee_underflow 0
		.amdhsa_exception_fp_ieee_inexact 0
		.amdhsa_exception_int_div_zero 0
	.end_amdhsa_kernel
	.section	.text._ZL30rocblas_trmm_outofplace_kernelI19rocblas_complex_numIfELi32ELi2ELb0ELb1ELb1ELb0ES1_KS1_S1_Ev17rocblas_diagonal_iiT6_lPT7_lllS6_lllPT8_llli,"axG",@progbits,_ZL30rocblas_trmm_outofplace_kernelI19rocblas_complex_numIfELi32ELi2ELb0ELb1ELb1ELb0ES1_KS1_S1_Ev17rocblas_diagonal_iiT6_lPT7_lllS6_lllPT8_llli,comdat
.Lfunc_end91:
	.size	_ZL30rocblas_trmm_outofplace_kernelI19rocblas_complex_numIfELi32ELi2ELb0ELb1ELb1ELb0ES1_KS1_S1_Ev17rocblas_diagonal_iiT6_lPT7_lllS6_lllPT8_llli, .Lfunc_end91-_ZL30rocblas_trmm_outofplace_kernelI19rocblas_complex_numIfELi32ELi2ELb0ELb1ELb1ELb0ES1_KS1_S1_Ev17rocblas_diagonal_iiT6_lPT7_lllS6_lllPT8_llli
                                        ; -- End function
	.section	.AMDGPU.csdata,"",@progbits
; Kernel info:
; codeLenInByte = 7416
; NumSgprs: 49
; NumVgprs: 86
; ScratchSize: 0
; MemoryBound: 1
; FloatMode: 240
; IeeeMode: 1
; LDSByteSize: 16384 bytes/workgroup (compile time only)
; SGPRBlocks: 6
; VGPRBlocks: 10
; NumSGPRsForWavesPerEU: 49
; NumVGPRsForWavesPerEU: 86
; Occupancy: 16
; WaveLimiterHint : 0
; COMPUTE_PGM_RSRC2:SCRATCH_EN: 0
; COMPUTE_PGM_RSRC2:USER_SGPR: 13
; COMPUTE_PGM_RSRC2:TRAP_HANDLER: 0
; COMPUTE_PGM_RSRC2:TGID_X_EN: 1
; COMPUTE_PGM_RSRC2:TGID_Y_EN: 1
; COMPUTE_PGM_RSRC2:TGID_Z_EN: 1
; COMPUTE_PGM_RSRC2:TIDIG_COMP_CNT: 1
	.section	.text._ZL30rocblas_trmm_outofplace_kernelI19rocblas_complex_numIfELi32ELi2ELb0ELb0ELb1ELb1EPKS1_S2_S1_Ev17rocblas_diagonal_iiT6_lPT7_lllS7_lllPT8_llli,"axG",@progbits,_ZL30rocblas_trmm_outofplace_kernelI19rocblas_complex_numIfELi32ELi2ELb0ELb0ELb1ELb1EPKS1_S2_S1_Ev17rocblas_diagonal_iiT6_lPT7_lllS7_lllPT8_llli,comdat
	.globl	_ZL30rocblas_trmm_outofplace_kernelI19rocblas_complex_numIfELi32ELi2ELb0ELb0ELb1ELb1EPKS1_S2_S1_Ev17rocblas_diagonal_iiT6_lPT7_lllS7_lllPT8_llli ; -- Begin function _ZL30rocblas_trmm_outofplace_kernelI19rocblas_complex_numIfELi32ELi2ELb0ELb0ELb1ELb1EPKS1_S2_S1_Ev17rocblas_diagonal_iiT6_lPT7_lllS7_lllPT8_llli
	.p2align	8
	.type	_ZL30rocblas_trmm_outofplace_kernelI19rocblas_complex_numIfELi32ELi2ELb0ELb0ELb1ELb1EPKS1_S2_S1_Ev17rocblas_diagonal_iiT6_lPT7_lllS7_lllPT8_llli,@function
_ZL30rocblas_trmm_outofplace_kernelI19rocblas_complex_numIfELi32ELi2ELb0ELb0ELb1ELb1EPKS1_S2_S1_Ev17rocblas_diagonal_iiT6_lPT7_lllS7_lllPT8_llli: ; @_ZL30rocblas_trmm_outofplace_kernelI19rocblas_complex_numIfELi32ELi2ELb0ELb0ELb1ELb1EPKS1_S2_S1_Ev17rocblas_diagonal_iiT6_lPT7_lllS7_lllPT8_llli
; %bb.0:
	s_load_b512 s[16:31], s[0:1], 0x10
	s_waitcnt lgkmcnt(0)
	s_mul_i32 s2, s15, s19
	s_mul_hi_u32 s3, s15, s18
	s_delay_alu instid0(SALU_CYCLE_1) | instskip(SKIP_1) | instid1(SALU_CYCLE_1)
	s_add_i32 s3, s3, s2
	s_mul_i32 s2, s15, s18
	s_lshl_b64 s[2:3], s[2:3], 3
	s_delay_alu instid0(SALU_CYCLE_1) | instskip(SKIP_4) | instid1(SALU_CYCLE_1)
	s_add_u32 s2, s16, s2
	s_addc_u32 s3, s17, s3
	s_load_b64 s[34:35], s[2:3], 0x0
	s_waitcnt lgkmcnt(0)
	s_or_b32 s2, s34, s35
	s_bitset0_b32 s2, 31
	s_delay_alu instid0(SALU_CYCLE_1)
	s_cmp_eq_u32 s2, 0
	s_cbranch_scc1 .LBB92_63
; %bb.1:
	s_load_b128 s[16:19], s[0:1], 0x0
	s_waitcnt lgkmcnt(0)
	s_add_i32 s2, s18, -1
	s_delay_alu instid0(SALU_CYCLE_1) | instskip(NEXT) | instid1(SALU_CYCLE_1)
	s_ashr_i32 s3, s2, 31
	s_lshr_b32 s3, s3, 27
	s_delay_alu instid0(SALU_CYCLE_1) | instskip(NEXT) | instid1(SALU_CYCLE_1)
	s_add_i32 s2, s2, s3
	s_ashr_i32 s33, s2, 5
	s_delay_alu instid0(SALU_CYCLE_1)
	s_cmp_gt_i32 s14, s33
	s_cbranch_scc1 .LBB92_63
; %bb.2:
	v_and_b32_e32 v39, 0x3ff, v0
	s_load_b128 s[36:39], s[0:1], 0x70
	s_mul_i32 s3, s15, s27
	s_mul_hi_u32 s4, s15, s26
	v_bfe_u32 v40, v0, 10, 10
	v_mad_u64_u32 v[1:2], null, v39, s24, 0
	s_add_i32 s3, s4, s3
	s_load_b256 s[4:11], s[0:1], 0x50
	s_mul_i32 s2, s15, s26
	s_load_b32 s26, s[0:1], 0x8c
	s_lshl_b64 s[2:3], s[2:3], 3
	v_lshl_add_u32 v18, v40, 3, 0x80
	s_delay_alu instid0(VALU_DEP_2)
	v_mov_b32_e32 v0, v2
	s_add_u32 s12, s20, s2
	s_addc_u32 s19, s21, s3
	s_lshl_b64 s[42:43], s[22:23], 3
	v_dual_mov_b32 v5, 0 :: v_dual_lshlrev_b32 v4, 3, v39
	v_mad_u64_u32 v[2:3], null, v39, s25, v[0:1]
	s_waitcnt lgkmcnt(0)
	s_mul_i32 s1, s15, s39
	s_mul_hi_u32 s22, s15, s38
	s_add_u32 s12, s12, s42
	s_addc_u32 s19, s19, s43
	s_mul_i32 s0, s15, s38
	s_add_i32 s1, s22, s1
	v_lshlrev_b64 v[2:3], 3, v[1:2]
	s_lshl_b64 s[0:1], s[0:1], 3
	v_lshl_add_u32 v0, s13, 5, v39
	s_add_u32 s8, s8, s0
	s_addc_u32 s9, s9, s1
	s_lshl_b64 s[0:1], s[10:11], 3
	v_add_co_u32 v6, vcc_lo, s12, v2
	s_add_u32 s27, s8, s0
	s_addc_u32 s38, s9, s1
	v_ashrrev_i32_e32 v1, 31, v0
	s_cmpk_eq_i32 s16, 0x84
	v_add_co_ci_u32_e32 v7, vcc_lo, s19, v3, vcc_lo
	s_cselect_b32 s39, -1, 0
	s_ashr_i32 s19, s18, 31
	s_ashr_i32 s0, s17, 31
	s_lshl_b64 s[10:11], s[24:25], 8
	s_lshl_b64 s[12:13], s[4:5], 8
	v_sub_co_u32 v2, vcc_lo, s17, v0
	s_add_u32 s22, s18, -16
	s_addc_u32 s23, s19, -1
	s_lshl_b32 s40, s26, 5
	v_sub_co_ci_u32_e32 v3, vcc_lo, s0, v1, vcc_lo
	v_add_nc_u32_e32 v15, 0x80, v4
	s_add_u32 s0, s20, s42
	s_addc_u32 s1, s21, s43
	s_add_u32 s0, s0, s2
	s_addc_u32 s1, s1, s3
	v_or_b32_e32 v43, 0x2000, v4
	v_mad_u64_u32 v[10:11], null, s24, v15, s[0:1]
	v_lshlrev_b32_e32 v41, 8, v40
	v_cmp_gt_i64_e32 vcc_lo, 1, v[2:3]
	v_cmp_gt_i64_e64 s0, 17, v[2:3]
	v_add_nc_u32_e32 v45, 0x2080, v4
	v_sub_co_u32 v46, s3, 0, v39
	v_mov_b32_e32 v2, v11
	v_add_nc_u32_e32 v42, v41, v4
	v_mad_u64_u32 v[3:4], null, s4, v40, 0
	v_sub_co_ci_u32_e64 v47, null, 0, 0, s3
	s_mul_i32 s3, s7, s15
	s_mul_hi_u32 s7, s6, s15
	s_mul_i32 s6, s6, s15
	s_add_i32 s7, s7, s3
	s_delay_alu instid0(VALU_DEP_2) | instskip(NEXT) | instid1(VALU_DEP_3)
	v_mad_u64_u32 v[13:14], null, s25, v15, v[2:3]
	v_mov_b32_e32 v2, v4
	v_mad_u64_u32 v[14:15], null, s4, v18, 0
	s_lshl_b64 s[6:7], s[6:7], 3
	s_lshl_b64 s[8:9], s[30:31], 3
	s_delay_alu instid0(VALU_DEP_2) | instskip(SKIP_2) | instid1(VALU_DEP_2)
	v_mad_u64_u32 v[16:17], null, s5, v40, v[2:3]
	s_add_u32 s3, s6, s8
	s_addc_u32 s4, s7, s9
	v_mov_b32_e32 v2, v15
	s_add_u32 s3, s28, s3
	v_dual_mov_b32 v11, v13 :: v_dual_add_nc_u32 v8, 16, v0
	s_delay_alu instid0(VALU_DEP_3)
	v_mov_b32_e32 v4, v16
	v_lshlrev_b64 v[15:16], 3, v[0:1]
	v_cmp_gt_i32_e64 s1, s17, v0
	v_mad_u64_u32 v[0:1], null, s5, v18, v[2:3]
	s_addc_u32 s4, s29, s4
	v_lshlrev_b64 v[17:18], 3, v[3:4]
	s_delay_alu instid0(VALU_DEP_4) | instskip(NEXT) | instid1(VALU_DEP_1)
	v_add_co_u32 v1, s3, s3, v15
	v_add_co_ci_u32_e64 v2, s3, s4, v16, s3
	v_add_nc_u32_e32 v44, v43, v41
	s_delay_alu instid0(VALU_DEP_3)
	v_add_co_u32 v19, s3, 0x80, v1
	v_cmp_gt_i32_e64 s2, s17, v8
	v_ashrrev_i32_e32 v9, 31, v8
	v_lshl_add_u32 v12, s14, 5, v40
	v_add_co_ci_u32_e64 v20, s3, 0, v2, s3
	v_mov_b32_e32 v48, v0
	v_mov_b32_e32 v4, 1.0
	s_branch .LBB92_4
.LBB92_3:                               ;   in Loop: Header=BB92_4 Depth=1
	s_or_b32 exec_lo, exec_lo, s4
	v_add_nc_u32_e32 v12, s40, v12
	s_add_i32 s14, s26, s14
	s_delay_alu instid0(SALU_CYCLE_1)
	s_cmp_le_i32 s14, s33
	s_cbranch_scc0 .LBB92_63
.LBB92_4:                               ; =>This Loop Header: Depth=1
                                        ;     Child Loop BB92_7 Depth 2
	s_lshl_b32 s15, s14, 5
	s_delay_alu instid0(SALU_CYCLE_1)
	v_dual_mov_b32 v54, v5 :: v_dual_add_nc_u32 v21, s15, v40
	v_mov_b32_e32 v55, v5
	v_mov_b32_e32 v52, v5
	;; [unrolled: 1-line block ×4, first 2 shown]
	v_ashrrev_i32_e32 v22, 31, v21
	v_mov_b32_e32 v51, v5
	v_mov_b32_e32 v49, v5
	;; [unrolled: 1-line block ×3, first 2 shown]
	s_cmp_lt_i32 s14, 0
	s_cbranch_scc1 .LBB92_55
; %bb.5:                                ;   in Loop: Header=BB92_4 Depth=1
	v_ashrrev_i32_e32 v13, 31, v12
	v_add_co_u32 v23, s3, v21, 16
	s_delay_alu instid0(VALU_DEP_1) | instskip(SKIP_1) | instid1(VALU_DEP_1)
	v_add_co_ci_u32_e64 v24, s3, 0, v22, s3
	v_add_co_u32 v25, s3, v46, v12
	v_add_co_ci_u32_e64 v26, s3, v47, v13, s3
	v_lshlrev_b64 v[27:28], 3, v[12:13]
	s_delay_alu instid0(VALU_DEP_3) | instskip(NEXT) | instid1(VALU_DEP_1)
	v_add_co_u32 v29, s5, v25, 16
	v_add_co_ci_u32_e64 v30, s5, 0, v26, s5
	v_add_co_u32 v31, s5, v25, -16
	v_cmp_le_i64_e64 s4, s[18:19], v[23:24]
	v_dual_mov_b32 v13, 0 :: v_dual_mov_b32 v34, v20
	v_cmp_le_i32_e64 s3, s18, v21
	v_add_co_ci_u32_e64 v32, s5, -1, v26, s5
	v_dual_mov_b32 v33, v19 :: v_dual_mov_b32 v50, 0
	v_dual_mov_b32 v36, v7 :: v_dual_mov_b32 v35, v6
	;; [unrolled: 1-line block ×5, first 2 shown]
	v_mov_b32_e32 v53, 0
	v_mov_b32_e32 v55, 0
	s_mov_b64 s[16:17], 0
	s_branch .LBB92_7
.LBB92_6:                               ;   in Loop: Header=BB92_7 Depth=2
	s_or_b32 exec_lo, exec_lo, s5
	s_waitcnt lgkmcnt(0)
	s_waitcnt_vscnt null, 0x0
	s_barrier
	buffer_gl0_inv
	ds_load_2addr_b64 v[56:59], v43 offset1:32
	ds_load_b128 v[60:63], v41
	ds_load_2addr_b64 v[64:67], v45 offset1:32
	ds_load_b128 v[68:71], v41 offset:4096
	ds_load_b128 v[72:75], v41 offset:16
	;; [unrolled: 1-line block ×5, first 2 shown]
	v_add_co_u32 v37, s5, v37, s10
	s_delay_alu instid0(VALU_DEP_1) | instskip(SKIP_1) | instid1(VALU_DEP_1)
	v_add_co_ci_u32_e64 v38, s5, s11, v38, s5
	v_add_co_u32 v35, s5, v35, s10
	v_add_co_ci_u32_e64 v36, s5, s11, v36, s5
	v_add_co_u32 v33, s5, v33, s12
	s_add_u32 s16, s16, 32
	v_add_co_ci_u32_e64 v34, s5, s13, v34, s5
	s_waitcnt lgkmcnt(6)
	v_mul_f32_e32 v84, v61, v57
	s_waitcnt lgkmcnt(5)
	v_mul_f32_e32 v86, v61, v65
	v_mul_f32_e32 v87, v60, v65
	s_waitcnt lgkmcnt(4)
	v_mul_f32_e32 v89, v69, v65
	v_mul_f32_e32 v65, v68, v65
	;; [unrolled: 1-line block ×3, first 2 shown]
	s_addc_u32 s17, s17, 0
	s_sub_i32 s6, s16, 32
	s_delay_alu instid0(VALU_DEP_2) | instskip(SKIP_1) | instid1(VALU_DEP_1)
	v_fmac_f32_e32 v65, v69, v64
	s_cmp_ge_i32 s6, s15
	v_add_f32_e32 v13, v13, v65
	v_mul_f32_e32 v65, v63, v67
	v_fma_f32 v84, v60, v56, -v84
	s_delay_alu instid0(VALU_DEP_1) | instskip(NEXT) | instid1(VALU_DEP_1)
	v_dual_mul_f32 v85, v60, v57 :: v_dual_add_f32 v54, v54, v84
	v_fmac_f32_e32 v85, v61, v56
	v_fmac_f32_e32 v87, v61, v64
	v_mul_f32_e32 v57, v68, v57
	v_fma_f32 v61, v68, v56, -v88
	s_delay_alu instid0(VALU_DEP_3) | instskip(SKIP_3) | instid1(VALU_DEP_2)
	v_add_f32_e32 v84, v53, v87
	v_mul_f32_e32 v87, v71, v59
	v_fma_f32 v60, v60, v64, -v86
	v_dual_fmac_f32 v57, v69, v56 :: v_dual_mul_f32 v86, v62, v67
	v_add_f32_e32 v60, v52, v60
	v_fma_f32 v56, v68, v64, -v89
	v_mul_f32_e32 v64, v62, v59
	s_delay_alu instid0(VALU_DEP_2) | instskip(NEXT) | instid1(VALU_DEP_2)
	v_dual_fmac_f32 v86, v63, v66 :: v_dual_add_f32 v69, v49, v56
	v_fmac_f32_e32 v64, v63, v58
	v_add_f32_e32 v68, v55, v85
	v_dual_add_f32 v61, v50, v61 :: v_dual_mul_f32 v50, v63, v59
	v_fma_f32 v63, v70, v58, -v87
	s_delay_alu instid0(VALU_DEP_3) | instskip(NEXT) | instid1(VALU_DEP_3)
	v_dual_mul_f32 v59, v70, v59 :: v_dual_add_f32 v64, v68, v64
	v_fma_f32 v53, v62, v58, -v50
	v_fma_f32 v62, v62, v66, -v65
	v_add_f32_e32 v57, v51, v57
	ds_load_2addr_b64 v[49:52], v43 offset0:64 offset1:96
	v_fmac_f32_e32 v59, v71, v58
	v_dual_add_f32 v85, v54, v53 :: v_dual_add_f32 v58, v61, v63
	ds_load_2addr_b64 v[53:56], v45 offset0:64 offset1:96
	v_add_f32_e32 v60, v60, v62
	v_mul_f32_e32 v62, v71, v67
	s_delay_alu instid0(VALU_DEP_1) | instskip(NEXT) | instid1(VALU_DEP_1)
	v_fma_f32 v62, v70, v66, -v62
	v_dual_mul_f32 v61, v70, v67 :: v_dual_add_f32 v62, v69, v62
	s_delay_alu instid0(VALU_DEP_1) | instskip(SKIP_4) | instid1(VALU_DEP_1)
	v_fmac_f32_e32 v61, v71, v66
	s_waitcnt lgkmcnt(1)
	v_mul_f32_e32 v68, v83, v52
	s_waitcnt lgkmcnt(0)
	v_dual_mul_f32 v66, v73, v54 :: v_dual_mul_f32 v71, v74, v56
	v_fma_f32 v66, v72, v53, -v66
	v_add_f32_e32 v57, v57, v59
	v_mul_f32_e32 v59, v72, v50
	s_delay_alu instid0(VALU_DEP_3) | instskip(SKIP_1) | instid1(VALU_DEP_3)
	v_add_f32_e32 v66, v60, v66
	v_mul_f32_e32 v60, v81, v54
	v_fmac_f32_e32 v59, v73, v49
	s_delay_alu instid0(VALU_DEP_1) | instskip(SKIP_1) | instid1(VALU_DEP_1)
	v_add_f32_e32 v67, v64, v59
	v_mul_f32_e32 v59, v81, v50
	v_fma_f32 v59, v80, v49, -v59
	v_mul_f32_e32 v63, v73, v50
	v_dual_mul_f32 v50, v80, v50 :: v_dual_add_f32 v13, v13, v61
	v_mul_f32_e32 v61, v72, v54
	s_delay_alu instid0(VALU_DEP_4) | instskip(NEXT) | instid1(VALU_DEP_3)
	v_dual_add_f32 v65, v84, v86 :: v_dual_add_f32 v70, v58, v59
	v_fmac_f32_e32 v50, v81, v49
	v_fma_f32 v63, v72, v49, -v63
	s_delay_alu instid0(VALU_DEP_4)
	v_fmac_f32_e32 v61, v73, v53
	v_fma_f32 v73, v82, v51, -v68
	v_mul_f32_e32 v49, v80, v54
	v_fma_f32 v54, v80, v53, -v60
	v_mul_f32_e32 v58, v75, v52
	v_add_f32_e32 v50, v57, v50
	s_delay_alu instid0(VALU_DEP_4) | instskip(NEXT) | instid1(VALU_DEP_4)
	v_fmac_f32_e32 v49, v81, v53
	v_add_f32_e32 v53, v62, v54
	v_mul_f32_e32 v54, v74, v52
	v_mul_f32_e32 v52, v82, v52
	;; [unrolled: 1-line block ×3, first 2 shown]
	s_delay_alu instid0(VALU_DEP_3) | instskip(SKIP_1) | instid1(VALU_DEP_4)
	v_fmac_f32_e32 v54, v75, v51
	v_add_f32_e32 v63, v85, v63
	v_fmac_f32_e32 v52, v83, v51
	s_delay_alu instid0(VALU_DEP_3) | instskip(SKIP_3) | instid1(VALU_DEP_1)
	v_dual_add_f32 v54, v67, v54 :: v_dual_add_f32 v69, v65, v61
	v_fma_f32 v61, v74, v51, -v58
	ds_load_2addr_b64 v[57:60], v43 offset0:128 offset1:160
	v_fma_f32 v65, v74, v55, -v62
	v_dual_fmac_f32 v71, v75, v55 :: v_dual_add_f32 v72, v66, v65
	ds_load_b128 v[65:68], v41 offset:4128
	v_add_f32_e32 v13, v13, v49
	v_add_f32_e32 v49, v63, v61
	ds_load_2addr_b64 v[61:64], v45 offset0:128 offset1:160
	v_add_f32_e32 v69, v69, v71
	v_mul_f32_e32 v71, v83, v56
	v_mul_f32_e32 v51, v82, v56
	v_add_f32_e32 v56, v70, v73
	s_waitcnt lgkmcnt(2)
	v_dual_add_f32 v73, v50, v52 :: v_dual_mul_f32 v70, v77, v58
	s_delay_alu instid0(VALU_DEP_1) | instskip(SKIP_3) | instid1(VALU_DEP_3)
	v_fma_f32 v50, v76, v57, -v70
	s_waitcnt lgkmcnt(0)
	v_mul_f32_e32 v52, v77, v62
	v_fma_f32 v71, v82, v55, -v71
	v_dual_add_f32 v70, v49, v50 :: v_dual_fmac_f32 v51, v83, v55
	v_mul_f32_e32 v55, v76, v58
	s_delay_alu instid0(VALU_DEP_4) | instskip(NEXT) | instid1(VALU_DEP_3)
	v_fma_f32 v74, v76, v61, -v52
	v_add_f32_e32 v13, v13, v51
	s_delay_alu instid0(VALU_DEP_3)
	v_fmac_f32_e32 v55, v77, v57
	ds_load_b128 v[49:52], v41 offset:4144
	v_add_f32_e32 v53, v53, v71
	v_mul_f32_e32 v71, v76, v62
	v_mul_f32_e32 v75, v66, v58
	v_add_f32_e32 v76, v54, v55
	v_mul_f32_e32 v54, v65, v58
	v_add_f32_e32 v58, v72, v74
	v_mul_f32_e32 v72, v66, v62
	v_fma_f32 v55, v65, v57, -v75
	v_fmac_f32_e32 v71, v77, v61
	v_dual_fmac_f32 v54, v66, v57 :: v_dual_mul_f32 v57, v65, v62
	v_mul_f32_e32 v77, v68, v60
	s_delay_alu instid0(VALU_DEP_4) | instskip(SKIP_1) | instid1(VALU_DEP_4)
	v_add_f32_e32 v62, v56, v55
	v_fma_f32 v55, v65, v61, -v72
	v_dual_mul_f32 v56, v79, v60 :: v_dual_fmac_f32 v57, v66, v61
	v_mul_f32_e32 v61, v78, v60
	v_mul_f32_e32 v60, v67, v60
	s_delay_alu instid0(VALU_DEP_4) | instskip(NEXT) | instid1(VALU_DEP_2)
	v_add_f32_e32 v66, v53, v55
	v_fmac_f32_e32 v60, v68, v59
	s_delay_alu instid0(VALU_DEP_4) | instskip(SKIP_2) | instid1(VALU_DEP_3)
	v_fmac_f32_e32 v61, v79, v59
	v_add_f32_e32 v74, v69, v71
	v_fma_f32 v69, v78, v59, -v56
	v_add_f32_e32 v61, v76, v61
	v_fma_f32 v76, v67, v59, -v77
	s_delay_alu instid0(VALU_DEP_1)
	v_add_f32_e32 v59, v62, v76
	v_add_f32_e32 v65, v73, v54
	ds_load_2addr_b64 v[53:56], v43 offset0:192 offset1:224
	v_add_f32_e32 v73, v70, v69
	ds_load_2addr_b64 v[69:72], v45 offset0:192 offset1:224
	v_dual_mul_f32 v62, v67, v64 :: v_dual_add_f32 v13, v13, v57
	v_mul_f32_e32 v57, v79, v64
	v_mul_f32_e32 v75, v78, v64
	v_add_f32_e32 v60, v65, v60
	s_delay_alu instid0(VALU_DEP_4) | instskip(NEXT) | instid1(VALU_DEP_4)
	v_fmac_f32_e32 v62, v68, v63
	v_fma_f32 v57, v78, v63, -v57
	s_delay_alu instid0(VALU_DEP_4) | instskip(NEXT) | instid1(VALU_DEP_2)
	v_dual_fmac_f32 v75, v79, v63 :: v_dual_add_nc_u32 v78, 0x800, v45
	v_dual_add_f32 v57, v58, v57 :: v_dual_mul_f32 v58, v68, v64
	s_waitcnt lgkmcnt(1)
	v_mul_f32_e32 v64, v1, v54
	s_delay_alu instid0(VALU_DEP_2)
	v_fma_f32 v58, v67, v63, -v58
	v_mul_f32_e32 v65, v0, v54
	s_waitcnt lgkmcnt(0)
	v_mul_f32_e32 v76, v52, v72
	v_fma_f32 v63, v0, v53, -v64
	v_mul_f32_e32 v64, v1, v70
	v_dual_add_f32 v58, v66, v58 :: v_dual_fmac_f32 v65, v1, v53
	v_add_f32_e32 v13, v13, v62
	v_mul_f32_e32 v62, v0, v70
	s_delay_alu instid0(VALU_DEP_4) | instskip(NEXT) | instid1(VALU_DEP_2)
	v_fma_f32 v0, v0, v69, -v64
	v_fmac_f32_e32 v62, v1, v69
	s_delay_alu instid0(VALU_DEP_2)
	v_add_f32_e32 v0, v57, v0
	v_add_f32_e32 v66, v73, v63
	;; [unrolled: 1-line block ×3, first 2 shown]
	v_mul_f32_e32 v61, v50, v54
	v_mul_f32_e32 v1, v49, v54
	v_dual_mul_f32 v54, v50, v70 :: v_dual_mul_f32 v65, v3, v72
	s_delay_alu instid0(VALU_DEP_3) | instskip(SKIP_2) | instid1(VALU_DEP_4)
	v_fma_f32 v57, v49, v53, -v61
	v_dual_mul_f32 v61, v49, v70 :: v_dual_mul_f32 v70, v2, v72
	v_mul_f32_e32 v72, v51, v72
	v_fma_f32 v49, v49, v69, -v54
	s_delay_alu instid0(VALU_DEP_4) | instskip(NEXT) | instid1(VALU_DEP_4)
	v_add_f32_e32 v54, v59, v57
	v_dual_fmac_f32 v61, v50, v69 :: v_dual_fmac_f32 v70, v3, v71
	s_delay_alu instid0(VALU_DEP_4) | instskip(NEXT) | instid1(VALU_DEP_4)
	v_dual_fmac_f32 v72, v52, v71 :: v_dual_fmac_f32 v1, v50, v53
	v_add_f32_e32 v49, v58, v49
	s_delay_alu instid0(VALU_DEP_2) | instskip(SKIP_1) | instid1(VALU_DEP_2)
	v_dual_add_f32 v50, v60, v1 :: v_dual_mul_f32 v1, v3, v56
	v_add_f32_e32 v74, v74, v75
	v_fma_f32 v1, v2, v55, -v1
	s_delay_alu instid0(VALU_DEP_2) | instskip(NEXT) | instid1(VALU_DEP_2)
	v_add_f32_e32 v53, v74, v62
	v_dual_add_f32 v74, v66, v1 :: v_dual_add_nc_u32 v77, 0x800, v43
	v_add_f32_e32 v13, v13, v61
	ds_load_2addr_b64 v[57:60], v77 offset1:32
	ds_load_b128 v[61:64], v41 offset:64
	v_fma_f32 v1, v2, v71, -v65
	ds_load_2addr_b64 v[65:68], v78 offset1:32
	v_mul_f32_e32 v69, v2, v56
	v_add_f32_e32 v13, v13, v72
	v_mul_f32_e32 v2, v52, v56
	s_waitcnt lgkmcnt(1)
	v_dual_add_f32 v75, v0, v1 :: v_dual_mul_f32 v80, v62, v58
	s_waitcnt lgkmcnt(0)
	v_mul_f32_e32 v72, v61, v66
	s_delay_alu instid0(VALU_DEP_1) | instskip(NEXT) | instid1(VALU_DEP_1)
	v_dual_fmac_f32 v72, v62, v65 :: v_dual_fmac_f32 v69, v3, v55
	v_add_f32_e32 v69, v73, v69
	v_mul_f32_e32 v73, v51, v56
	v_fma_f32 v56, v51, v55, -v2
	ds_load_b128 v[0:3], v41 offset:4160
	v_fma_f32 v51, v51, v71, -v76
	v_fmac_f32_e32 v73, v52, v55
	s_delay_alu instid0(VALU_DEP_2)
	v_dual_add_f32 v79, v54, v56 :: v_dual_add_f32 v76, v49, v51
	v_add_f32_e32 v70, v53, v70
	ds_load_b128 v[53:56], v41 offset:80
	v_add_f32_e32 v73, v50, v73
	v_mul_f32_e32 v71, v61, v58
	v_fma_f32 v50, v61, v57, -v80
	v_mul_f32_e32 v49, v62, v66
	s_delay_alu instid0(VALU_DEP_3) | instskip(NEXT) | instid1(VALU_DEP_3)
	v_fmac_f32_e32 v71, v62, v57
	v_add_f32_e32 v74, v74, v50
	s_waitcnt lgkmcnt(1)
	v_mul_f32_e32 v80, v1, v58
	v_mul_f32_e32 v58, v0, v58
	s_delay_alu instid0(VALU_DEP_2) | instskip(NEXT) | instid1(VALU_DEP_2)
	v_fma_f32 v62, v0, v57, -v80
	v_dual_fmac_f32 v58, v1, v57 :: v_dual_mul_f32 v57, v0, v66
	v_add_f32_e32 v80, v70, v72
	s_delay_alu instid0(VALU_DEP_3) | instskip(SKIP_1) | instid1(VALU_DEP_4)
	v_dual_add_f32 v62, v79, v62 :: v_dual_add_f32 v81, v69, v71
	v_dual_mul_f32 v69, v1, v66 :: v_dual_mul_f32 v66, v64, v60
	v_dual_mul_f32 v79, v3, v60 :: v_dual_add_f32 v58, v73, v58
	s_delay_alu instid0(VALU_DEP_2) | instskip(SKIP_4) | instid1(VALU_DEP_1)
	v_fma_f32 v0, v0, v65, -v69
	ds_load_2addr_b64 v[69:72], v77 offset0:64 offset1:96
	v_dual_add_f32 v0, v76, v0 :: v_dual_fmac_f32 v57, v1, v65
	v_mul_f32_e32 v1, v63, v60
	v_mul_f32_e32 v60, v2, v60
	v_fmac_f32_e32 v60, v3, v59
	v_fma_f32 v61, v61, v65, -v49
	v_fma_f32 v65, v63, v59, -v66
	ds_load_b128 v[49:52], v41 offset:4176
	v_mul_f32_e32 v66, v63, v68
	v_dual_add_f32 v58, v58, v60 :: v_dual_add_f32 v61, v75, v61
	v_add_f32_e32 v65, v74, v65
	ds_load_2addr_b64 v[73:76], v78 offset0:64 offset1:96
	v_add_f32_e32 v13, v13, v57
	s_waitcnt lgkmcnt(2)
	v_dual_mul_f32 v57, v64, v68 :: v_dual_mul_f32 v60, v53, v70
	v_fmac_f32_e32 v66, v64, v67
	s_delay_alu instid0(VALU_DEP_2) | instskip(SKIP_1) | instid1(VALU_DEP_4)
	v_fma_f32 v57, v63, v67, -v57
	v_fma_f32 v63, v2, v59, -v79
	v_fmac_f32_e32 v60, v54, v69
	s_delay_alu instid0(VALU_DEP_3)
	v_add_f32_e32 v57, v61, v57
	v_mul_f32_e32 v61, v3, v68
	v_fmac_f32_e32 v1, v64, v59
	v_add_f32_e32 v59, v62, v63
	v_mul_f32_e32 v62, v2, v68
	v_add_f32_e32 v64, v80, v66
	v_fma_f32 v2, v2, v67, -v61
	s_waitcnt lgkmcnt(0)
	v_dual_mul_f32 v61, v54, v70 :: v_dual_mul_f32 v68, v55, v76
	v_dual_fmac_f32 v62, v3, v67 :: v_dual_mul_f32 v3, v54, v74
	s_delay_alu instid0(VALU_DEP_3) | instskip(NEXT) | instid1(VALU_DEP_3)
	v_add_f32_e32 v0, v0, v2
	v_fma_f32 v2, v53, v69, -v61
	v_mul_f32_e32 v61, v53, v74
	s_delay_alu instid0(VALU_DEP_4) | instskip(SKIP_1) | instid1(VALU_DEP_4)
	v_add_f32_e32 v13, v13, v62
	v_mul_f32_e32 v67, v55, v72
	v_dual_mul_f32 v63, v56, v76 :: v_dual_add_f32 v62, v65, v2
	v_fma_f32 v2, v53, v73, -v3
	v_fmac_f32_e32 v61, v54, v73
	v_mul_f32_e32 v3, v49, v70
	v_fmac_f32_e32 v67, v56, v71
	v_fmac_f32_e32 v68, v56, v75
	v_add_f32_e32 v54, v57, v2
	v_dual_add_f32 v1, v81, v1 :: v_dual_mul_f32 v2, v50, v74
	v_add_f32_e32 v65, v64, v61
	v_mul_f32_e32 v61, v49, v74
	v_fmac_f32_e32 v3, v50, v69
	s_delay_alu instid0(VALU_DEP_4) | instskip(SKIP_3) | instid1(VALU_DEP_4)
	v_add_f32_e32 v53, v1, v60
	v_mul_f32_e32 v1, v50, v70
	v_fma_f32 v2, v49, v73, -v2
	v_dual_mul_f32 v70, v52, v72 :: v_dual_fmac_f32 v61, v50, v73
	v_add_f32_e32 v73, v53, v67
	s_delay_alu instid0(VALU_DEP_4)
	v_fma_f32 v1, v49, v69, -v1
	v_mul_f32_e32 v49, v56, v72
	v_mul_f32_e32 v72, v51, v72
	v_fma_f32 v67, v51, v71, -v70
	v_add_f32_e32 v50, v0, v2
	v_add_f32_e32 v66, v59, v1
	v_fma_f32 v49, v55, v71, -v49
	v_fmac_f32_e32 v72, v52, v71
	v_mul_f32_e32 v71, v52, v76
	v_mul_f32_e32 v76, v51, v76
	v_fma_f32 v55, v55, v75, -v63
	v_add_f32_e32 v79, v66, v67
	v_add_f32_e32 v69, v58, v3
	ds_load_2addr_b64 v[0:3], v77 offset0:128 offset1:160
	ds_load_b128 v[57:60], v41 offset:96
	v_dual_add_f32 v49, v62, v49 :: v_dual_fmac_f32 v76, v52, v75
	v_add_f32_e32 v13, v13, v61
	ds_load_2addr_b64 v[61:64], v78 offset0:128 offset1:160
	v_add_f32_e32 v74, v54, v55
	ds_load_b128 v[53:56], v41 offset:4192
	v_fma_f32 v51, v51, v75, -v71
	s_delay_alu instid0(VALU_DEP_1)
	v_dual_add_f32 v69, v69, v72 :: v_dual_add_f32 v72, v50, v51
	s_waitcnt lgkmcnt(2)
	v_mul_f32_e32 v80, v58, v1
	s_waitcnt lgkmcnt(1)
	v_mul_f32_e32 v50, v58, v62
	v_add_f32_e32 v70, v65, v68
	ds_load_b128 v[65:68], v41 offset:112
	v_mul_f32_e32 v71, v57, v1
	v_fma_f32 v52, v57, v0, -v80
	v_add_f32_e32 v13, v13, v76
	v_mul_f32_e32 v76, v57, v62
	s_waitcnt lgkmcnt(1)
	v_mul_f32_e32 v80, v54, v1
	v_fmac_f32_e32 v71, v58, v0
	v_mul_f32_e32 v1, v53, v1
	v_fma_f32 v57, v57, v61, -v50
	v_fmac_f32_e32 v76, v58, v61
	v_fma_f32 v58, v53, v0, -v80
	v_add_f32_e32 v81, v73, v71
	v_mul_f32_e32 v71, v54, v62
	v_dual_fmac_f32 v1, v54, v0 :: v_dual_mul_f32 v0, v53, v62
	v_mul_f32_e32 v62, v60, v3
	v_add_f32_e32 v80, v70, v76
	s_delay_alu instid0(VALU_DEP_4) | instskip(SKIP_3) | instid1(VALU_DEP_4)
	v_fma_f32 v53, v53, v61, -v71
	v_add_f32_e32 v58, v79, v58
	v_fmac_f32_e32 v0, v54, v61
	v_fma_f32 v61, v59, v2, -v62
	v_dual_mul_f32 v62, v59, v64 :: v_dual_add_f32 v53, v72, v53
	v_mul_f32_e32 v54, v59, v3
	s_delay_alu instid0(VALU_DEP_4) | instskip(NEXT) | instid1(VALU_DEP_3)
	v_add_f32_e32 v0, v13, v0
	v_dual_fmac_f32 v62, v60, v63 :: v_dual_add_f32 v1, v69, v1
	ds_load_2addr_b64 v[69:72], v77 offset0:192 offset1:224
	v_add_f32_e32 v75, v49, v52
	ds_load_b128 v[49:52], v41 offset:4208
	v_mul_f32_e32 v77, v56, v3
	v_dual_mul_f32 v3, v55, v3 :: v_dual_fmac_f32 v54, v60, v2
	v_add_f32_e32 v61, v75, v61
	v_add_f32_e32 v57, v74, v57
	ds_load_2addr_b64 v[73:76], v78 offset0:192 offset1:224
	v_mul_f32_e32 v13, v60, v64
	v_fmac_f32_e32 v3, v56, v2
	v_add_f32_e32 v60, v80, v62
	v_add_nc_u32_e32 v78, 0x1000, v45
	s_delay_alu instid0(VALU_DEP_4) | instskip(SKIP_2) | instid1(VALU_DEP_3)
	v_fma_f32 v13, v59, v63, -v13
	v_fma_f32 v59, v55, v2, -v77
	v_add_nc_u32_e32 v77, 0x1000, v43
	v_add_f32_e32 v13, v57, v13
	s_delay_alu instid0(VALU_DEP_3) | instskip(SKIP_1) | instid1(VALU_DEP_2)
	v_dual_mul_f32 v57, v56, v64 :: v_dual_add_f32 v2, v58, v59
	v_mul_f32_e32 v58, v55, v64
	v_fma_f32 v55, v55, v63, -v57
	s_waitcnt lgkmcnt(2)
	s_delay_alu instid0(VALU_DEP_2) | instskip(SKIP_3) | instid1(VALU_DEP_3)
	v_dual_mul_f32 v57, v66, v70 :: v_dual_fmac_f32 v58, v56, v63
	s_waitcnt lgkmcnt(0)
	v_mul_f32_e32 v64, v67, v76
	v_dual_mul_f32 v56, v66, v74 :: v_dual_add_f32 v53, v53, v55
	v_fma_f32 v55, v65, v69, -v57
	s_delay_alu instid0(VALU_DEP_3) | instskip(SKIP_2) | instid1(VALU_DEP_3)
	v_dual_mul_f32 v57, v65, v74 :: v_dual_fmac_f32 v64, v68, v75
	v_add_f32_e32 v1, v1, v3
	v_mul_f32_e32 v3, v65, v70
	v_dual_add_f32 v0, v0, v58 :: v_dual_fmac_f32 v57, v66, v73
	v_add_f32_e32 v58, v61, v55
	v_fma_f32 v55, v65, v73, -v56
	s_delay_alu instid0(VALU_DEP_4) | instskip(NEXT) | instid1(VALU_DEP_4)
	v_dual_fmac_f32 v3, v66, v69 :: v_dual_mul_f32 v56, v49, v74
	v_add_f32_e32 v62, v60, v57
	v_add_f32_e32 v54, v81, v54
	s_delay_alu instid0(VALU_DEP_4) | instskip(SKIP_2) | instid1(VALU_DEP_4)
	v_add_f32_e32 v13, v13, v55
	v_mul_f32_e32 v55, v50, v74
	v_dual_fmac_f32 v56, v50, v73 :: v_dual_mul_f32 v59, v68, v76
	v_dual_add_f32 v61, v54, v3 :: v_dual_mul_f32 v54, v49, v70
	v_mul_f32_e32 v3, v50, v70
	v_add_f32_e32 v74, v62, v64
	v_mul_f32_e32 v63, v67, v72
	v_fma_f32 v66, v67, v75, -v59
	v_fmac_f32_e32 v54, v50, v69
	v_fma_f32 v3, v49, v69, -v3
	v_fma_f32 v49, v49, v73, -v55
	v_fmac_f32_e32 v63, v68, v71
	v_add_f32_e32 v13, v13, v66
	v_dual_add_f32 v50, v1, v54 :: v_dual_mul_f32 v1, v68, v72
	s_delay_alu instid0(VALU_DEP_4) | instskip(SKIP_1) | instid1(VALU_DEP_3)
	v_add_f32_e32 v49, v53, v49
	v_add_f32_e32 v69, v0, v56
	v_fma_f32 v57, v67, v71, -v1
	v_mul_f32_e32 v67, v52, v72
	v_mul_f32_e32 v72, v51, v72
	s_delay_alu instid0(VALU_DEP_3) | instskip(NEXT) | instid1(VALU_DEP_3)
	v_add_f32_e32 v70, v58, v57
	v_fma_f32 v66, v51, v71, -v67
	s_delay_alu instid0(VALU_DEP_3) | instskip(SKIP_2) | instid1(VALU_DEP_2)
	v_fmac_f32_e32 v72, v52, v71
	v_mul_f32_e32 v71, v52, v76
	v_mul_f32_e32 v76, v51, v76
	v_fma_f32 v51, v51, v75, -v71
	s_delay_alu instid0(VALU_DEP_2) | instskip(NEXT) | instid1(VALU_DEP_2)
	v_dual_fmac_f32 v76, v52, v75 :: v_dual_add_f32 v71, v50, v72
	v_add_f32_e32 v75, v49, v51
	v_add_f32_e32 v65, v2, v3
	ds_load_2addr_b64 v[0:3], v77 offset1:32
	ds_load_b128 v[53:56], v41 offset:128
	ds_load_2addr_b64 v[57:60], v78 offset1:32
	v_add_f32_e32 v76, v69, v76
	v_add_f32_e32 v79, v65, v66
	ds_load_b128 v[65:68], v41 offset:144
	s_waitcnt lgkmcnt(2)
	v_mul_f32_e32 v72, v53, v1
	v_add_f32_e32 v73, v61, v63
	ds_load_b128 v[61:64], v41 offset:4224
	v_mul_f32_e32 v80, v54, v1
	s_waitcnt lgkmcnt(2)
	v_mul_f32_e32 v49, v54, v58
	v_dual_mul_f32 v69, v53, v58 :: v_dual_fmac_f32 v72, v54, v0
	s_delay_alu instid0(VALU_DEP_3) | instskip(NEXT) | instid1(VALU_DEP_3)
	v_fma_f32 v50, v53, v0, -v80
	v_fma_f32 v53, v53, v57, -v49
	s_delay_alu instid0(VALU_DEP_2) | instskip(SKIP_3) | instid1(VALU_DEP_2)
	v_add_f32_e32 v80, v70, v50
	ds_load_b128 v[49:52], v41 offset:4240
	v_fmac_f32_e32 v69, v54, v57
	v_add_f32_e32 v13, v13, v53
	v_add_f32_e32 v82, v74, v69
	s_waitcnt lgkmcnt(1)
	v_mul_f32_e32 v70, v62, v1
	v_dual_mul_f32 v1, v61, v1 :: v_dual_mul_f32 v54, v62, v58
	s_delay_alu instid0(VALU_DEP_2) | instskip(NEXT) | instid1(VALU_DEP_2)
	v_fma_f32 v53, v61, v0, -v70
	v_dual_fmac_f32 v1, v62, v0 :: v_dual_mul_f32 v0, v61, v58
	s_delay_alu instid0(VALU_DEP_3) | instskip(NEXT) | instid1(VALU_DEP_3)
	v_fma_f32 v54, v61, v57, -v54
	v_dual_mul_f32 v58, v56, v3 :: v_dual_add_f32 v53, v79, v53
	s_delay_alu instid0(VALU_DEP_3)
	v_dual_mul_f32 v79, v64, v3 :: v_dual_fmac_f32 v0, v62, v57
	v_mul_f32_e32 v57, v55, v3
	v_mul_f32_e32 v62, v55, v60
	v_mul_f32_e32 v61, v56, v60
	v_mul_f32_e32 v3, v63, v3
	v_fma_f32 v58, v55, v2, -v58
	v_fmac_f32_e32 v57, v56, v2
	v_fmac_f32_e32 v62, v56, v59
	v_fma_f32 v56, v63, v2, -v79
	v_fmac_f32_e32 v3, v64, v2
	v_add_f32_e32 v0, v76, v0
	v_fma_f32 v55, v55, v59, -v61
	s_delay_alu instid0(VALU_DEP_4) | instskip(SKIP_1) | instid1(VALU_DEP_3)
	v_dual_add_f32 v1, v71, v1 :: v_dual_add_f32 v2, v53, v56
	v_mul_f32_e32 v53, v63, v60
	v_dual_add_f32 v54, v75, v54 :: v_dual_add_f32 v13, v13, v55
	v_mul_f32_e32 v55, v64, v60
	s_delay_alu instid0(VALU_DEP_4) | instskip(NEXT) | instid1(VALU_DEP_4)
	v_add_f32_e32 v1, v1, v3
	v_fmac_f32_e32 v53, v64, v59
	v_add_f32_e32 v61, v82, v62
	v_add_f32_e32 v58, v80, v58
	v_fma_f32 v55, v63, v59, -v55
	s_delay_alu instid0(VALU_DEP_4)
	v_dual_add_f32 v60, v0, v53 :: v_dual_add_f32 v81, v73, v72
	ds_load_2addr_b64 v[69:72], v77 offset0:64 offset1:96
	ds_load_2addr_b64 v[73:76], v78 offset0:64 offset1:96
	v_add_f32_e32 v54, v54, v55
	s_waitcnt lgkmcnt(1)
	v_mul_f32_e32 v56, v66, v70
	s_waitcnt lgkmcnt(0)
	v_dual_mul_f32 v3, v65, v70 :: v_dual_mul_f32 v64, v67, v76
	v_mul_f32_e32 v59, v65, v74
	v_mul_f32_e32 v53, v49, v70
	v_fma_f32 v55, v65, v69, -v56
	v_mul_f32_e32 v56, v66, v74
	v_dual_fmac_f32 v3, v66, v69 :: v_dual_fmac_f32 v64, v68, v75
	v_add_f32_e32 v57, v81, v57
	v_fmac_f32_e32 v59, v66, v73
	s_delay_alu instid0(VALU_DEP_4) | instskip(SKIP_1) | instid1(VALU_DEP_4)
	v_fma_f32 v0, v65, v73, -v56
	v_dual_mul_f32 v63, v67, v72 :: v_dual_add_f32 v58, v58, v55
	v_dual_add_f32 v62, v57, v3 :: v_dual_mul_f32 v3, v50, v70
	s_delay_alu instid0(VALU_DEP_3) | instskip(SKIP_2) | instid1(VALU_DEP_4)
	v_dual_add_f32 v13, v13, v0 :: v_dual_mul_f32 v0, v50, v74
	v_add_f32_e32 v61, v61, v59
	v_mul_f32_e32 v57, v49, v74
	v_fma_f32 v3, v49, v69, -v3
	v_mul_f32_e32 v59, v68, v76
	v_fma_f32 v0, v49, v73, -v0
	v_mul_f32_e32 v49, v68, v72
	v_fmac_f32_e32 v53, v50, v69
	v_add_f32_e32 v65, v2, v3
	v_fma_f32 v66, v67, v75, -v59
	v_fmac_f32_e32 v57, v50, v73
	v_fma_f32 v49, v67, v71, -v49
	v_mul_f32_e32 v67, v52, v72
	v_fmac_f32_e32 v63, v68, v71
	v_add_f32_e32 v13, v13, v66
	v_dual_add_f32 v69, v1, v53 :: v_dual_add_f32 v50, v54, v0
	s_delay_alu instid0(VALU_DEP_4)
	v_fma_f32 v66, v51, v71, -v67
	ds_load_2addr_b64 v[0:3], v77 offset0:128 offset1:160
	ds_load_b128 v[53:56], v41 offset:160
	v_dual_add_f32 v70, v60, v57 :: v_dual_add_f32 v73, v62, v63
	v_add_f32_e32 v74, v61, v64
	ds_load_b128 v[61:64], v41 offset:4256
	v_add_f32_e32 v79, v65, v66
	ds_load_b128 v[65:68], v41 offset:176
	v_add_f32_e32 v49, v58, v49
	ds_load_2addr_b64 v[57:60], v78 offset0:128 offset1:160
	v_mul_f32_e32 v72, v51, v72
	s_delay_alu instid0(VALU_DEP_1) | instskip(SKIP_2) | instid1(VALU_DEP_3)
	v_fmac_f32_e32 v72, v52, v71
	v_mul_f32_e32 v71, v52, v76
	v_mul_f32_e32 v76, v51, v76
	v_add_f32_e32 v69, v69, v72
	s_delay_alu instid0(VALU_DEP_3) | instskip(NEXT) | instid1(VALU_DEP_3)
	v_fma_f32 v51, v51, v75, -v71
	v_fmac_f32_e32 v76, v52, v75
	s_waitcnt lgkmcnt(3)
	v_mul_f32_e32 v80, v54, v1
	s_delay_alu instid0(VALU_DEP_3) | instskip(NEXT) | instid1(VALU_DEP_3)
	v_dual_mul_f32 v71, v53, v1 :: v_dual_add_f32 v72, v50, v51
	v_add_f32_e32 v75, v70, v76
	s_delay_alu instid0(VALU_DEP_3)
	v_fma_f32 v52, v53, v0, -v80
	s_waitcnt lgkmcnt(0)
	v_mul_f32_e32 v50, v54, v58
	v_dual_mul_f32 v70, v53, v58 :: v_dual_fmac_f32 v71, v54, v0
	v_mul_f32_e32 v80, v62, v1
	v_mul_f32_e32 v1, v61, v1
	s_delay_alu instid0(VALU_DEP_4) | instskip(NEXT) | instid1(VALU_DEP_4)
	v_fma_f32 v53, v53, v57, -v50
	v_fmac_f32_e32 v70, v54, v57
	v_mul_f32_e32 v54, v62, v58
	v_add_f32_e32 v76, v49, v52
	v_fmac_f32_e32 v1, v62, v0
	v_add_f32_e32 v13, v13, v53
	v_fma_f32 v53, v61, v0, -v80
	v_mul_f32_e32 v0, v61, v58
	v_fma_f32 v54, v61, v57, -v54
	v_mul_f32_e32 v58, v56, v3
	v_dual_add_f32 v81, v73, v71 :: v_dual_add_f32 v80, v74, v70
	v_add_f32_e32 v1, v69, v1
	v_fmac_f32_e32 v0, v62, v57
	v_add_f32_e32 v54, v72, v54
	v_fma_f32 v58, v55, v2, -v58
	ds_load_2addr_b64 v[69:72], v77 offset0:192 offset1:224
	v_mul_f32_e32 v61, v56, v60
	v_add_f32_e32 v0, v75, v0
	ds_load_b128 v[49:52], v41 offset:4272
	v_add_f32_e32 v58, v76, v58
	ds_load_2addr_b64 v[73:76], v78 offset0:192 offset1:224
	v_mul_f32_e32 v57, v55, v3
	v_dual_mul_f32 v62, v55, v60 :: v_dual_mul_f32 v77, v64, v3
	v_fma_f32 v55, v55, v59, -v61
	v_add_f32_e32 v53, v79, v53
	s_delay_alu instid0(VALU_DEP_4) | instskip(NEXT) | instid1(VALU_DEP_4)
	v_fmac_f32_e32 v57, v56, v2
	v_fmac_f32_e32 v62, v56, v59
	v_mul_f32_e32 v3, v63, v3
	v_fma_f32 v56, v63, v2, -v77
	v_add_f32_e32 v13, v13, v55
	v_mul_f32_e32 v55, v64, v60
	v_add_f32_e32 v57, v81, v57
	s_delay_alu instid0(VALU_DEP_4)
	v_dual_fmac_f32 v3, v64, v2 :: v_dual_add_f32 v2, v53, v56
	s_waitcnt lgkmcnt(2)
	v_mul_f32_e32 v56, v66, v70
	v_fma_f32 v55, v63, v59, -v55
	v_mul_f32_e32 v53, v63, v60
	v_add_f32_e32 v1, v1, v3
	v_mul_f32_e32 v3, v65, v70
	s_delay_alu instid0(VALU_DEP_4)
	v_dual_add_f32 v61, v80, v62 :: v_dual_add_f32 v54, v54, v55
	v_fma_f32 v55, v65, v69, -v56
	s_waitcnt lgkmcnt(0)
	v_dual_mul_f32 v56, v66, v74 :: v_dual_fmac_f32 v53, v64, v59
	v_fmac_f32_e32 v3, v66, v69
	v_add_nc_u32_e32 v77, 0x1800, v43
	v_add_f32_e32 v58, v58, v55
	s_delay_alu instid0(VALU_DEP_4) | instskip(SKIP_3) | instid1(VALU_DEP_4)
	v_fma_f32 v55, v65, v73, -v56
	v_mul_f32_e32 v56, v49, v70
	v_dual_add_f32 v0, v0, v53 :: v_dual_mul_f32 v53, v65, v74
	v_dual_add_f32 v62, v57, v3 :: v_dual_mul_f32 v3, v50, v70
	v_add_f32_e32 v13, v13, v55
	v_mul_f32_e32 v55, v50, v74
	v_dual_mul_f32 v57, v49, v74 :: v_dual_fmac_f32 v56, v50, v69
	v_fmac_f32_e32 v53, v66, v73
	v_fma_f32 v3, v49, v69, -v3
	s_delay_alu instid0(VALU_DEP_4) | instskip(NEXT) | instid1(VALU_DEP_4)
	v_fma_f32 v49, v49, v73, -v55
	v_dual_fmac_f32 v57, v50, v73 :: v_dual_add_f32 v50, v1, v56
	v_mul_f32_e32 v1, v68, v72
	v_add_f32_e32 v61, v61, v53
	v_add_f32_e32 v65, v2, v3
	;; [unrolled: 1-line block ×4, first 2 shown]
	v_mul_f32_e32 v63, v67, v72
	v_fma_f32 v57, v67, v71, -v1
	v_mul_f32_e32 v59, v68, v76
	ds_load_2addr_b64 v[0:3], v77 offset1:32
	ds_load_b128 v[53:56], v41 offset:192
	v_add_nc_u32_e32 v78, 0x1800, v45
	v_dual_mul_f32 v64, v67, v76 :: v_dual_fmac_f32 v63, v68, v71
	v_add_f32_e32 v70, v58, v57
	v_fma_f32 v66, v67, v75, -v59
	ds_load_2addr_b64 v[57:60], v78 offset1:32
	v_fmac_f32_e32 v64, v68, v75
	v_mul_f32_e32 v67, v52, v72
	v_dual_add_f32 v73, v62, v63 :: v_dual_mul_f32 v72, v51, v72
	v_add_f32_e32 v13, v13, v66
	s_delay_alu instid0(VALU_DEP_4) | instskip(SKIP_4) | instid1(VALU_DEP_3)
	v_add_f32_e32 v74, v61, v64
	ds_load_b128 v[61:64], v41 offset:4288
	v_fma_f32 v66, v51, v71, -v67
	v_fmac_f32_e32 v72, v52, v71
	v_mul_f32_e32 v71, v52, v76
	v_dual_mul_f32 v76, v51, v76 :: v_dual_add_f32 v79, v65, v66
	s_waitcnt lgkmcnt(2)
	v_mul_f32_e32 v80, v54, v1
	s_delay_alu instid0(VALU_DEP_3) | instskip(NEXT) | instid1(VALU_DEP_3)
	v_fma_f32 v51, v51, v75, -v71
	v_dual_add_f32 v71, v50, v72 :: v_dual_fmac_f32 v76, v52, v75
	ds_load_b128 v[65:68], v41 offset:208
	v_fma_f32 v50, v53, v0, -v80
	v_add_f32_e32 v75, v49, v51
	s_waitcnt lgkmcnt(2)
	v_dual_mul_f32 v49, v54, v58 :: v_dual_mul_f32 v72, v53, v1
	v_add_f32_e32 v76, v69, v76
	v_add_f32_e32 v80, v70, v50
	v_mul_f32_e32 v69, v53, v58
	s_delay_alu instid0(VALU_DEP_4)
	v_fma_f32 v53, v53, v57, -v49
	s_waitcnt lgkmcnt(1)
	v_mul_f32_e32 v70, v62, v1
	v_dual_mul_f32 v1, v61, v1 :: v_dual_fmac_f32 v72, v54, v0
	v_fmac_f32_e32 v69, v54, v57
	v_add_f32_e32 v13, v13, v53
	s_delay_alu instid0(VALU_DEP_4) | instskip(SKIP_3) | instid1(VALU_DEP_3)
	v_fma_f32 v53, v61, v0, -v70
	v_mul_f32_e32 v54, v62, v58
	v_dual_fmac_f32 v1, v62, v0 :: v_dual_mul_f32 v0, v61, v58
	v_dual_add_f32 v81, v73, v72 :: v_dual_add_f32 v82, v74, v69
	v_fma_f32 v54, v61, v57, -v54
	s_delay_alu instid0(VALU_DEP_3) | instskip(NEXT) | instid1(VALU_DEP_4)
	v_add_f32_e32 v1, v71, v1
	v_fmac_f32_e32 v0, v62, v57
	ds_load_2addr_b64 v[69:72], v77 offset0:64 offset1:96
	v_mul_f32_e32 v58, v56, v3
	v_dual_add_f32 v54, v75, v54 :: v_dual_mul_f32 v61, v56, v60
	v_add_f32_e32 v0, v76, v0
	ds_load_2addr_b64 v[73:76], v78 offset0:64 offset1:96
	v_add_f32_e32 v53, v79, v53
	v_mul_f32_e32 v57, v55, v3
	v_fma_f32 v58, v55, v2, -v58
	v_dual_mul_f32 v62, v55, v60 :: v_dual_mul_f32 v79, v64, v3
	v_fma_f32 v55, v55, v59, -v61
	ds_load_b128 v[49:52], v41 offset:4304
	v_fmac_f32_e32 v57, v56, v2
	v_fmac_f32_e32 v62, v56, v59
	v_mul_f32_e32 v3, v63, v3
	v_fma_f32 v56, v63, v2, -v79
	v_add_f32_e32 v13, v13, v55
	v_mul_f32_e32 v55, v64, v60
	v_add_f32_e32 v57, v81, v57
	s_delay_alu instid0(VALU_DEP_4) | instskip(SKIP_1) | instid1(VALU_DEP_4)
	v_dual_fmac_f32 v3, v64, v2 :: v_dual_add_f32 v2, v53, v56
	v_mul_f32_e32 v53, v63, v60
	v_fma_f32 v55, v63, v59, -v55
	s_waitcnt lgkmcnt(2)
	s_delay_alu instid0(VALU_DEP_3) | instskip(SKIP_3) | instid1(VALU_DEP_4)
	v_dual_mul_f32 v56, v66, v70 :: v_dual_add_f32 v1, v1, v3
	v_mul_f32_e32 v3, v65, v70
	v_fmac_f32_e32 v53, v64, v59
	v_add_f32_e32 v54, v54, v55
	v_fma_f32 v55, v65, v69, -v56
	s_waitcnt lgkmcnt(1)
	v_mul_f32_e32 v56, v66, v74
	v_fmac_f32_e32 v3, v66, v69
	v_dual_add_f32 v60, v0, v53 :: v_dual_add_f32 v61, v82, v62
	v_mul_f32_e32 v59, v65, v74
	s_delay_alu instid0(VALU_DEP_4) | instskip(SKIP_3) | instid1(VALU_DEP_3)
	v_fma_f32 v0, v65, v73, -v56
	s_waitcnt lgkmcnt(0)
	v_dual_add_f32 v62, v57, v3 :: v_dual_mul_f32 v3, v50, v70
	v_mul_f32_e32 v53, v49, v70
	v_dual_add_f32 v58, v80, v58 :: v_dual_add_f32 v13, v13, v0
	v_mul_f32_e32 v0, v50, v74
	v_fmac_f32_e32 v59, v66, v73
	v_fma_f32 v3, v49, v69, -v3
	v_fmac_f32_e32 v53, v50, v69
	v_mul_f32_e32 v57, v49, v74
	v_fma_f32 v0, v49, v73, -v0
	v_dual_mul_f32 v49, v68, v72 :: v_dual_add_f32 v58, v58, v55
	v_add_f32_e32 v61, v61, v59
	v_add_f32_e32 v65, v2, v3
	;; [unrolled: 1-line block ×3, first 2 shown]
	v_fmac_f32_e32 v57, v50, v73
	v_add_f32_e32 v50, v54, v0
	v_fma_f32 v49, v67, v71, -v49
	v_mul_f32_e32 v59, v68, v76
	ds_load_2addr_b64 v[0:3], v77 offset0:128 offset1:160
	ds_load_b128 v[53:56], v41 offset:224
	v_mul_f32_e32 v63, v67, v72
	v_mul_f32_e32 v64, v67, v76
	v_add_f32_e32 v70, v60, v57
	v_add_f32_e32 v49, v58, v49
	v_fma_f32 v66, v67, v75, -v59
	ds_load_2addr_b64 v[57:60], v78 offset0:128 offset1:160
	v_fmac_f32_e32 v63, v68, v71
	v_fmac_f32_e32 v64, v68, v75
	v_mul_f32_e32 v67, v52, v72
	v_dual_mul_f32 v72, v51, v72 :: v_dual_add_f32 v13, v13, v66
	s_delay_alu instid0(VALU_DEP_3) | instskip(NEXT) | instid1(VALU_DEP_3)
	v_dual_add_f32 v73, v62, v63 :: v_dual_add_f32 v74, v61, v64
	v_fma_f32 v66, v51, v71, -v67
	s_delay_alu instid0(VALU_DEP_3)
	v_fmac_f32_e32 v72, v52, v71
	ds_load_b128 v[61:64], v41 offset:4320
	v_mul_f32_e32 v71, v52, v76
	v_dual_mul_f32 v76, v51, v76 :: v_dual_add_f32 v79, v65, v66
	ds_load_b128 v[65:68], v41 offset:240
	s_waitcnt lgkmcnt(3)
	v_mul_f32_e32 v80, v54, v1
	v_fma_f32 v51, v51, v75, -v71
	v_dual_fmac_f32 v76, v52, v75 :: v_dual_mul_f32 v71, v53, v1
	v_add_f32_e32 v81, v69, v72
	s_delay_alu instid0(VALU_DEP_4) | instskip(NEXT) | instid1(VALU_DEP_4)
	v_fma_f32 v52, v53, v0, -v80
	v_add_f32_e32 v50, v50, v51
	s_waitcnt lgkmcnt(2)
	v_mul_f32_e32 v51, v54, v58
	v_add_f32_e32 v75, v70, v76
	v_fmac_f32_e32 v71, v54, v0
	v_add_f32_e32 v76, v49, v52
	v_mul_f32_e32 v49, v53, v58
	v_fma_f32 v51, v53, v57, -v51
	s_delay_alu instid0(VALU_DEP_4)
	v_add_f32_e32 v80, v73, v71
	s_waitcnt lgkmcnt(1)
	v_mul_f32_e32 v52, v62, v1
	v_fmac_f32_e32 v49, v54, v57
	v_mul_f32_e32 v1, v61, v1
	v_add_f32_e32 v13, v13, v51
	v_mul_f32_e32 v51, v62, v58
	v_fma_f32 v52, v61, v0, -v52
	v_add_f32_e32 v53, v74, v49
	v_dual_fmac_f32 v1, v62, v0 :: v_dual_mul_f32 v0, v61, v58
	s_delay_alu instid0(VALU_DEP_4) | instskip(NEXT) | instid1(VALU_DEP_4)
	v_fma_f32 v49, v61, v57, -v51
	v_dual_mul_f32 v51, v56, v3 :: v_dual_add_f32 v54, v79, v52
	ds_load_b128 v[69:72], v41 offset:4336
	v_fmac_f32_e32 v0, v62, v57
	v_add_f32_e32 v57, v50, v49
	v_fma_f32 v61, v55, v2, -v51
	ds_load_2addr_b64 v[49:52], v77 offset0:192 offset1:224
	v_mul_f32_e32 v62, v56, v60
	v_add_f32_e32 v0, v75, v0
	v_dual_mul_f32 v58, v55, v3 :: v_dual_add_f32 v61, v76, v61
	ds_load_2addr_b64 v[73:76], v78 offset0:192 offset1:224
	v_mul_f32_e32 v77, v55, v60
	v_fma_f32 v55, v55, v59, -v62
	v_mul_f32_e32 v62, v64, v3
	v_mul_f32_e32 v3, v63, v3
	v_dual_add_f32 v1, v81, v1 :: v_dual_fmac_f32 v58, v56, v2
	v_fmac_f32_e32 v77, v56, v59
	v_add_f32_e32 v13, v13, v55
	v_fma_f32 v55, v63, v2, -v62
	v_mul_f32_e32 v56, v64, v60
	v_dual_fmac_f32 v3, v64, v2 :: v_dual_mul_f32 v60, v63, v60
	v_add_f32_e32 v58, v80, v58
	s_delay_alu instid0(VALU_DEP_4) | instskip(NEXT) | instid1(VALU_DEP_4)
	v_add_f32_e32 v2, v54, v55
	v_fma_f32 v54, v63, v59, -v56
	s_delay_alu instid0(VALU_DEP_4)
	v_add_f32_e32 v1, v1, v3
	s_waitcnt lgkmcnt(1)
	v_dual_mul_f32 v3, v65, v50 :: v_dual_fmac_f32 v60, v64, v59
	v_mul_f32_e32 v59, v70, v50
	v_add_f32_e32 v54, v57, v54
	s_waitcnt lgkmcnt(0)
	v_mul_f32_e32 v56, v66, v74
	v_fmac_f32_e32 v3, v66, v49
	v_mul_f32_e32 v57, v65, v74
	v_add_f32_e32 v53, v53, v77
	v_mul_f32_e32 v55, v66, v50
	v_fma_f32 v56, v65, v73, -v56
	v_add_f32_e32 v3, v58, v3
	v_dual_fmac_f32 v57, v66, v73 :: v_dual_mul_f32 v50, v69, v50
	v_fma_f32 v58, v69, v49, -v59
	v_fma_f32 v55, v65, v49, -v55
	v_dual_add_f32 v13, v13, v56 :: v_dual_mul_f32 v56, v70, v74
	s_delay_alu instid0(VALU_DEP_4)
	v_add_f32_e32 v53, v53, v57
	v_fmac_f32_e32 v50, v70, v49
	v_add_f32_e32 v2, v2, v58
	v_mul_f32_e32 v49, v69, v74
	v_mul_f32_e32 v57, v68, v52
	v_mul_f32_e32 v58, v67, v52
	v_dual_add_f32 v0, v0, v60 :: v_dual_add_f32 v55, v61, v55
	v_fma_f32 v56, v69, v73, -v56
	v_add_f32_e32 v1, v1, v50
	v_fmac_f32_e32 v49, v70, v73
	v_fma_f32 v50, v67, v51, -v57
	v_fmac_f32_e32 v58, v68, v51
	v_mul_f32_e32 v57, v68, v76
	v_add_f32_e32 v56, v54, v56
	v_dual_mul_f32 v59, v67, v76 :: v_dual_add_f32 v0, v0, v49
	v_add_f32_e32 v54, v55, v50
	v_add_f32_e32 v55, v3, v58
	v_fma_f32 v3, v67, v75, -v57
	v_mul_f32_e32 v49, v72, v52
	v_mul_f32_e32 v57, v71, v52
	;; [unrolled: 1-line block ×3, first 2 shown]
	v_dual_mul_f32 v58, v71, v76 :: v_dual_fmac_f32 v59, v68, v75
	v_add_f32_e32 v52, v13, v3
	v_fma_f32 v3, v71, v51, -v49
	v_fmac_f32_e32 v57, v72, v51
	v_fma_f32 v13, v71, v75, -v50
	v_fmac_f32_e32 v58, v72, v75
	v_add_f32_e32 v53, v53, v59
	s_delay_alu instid0(VALU_DEP_4) | instskip(NEXT) | instid1(VALU_DEP_4)
	v_dual_add_f32 v50, v2, v3 :: v_dual_add_f32 v51, v1, v57
	v_add_f32_e32 v49, v56, v13
	s_delay_alu instid0(VALU_DEP_4)
	v_add_f32_e32 v13, v0, v58
	s_barrier
	buffer_gl0_inv
	s_cbranch_scc1 .LBB92_55
.LBB92_7:                               ;   Parent Loop BB92_4 Depth=1
                                        ; =>  This Inner Loop Header: Depth=2
	v_add_co_u32 v0, s5, v39, s16
	s_delay_alu instid0(VALU_DEP_1) | instskip(SKIP_1) | instid1(VALU_DEP_2)
	v_add_co_ci_u32_e64 v1, null, 0, s17, s5
	v_cmp_eq_u64_e64 s6, s[16:17], v[25:26]
	v_cmp_gt_i64_e64 s5, v[0:1], v[21:22]
	s_delay_alu instid0(VALU_DEP_2) | instskip(SKIP_1) | instid1(VALU_DEP_2)
	s_and_b32 s21, s39, s6
	v_cmp_le_i64_e64 s6, s[18:19], v[0:1]
	s_or_b32 s7, s3, s5
	s_delay_alu instid0(SALU_CYCLE_1) | instskip(SKIP_1) | instid1(VALU_DEP_1)
	s_or_b32 s8, s7, s21
	v_add_co_u32 v2, s7, v35, v27
	v_add_co_ci_u32_e64 v3, s7, v36, v28, s7
	s_delay_alu instid0(VALU_DEP_3) | instskip(NEXT) | instid1(SALU_CYCLE_1)
	s_or_b32 s7, s6, s8
	s_xor_b32 s7, s7, -1
	s_delay_alu instid0(SALU_CYCLE_1) | instskip(NEXT) | instid1(SALU_CYCLE_1)
	s_and_saveexec_b32 s8, s7
	s_xor_b32 s7, exec_lo, s8
	s_cbranch_execz .LBB92_9
; %bb.8:                                ;   in Loop: Header=BB92_7 Depth=2
	global_load_b64 v[56:57], v[2:3], off
	s_waitcnt vmcnt(0)
	v_xor_b32_e32 v57, 0x80000000, v57
	ds_store_b64 v42, v[56:57]
.LBB92_9:                               ;   in Loop: Header=BB92_7 Depth=2
	s_or_saveexec_b32 s7, s7
	s_xor_b32 s20, s21, -1
	s_xor_b32 exec_lo, exec_lo, s7
	s_cbranch_execz .LBB92_15
; %bb.10:                               ;   in Loop: Header=BB92_7 Depth=2
	s_and_saveexec_b32 s8, s20
	s_delay_alu instid0(SALU_CYCLE_1)
	s_xor_b32 s8, exec_lo, s8
	s_cbranch_execz .LBB92_12
; %bb.11:                               ;   in Loop: Header=BB92_7 Depth=2
	v_mov_b32_e32 v56, v5
	v_mov_b32_e32 v57, v5
	ds_store_b64 v42, v[56:57]
.LBB92_12:                              ;   in Loop: Header=BB92_7 Depth=2
	s_and_not1_saveexec_b32 s8, s8
	s_cbranch_execz .LBB92_14
; %bb.13:                               ;   in Loop: Header=BB92_7 Depth=2
	ds_store_b64 v42, v[4:5]
.LBB92_14:                              ;   in Loop: Header=BB92_7 Depth=2
	s_or_b32 exec_lo, exec_lo, s8
.LBB92_15:                              ;   in Loop: Header=BB92_7 Depth=2
	s_delay_alu instid0(SALU_CYCLE_1) | instskip(SKIP_1) | instid1(VALU_DEP_1)
	s_or_b32 exec_lo, exec_lo, s7
	v_add_co_u32 v56, s7, v0, 16
	v_add_co_ci_u32_e64 v57, s7, 0, v1, s7
	v_cmp_eq_u64_e64 s8, s[16:17], v[31:32]
	s_delay_alu instid0(VALU_DEP_2) | instskip(SKIP_1) | instid1(VALU_DEP_3)
	v_cmp_gt_i64_e64 s9, v[56:57], v[21:22]
	v_cmp_le_i64_e64 s7, s[18:19], v[56:57]
	s_and_b32 s24, s39, s8
	s_delay_alu instid0(VALU_DEP_2) | instskip(NEXT) | instid1(SALU_CYCLE_1)
	s_or_b32 s8, s3, s9
	s_or_b32 s8, s8, s24
	s_delay_alu instid0(VALU_DEP_1) | instid1(SALU_CYCLE_1)
	s_or_b32 s8, s7, s8
	s_delay_alu instid0(SALU_CYCLE_1) | instskip(NEXT) | instid1(SALU_CYCLE_1)
	s_xor_b32 s8, s8, -1
	s_and_saveexec_b32 s9, s8
	s_delay_alu instid0(SALU_CYCLE_1)
	s_xor_b32 s9, exec_lo, s9
	s_cbranch_execz .LBB92_17
; %bb.16:                               ;   in Loop: Header=BB92_7 Depth=2
	v_add_co_u32 v56, s8, v37, v27
	s_delay_alu instid0(VALU_DEP_1)
	v_add_co_ci_u32_e64 v57, s8, v38, v28, s8
	global_load_b64 v[56:57], v[56:57], off
	s_waitcnt vmcnt(0)
	v_xor_b32_e32 v57, 0x80000000, v57
	ds_store_b64 v42, v[56:57] offset:128
.LBB92_17:                              ;   in Loop: Header=BB92_7 Depth=2
	s_and_not1_saveexec_b32 s8, s9
	s_cbranch_execz .LBB92_23
; %bb.18:                               ;   in Loop: Header=BB92_7 Depth=2
	s_xor_b32 s9, s24, -1
	s_delay_alu instid0(SALU_CYCLE_1) | instskip(NEXT) | instid1(SALU_CYCLE_1)
	s_and_saveexec_b32 s24, s9
	s_xor_b32 s9, exec_lo, s24
	s_cbranch_execz .LBB92_20
; %bb.19:                               ;   in Loop: Header=BB92_7 Depth=2
	v_mov_b32_e32 v56, v5
	v_mov_b32_e32 v57, v5
	ds_store_b64 v42, v[56:57] offset:128
.LBB92_20:                              ;   in Loop: Header=BB92_7 Depth=2
	s_and_not1_saveexec_b32 s9, s9
	s_cbranch_execz .LBB92_22
; %bb.21:                               ;   in Loop: Header=BB92_7 Depth=2
	ds_store_b64 v42, v[4:5] offset:128
.LBB92_22:                              ;   in Loop: Header=BB92_7 Depth=2
	s_or_b32 exec_lo, exec_lo, s9
.LBB92_23:                              ;   in Loop: Header=BB92_7 Depth=2
	s_delay_alu instid0(SALU_CYCLE_1) | instskip(SKIP_2) | instid1(VALU_DEP_2)
	s_or_b32 exec_lo, exec_lo, s8
	v_cmp_eq_u64_e64 s8, s[16:17], v[29:30]
	v_cmp_gt_i64_e64 s9, v[0:1], v[23:24]
	s_and_b32 s8, s39, s8
	s_delay_alu instid0(VALU_DEP_1) | instskip(NEXT) | instid1(SALU_CYCLE_1)
	s_or_b32 s9, s4, s9
	s_or_b32 s9, s9, s8
	s_delay_alu instid0(SALU_CYCLE_1) | instskip(NEXT) | instid1(SALU_CYCLE_1)
	s_or_b32 s6, s6, s9
	s_xor_b32 s6, s6, -1
	s_delay_alu instid0(SALU_CYCLE_1) | instskip(NEXT) | instid1(SALU_CYCLE_1)
	s_and_saveexec_b32 s9, s6
	s_xor_b32 s6, exec_lo, s9
	s_cbranch_execz .LBB92_25
; %bb.24:                               ;   in Loop: Header=BB92_7 Depth=2
	global_load_b64 v[0:1], v[2:3], off offset:128
	s_waitcnt vmcnt(0)
	v_xor_b32_e32 v1, 0x80000000, v1
	ds_store_b64 v42, v[0:1] offset:4096
.LBB92_25:                              ;   in Loop: Header=BB92_7 Depth=2
	s_and_not1_saveexec_b32 s6, s6
	s_cbranch_execz .LBB92_31
; %bb.26:                               ;   in Loop: Header=BB92_7 Depth=2
	s_xor_b32 s8, s8, -1
	s_delay_alu instid0(SALU_CYCLE_1) | instskip(NEXT) | instid1(SALU_CYCLE_1)
	s_and_saveexec_b32 s9, s8
	s_xor_b32 s8, exec_lo, s9
	s_cbranch_execz .LBB92_28
; %bb.27:                               ;   in Loop: Header=BB92_7 Depth=2
	v_mov_b32_e32 v0, v5
	v_mov_b32_e32 v1, v5
	ds_store_b64 v42, v[0:1] offset:4096
.LBB92_28:                              ;   in Loop: Header=BB92_7 Depth=2
	s_and_not1_saveexec_b32 s8, s8
	s_cbranch_execz .LBB92_30
; %bb.29:                               ;   in Loop: Header=BB92_7 Depth=2
	ds_store_b64 v42, v[4:5] offset:4096
.LBB92_30:                              ;   in Loop: Header=BB92_7 Depth=2
	s_or_b32 exec_lo, exec_lo, s8
.LBB92_31:                              ;   in Loop: Header=BB92_7 Depth=2
	s_delay_alu instid0(SALU_CYCLE_1) | instskip(SKIP_1) | instid1(SALU_CYCLE_1)
	s_or_b32 exec_lo, exec_lo, s6
	s_or_b32 s5, s4, s5
	s_or_b32 s5, s5, s21
	s_delay_alu instid0(SALU_CYCLE_1) | instskip(NEXT) | instid1(SALU_CYCLE_1)
	s_or_b32 s5, s7, s5
	s_xor_b32 s5, s5, -1
	s_delay_alu instid0(SALU_CYCLE_1) | instskip(NEXT) | instid1(SALU_CYCLE_1)
	s_and_saveexec_b32 s6, s5
	s_xor_b32 s6, exec_lo, s6
	s_cbranch_execz .LBB92_33
; %bb.32:                               ;   in Loop: Header=BB92_7 Depth=2
	v_add_co_u32 v0, s5, v37, v27
	s_delay_alu instid0(VALU_DEP_1)
	v_add_co_ci_u32_e64 v1, s5, v38, v28, s5
	global_load_b64 v[0:1], v[0:1], off offset:128
	s_waitcnt vmcnt(0)
	v_xor_b32_e32 v1, 0x80000000, v1
	ds_store_b64 v42, v[0:1] offset:4224
.LBB92_33:                              ;   in Loop: Header=BB92_7 Depth=2
	s_and_not1_saveexec_b32 s5, s6
	s_cbranch_execz .LBB92_39
; %bb.34:                               ;   in Loop: Header=BB92_7 Depth=2
	s_and_saveexec_b32 s6, s20
	s_delay_alu instid0(SALU_CYCLE_1)
	s_xor_b32 s6, exec_lo, s6
	s_cbranch_execz .LBB92_36
; %bb.35:                               ;   in Loop: Header=BB92_7 Depth=2
	v_mov_b32_e32 v0, v5
	v_mov_b32_e32 v1, v5
	ds_store_b64 v42, v[0:1] offset:4224
.LBB92_36:                              ;   in Loop: Header=BB92_7 Depth=2
	s_and_not1_saveexec_b32 s6, s6
	s_cbranch_execz .LBB92_38
; %bb.37:                               ;   in Loop: Header=BB92_7 Depth=2
	ds_store_b64 v42, v[4:5] offset:4224
.LBB92_38:                              ;   in Loop: Header=BB92_7 Depth=2
	s_or_b32 exec_lo, exec_lo, s6
.LBB92_39:                              ;   in Loop: Header=BB92_7 Depth=2
	s_delay_alu instid0(SALU_CYCLE_1) | instskip(SKIP_1) | instid1(VALU_DEP_1)
	s_or_b32 exec_lo, exec_lo, s5
	v_add_co_u32 v0, s5, v40, s16
	v_add_co_ci_u32_e64 v1, null, 0, s17, s5
	v_add_co_u32 v2, s6, v33, v17
	s_delay_alu instid0(VALU_DEP_1) | instskip(NEXT) | instid1(VALU_DEP_3)
	v_add_co_ci_u32_e64 v3, s6, v34, v18, s6
	v_cmp_le_i64_e64 s5, s[18:19], v[0:1]
	s_delay_alu instid0(VALU_DEP_1) | instskip(NEXT) | instid1(SALU_CYCLE_1)
	s_or_b32 s6, s5, vcc_lo
	s_xor_b32 s6, s6, -1
	s_delay_alu instid0(SALU_CYCLE_1) | instskip(NEXT) | instid1(SALU_CYCLE_1)
	s_and_saveexec_b32 s7, s6
	s_xor_b32 s6, exec_lo, s7
	s_cbranch_execz .LBB92_41
; %bb.40:                               ;   in Loop: Header=BB92_7 Depth=2
	global_load_b64 v[56:57], v[2:3], off offset:-128
	s_waitcnt vmcnt(0)
	ds_store_b64 v44, v[56:57]
.LBB92_41:                              ;   in Loop: Header=BB92_7 Depth=2
	s_and_not1_saveexec_b32 s6, s6
	s_cbranch_execz .LBB92_43
; %bb.42:                               ;   in Loop: Header=BB92_7 Depth=2
	v_mov_b32_e32 v56, v5
	v_mov_b32_e32 v57, v5
	ds_store_b64 v44, v[56:57]
.LBB92_43:                              ;   in Loop: Header=BB92_7 Depth=2
	s_or_b32 exec_lo, exec_lo, s6
	s_or_b32 s5, s5, s0
	s_delay_alu instid0(SALU_CYCLE_1) | instskip(NEXT) | instid1(SALU_CYCLE_1)
	s_xor_b32 s5, s5, -1
	s_and_saveexec_b32 s6, s5
	s_delay_alu instid0(SALU_CYCLE_1)
	s_xor_b32 s5, exec_lo, s6
	s_cbranch_execz .LBB92_45
; %bb.44:                               ;   in Loop: Header=BB92_7 Depth=2
	global_load_b64 v[2:3], v[2:3], off
	s_waitcnt vmcnt(0)
	ds_store_b64 v44, v[2:3] offset:128
.LBB92_45:                              ;   in Loop: Header=BB92_7 Depth=2
	s_and_not1_saveexec_b32 s5, s5
	s_cbranch_execz .LBB92_47
; %bb.46:                               ;   in Loop: Header=BB92_7 Depth=2
	v_mov_b32_e32 v2, v5
	v_mov_b32_e32 v3, v5
	ds_store_b64 v44, v[2:3] offset:128
.LBB92_47:                              ;   in Loop: Header=BB92_7 Depth=2
	s_or_b32 exec_lo, exec_lo, s5
	v_cmp_le_i64_e64 s5, s[22:23], v[0:1]
	s_delay_alu instid0(VALU_DEP_1) | instskip(NEXT) | instid1(SALU_CYCLE_1)
	s_or_b32 s6, s5, vcc_lo
	s_xor_b32 s6, s6, -1
	s_delay_alu instid0(SALU_CYCLE_1) | instskip(NEXT) | instid1(SALU_CYCLE_1)
	s_and_saveexec_b32 s7, s6
	s_xor_b32 s7, exec_lo, s7
	s_cbranch_execz .LBB92_49
; %bb.48:                               ;   in Loop: Header=BB92_7 Depth=2
	v_add_co_u32 v0, s6, v33, v14
	s_delay_alu instid0(VALU_DEP_1)
	v_add_co_ci_u32_e64 v1, s6, v34, v48, s6
	global_load_b64 v[0:1], v[0:1], off offset:-128
	s_waitcnt vmcnt(0)
	ds_store_b64 v44, v[0:1] offset:4096
.LBB92_49:                              ;   in Loop: Header=BB92_7 Depth=2
	s_and_not1_saveexec_b32 s6, s7
	s_cbranch_execz .LBB92_51
; %bb.50:                               ;   in Loop: Header=BB92_7 Depth=2
	v_mov_b32_e32 v0, v5
	v_mov_b32_e32 v1, v5
	ds_store_b64 v44, v[0:1] offset:4096
.LBB92_51:                              ;   in Loop: Header=BB92_7 Depth=2
	s_or_b32 exec_lo, exec_lo, s6
	s_or_b32 s5, s5, s0
	s_delay_alu instid0(SALU_CYCLE_1) | instskip(NEXT) | instid1(SALU_CYCLE_1)
	s_xor_b32 s5, s5, -1
	s_and_saveexec_b32 s6, s5
	s_delay_alu instid0(SALU_CYCLE_1)
	s_xor_b32 s6, exec_lo, s6
	s_cbranch_execz .LBB92_53
; %bb.52:                               ;   in Loop: Header=BB92_7 Depth=2
	v_add_co_u32 v0, s5, v33, v14
	s_delay_alu instid0(VALU_DEP_1)
	v_add_co_ci_u32_e64 v1, s5, v34, v48, s5
	global_load_b64 v[0:1], v[0:1], off
	s_waitcnt vmcnt(0)
	ds_store_b64 v44, v[0:1] offset:4224
.LBB92_53:                              ;   in Loop: Header=BB92_7 Depth=2
	s_and_not1_saveexec_b32 s5, s6
	s_cbranch_execz .LBB92_6
; %bb.54:                               ;   in Loop: Header=BB92_7 Depth=2
	v_mov_b32_e32 v0, v5
	v_mov_b32_e32 v1, v5
	ds_store_b64 v44, v[0:1] offset:4224
	s_branch .LBB92_6
.LBB92_55:                              ;   in Loop: Header=BB92_4 Depth=1
	v_mul_lo_u32 v2, v22, s36
	v_mul_lo_u32 v3, v21, s37
	v_mad_u64_u32 v[0:1], null, v21, s36, 0
	v_cmp_gt_i32_e64 s3, s18, v21
	s_delay_alu instid0(VALU_DEP_2) | instskip(NEXT) | instid1(VALU_DEP_1)
	v_add3_u32 v1, v1, v3, v2
	v_lshlrev_b64 v[0:1], 3, v[0:1]
	s_delay_alu instid0(VALU_DEP_1) | instskip(NEXT) | instid1(VALU_DEP_1)
	v_add_co_u32 v0, s4, s27, v0
	v_add_co_ci_u32_e64 v1, s4, s38, v1, s4
	s_and_b32 s4, s1, s3
	s_delay_alu instid0(SALU_CYCLE_1)
	s_and_saveexec_b32 s5, s4
	s_cbranch_execz .LBB92_57
; %bb.56:                               ;   in Loop: Header=BB92_4 Depth=1
	v_add_co_u32 v2, s4, v0, v15
	s_delay_alu instid0(VALU_DEP_1) | instskip(SKIP_2) | instid1(VALU_DEP_1)
	v_add_co_ci_u32_e64 v3, s4, v1, v16, s4
	global_load_b64 v[22:23], v[2:3], off
	v_mul_f32_e32 v25, s34, v55
	v_dual_mul_f32 v24, s35, v55 :: v_dual_fmac_f32 v25, s35, v54
	s_delay_alu instid0(VALU_DEP_1) | instskip(SKIP_1) | instid1(VALU_DEP_1)
	v_fma_f32 v24, v54, s34, -v24
	s_waitcnt vmcnt(0)
	v_dual_add_f32 v22, v22, v24 :: v_dual_add_f32 v23, v23, v25
	global_store_b64 v[2:3], v[22:23], off
.LBB92_57:                              ;   in Loop: Header=BB92_4 Depth=1
	s_or_b32 exec_lo, exec_lo, s5
	s_and_b32 s3, s2, s3
	s_delay_alu instid0(SALU_CYCLE_1)
	s_and_saveexec_b32 s4, s3
	s_cbranch_execz .LBB92_59
; %bb.58:                               ;   in Loop: Header=BB92_4 Depth=1
	v_lshlrev_b64 v[2:3], 3, v[8:9]
	s_delay_alu instid0(VALU_DEP_1) | instskip(NEXT) | instid1(VALU_DEP_1)
	v_add_co_u32 v0, s3, v0, v2
	v_add_co_ci_u32_e64 v1, s3, v1, v3, s3
	global_load_b64 v[2:3], v[0:1], off
	v_mul_f32_e32 v23, s34, v53
	s_delay_alu instid0(VALU_DEP_1) | instskip(NEXT) | instid1(VALU_DEP_1)
	v_dual_mul_f32 v22, s35, v53 :: v_dual_fmac_f32 v23, s35, v52
	v_fma_f32 v22, v52, s34, -v22
	s_waitcnt vmcnt(0)
	s_delay_alu instid0(VALU_DEP_1)
	v_dual_add_f32 v2, v2, v22 :: v_dual_add_f32 v3, v3, v23
	global_store_b64 v[0:1], v[2:3], off
.LBB92_59:                              ;   in Loop: Header=BB92_4 Depth=1
	s_or_b32 exec_lo, exec_lo, s4
	v_add_nc_u32_e32 v2, 16, v21
	s_delay_alu instid0(VALU_DEP_1) | instskip(SKIP_3) | instid1(VALU_DEP_4)
	v_ashrrev_i32_e32 v3, 31, v2
	v_mul_lo_u32 v21, v2, s37
	v_mad_u64_u32 v[0:1], null, v2, s36, 0
	v_cmp_gt_i32_e64 s3, s18, v2
	v_mul_lo_u32 v3, v3, s36
	s_delay_alu instid0(VALU_DEP_1) | instskip(NEXT) | instid1(VALU_DEP_1)
	v_add3_u32 v1, v1, v21, v3
	v_lshlrev_b64 v[0:1], 3, v[0:1]
	s_delay_alu instid0(VALU_DEP_1) | instskip(NEXT) | instid1(VALU_DEP_1)
	v_add_co_u32 v0, s4, s27, v0
	v_add_co_ci_u32_e64 v1, s4, s38, v1, s4
	s_and_b32 s4, s1, s3
	s_delay_alu instid0(SALU_CYCLE_1)
	s_and_saveexec_b32 s5, s4
	s_cbranch_execz .LBB92_61
; %bb.60:                               ;   in Loop: Header=BB92_4 Depth=1
	v_add_co_u32 v2, s4, v0, v15
	s_delay_alu instid0(VALU_DEP_1)
	v_add_co_ci_u32_e64 v3, s4, v1, v16, s4
	v_mul_f32_e32 v24, s34, v51
	v_mul_f32_e32 v23, s35, v51
	global_load_b64 v[21:22], v[2:3], off
	v_fmac_f32_e32 v24, s35, v50
	v_fma_f32 v23, v50, s34, -v23
	s_waitcnt vmcnt(0)
	s_delay_alu instid0(VALU_DEP_1)
	v_dual_add_f32 v21, v21, v23 :: v_dual_add_f32 v22, v22, v24
	global_store_b64 v[2:3], v[21:22], off
.LBB92_61:                              ;   in Loop: Header=BB92_4 Depth=1
	s_or_b32 exec_lo, exec_lo, s5
	s_and_b32 s3, s2, s3
	s_delay_alu instid0(SALU_CYCLE_1)
	s_and_saveexec_b32 s4, s3
	s_cbranch_execz .LBB92_3
; %bb.62:                               ;   in Loop: Header=BB92_4 Depth=1
	v_lshlrev_b64 v[2:3], 3, v[8:9]
	v_mul_f32_e32 v21, s35, v13
	v_mul_f32_e32 v13, s34, v13
	s_delay_alu instid0(VALU_DEP_2) | instskip(NEXT) | instid1(VALU_DEP_4)
	v_fma_f32 v21, v49, s34, -v21
	v_add_co_u32 v0, s3, v0, v2
	s_delay_alu instid0(VALU_DEP_1) | instskip(NEXT) | instid1(VALU_DEP_4)
	v_add_co_ci_u32_e64 v1, s3, v1, v3, s3
	v_fmac_f32_e32 v13, s35, v49
	global_load_b64 v[2:3], v[0:1], off
	s_waitcnt vmcnt(0)
	v_add_f32_e32 v2, v2, v21
	v_add_f32_e32 v3, v3, v13
	global_store_b64 v[0:1], v[2:3], off
	s_branch .LBB92_3
.LBB92_63:
	s_nop 0
	s_sendmsg sendmsg(MSG_DEALLOC_VGPRS)
	s_endpgm
	.section	.rodata,"a",@progbits
	.p2align	6, 0x0
	.amdhsa_kernel _ZL30rocblas_trmm_outofplace_kernelI19rocblas_complex_numIfELi32ELi2ELb0ELb0ELb1ELb1EPKS1_S2_S1_Ev17rocblas_diagonal_iiT6_lPT7_lllS7_lllPT8_llli
		.amdhsa_group_segment_fixed_size 16384
		.amdhsa_private_segment_fixed_size 0
		.amdhsa_kernarg_size 392
		.amdhsa_user_sgpr_count 13
		.amdhsa_user_sgpr_dispatch_ptr 0
		.amdhsa_user_sgpr_queue_ptr 0
		.amdhsa_user_sgpr_kernarg_segment_ptr 1
		.amdhsa_user_sgpr_dispatch_id 0
		.amdhsa_user_sgpr_private_segment_size 0
		.amdhsa_wavefront_size32 1
		.amdhsa_uses_dynamic_stack 0
		.amdhsa_enable_private_segment 0
		.amdhsa_system_sgpr_workgroup_id_x 1
		.amdhsa_system_sgpr_workgroup_id_y 1
		.amdhsa_system_sgpr_workgroup_id_z 1
		.amdhsa_system_sgpr_workgroup_info 0
		.amdhsa_system_vgpr_workitem_id 1
		.amdhsa_next_free_vgpr 90
		.amdhsa_next_free_sgpr 44
		.amdhsa_reserve_vcc 1
		.amdhsa_float_round_mode_32 0
		.amdhsa_float_round_mode_16_64 0
		.amdhsa_float_denorm_mode_32 3
		.amdhsa_float_denorm_mode_16_64 3
		.amdhsa_dx10_clamp 1
		.amdhsa_ieee_mode 1
		.amdhsa_fp16_overflow 0
		.amdhsa_workgroup_processor_mode 1
		.amdhsa_memory_ordered 1
		.amdhsa_forward_progress 0
		.amdhsa_shared_vgpr_count 0
		.amdhsa_exception_fp_ieee_invalid_op 0
		.amdhsa_exception_fp_denorm_src 0
		.amdhsa_exception_fp_ieee_div_zero 0
		.amdhsa_exception_fp_ieee_overflow 0
		.amdhsa_exception_fp_ieee_underflow 0
		.amdhsa_exception_fp_ieee_inexact 0
		.amdhsa_exception_int_div_zero 0
	.end_amdhsa_kernel
	.section	.text._ZL30rocblas_trmm_outofplace_kernelI19rocblas_complex_numIfELi32ELi2ELb0ELb0ELb1ELb1EPKS1_S2_S1_Ev17rocblas_diagonal_iiT6_lPT7_lllS7_lllPT8_llli,"axG",@progbits,_ZL30rocblas_trmm_outofplace_kernelI19rocblas_complex_numIfELi32ELi2ELb0ELb0ELb1ELb1EPKS1_S2_S1_Ev17rocblas_diagonal_iiT6_lPT7_lllS7_lllPT8_llli,comdat
.Lfunc_end92:
	.size	_ZL30rocblas_trmm_outofplace_kernelI19rocblas_complex_numIfELi32ELi2ELb0ELb0ELb1ELb1EPKS1_S2_S1_Ev17rocblas_diagonal_iiT6_lPT7_lllS7_lllPT8_llli, .Lfunc_end92-_ZL30rocblas_trmm_outofplace_kernelI19rocblas_complex_numIfELi32ELi2ELb0ELb0ELb1ELb1EPKS1_S2_S1_Ev17rocblas_diagonal_iiT6_lPT7_lllS7_lllPT8_llli
                                        ; -- End function
	.section	.AMDGPU.csdata,"",@progbits
; Kernel info:
; codeLenInByte = 7404
; NumSgprs: 46
; NumVgprs: 90
; ScratchSize: 0
; MemoryBound: 0
; FloatMode: 240
; IeeeMode: 1
; LDSByteSize: 16384 bytes/workgroup (compile time only)
; SGPRBlocks: 5
; VGPRBlocks: 11
; NumSGPRsForWavesPerEU: 46
; NumVGPRsForWavesPerEU: 90
; Occupancy: 16
; WaveLimiterHint : 0
; COMPUTE_PGM_RSRC2:SCRATCH_EN: 0
; COMPUTE_PGM_RSRC2:USER_SGPR: 13
; COMPUTE_PGM_RSRC2:TRAP_HANDLER: 0
; COMPUTE_PGM_RSRC2:TGID_X_EN: 1
; COMPUTE_PGM_RSRC2:TGID_Y_EN: 1
; COMPUTE_PGM_RSRC2:TGID_Z_EN: 1
; COMPUTE_PGM_RSRC2:TIDIG_COMP_CNT: 1
	.section	.text._ZL30rocblas_trmm_outofplace_kernelI19rocblas_complex_numIfELi32ELi2ELb0ELb0ELb1ELb1ES1_KS1_S1_Ev17rocblas_diagonal_iiT6_lPT7_lllS6_lllPT8_llli,"axG",@progbits,_ZL30rocblas_trmm_outofplace_kernelI19rocblas_complex_numIfELi32ELi2ELb0ELb0ELb1ELb1ES1_KS1_S1_Ev17rocblas_diagonal_iiT6_lPT7_lllS6_lllPT8_llli,comdat
	.globl	_ZL30rocblas_trmm_outofplace_kernelI19rocblas_complex_numIfELi32ELi2ELb0ELb0ELb1ELb1ES1_KS1_S1_Ev17rocblas_diagonal_iiT6_lPT7_lllS6_lllPT8_llli ; -- Begin function _ZL30rocblas_trmm_outofplace_kernelI19rocblas_complex_numIfELi32ELi2ELb0ELb0ELb1ELb1ES1_KS1_S1_Ev17rocblas_diagonal_iiT6_lPT7_lllS6_lllPT8_llli
	.p2align	8
	.type	_ZL30rocblas_trmm_outofplace_kernelI19rocblas_complex_numIfELi32ELi2ELb0ELb0ELb1ELb1ES1_KS1_S1_Ev17rocblas_diagonal_iiT6_lPT7_lllS6_lllPT8_llli,@function
_ZL30rocblas_trmm_outofplace_kernelI19rocblas_complex_numIfELi32ELi2ELb0ELb0ELb1ELb1ES1_KS1_S1_Ev17rocblas_diagonal_iiT6_lPT7_lllS6_lllPT8_llli: ; @_ZL30rocblas_trmm_outofplace_kernelI19rocblas_complex_numIfELi32ELi2ELb0ELb0ELb1ELb1ES1_KS1_S1_Ev17rocblas_diagonal_iiT6_lPT7_lllS6_lllPT8_llli
; %bb.0:
	s_clause 0x1
	s_load_b128 s[8:11], s[0:1], 0x0
	s_load_b32 s33, s[0:1], 0x10
	s_waitcnt lgkmcnt(0)
	s_or_b32 s2, s11, s33
	s_delay_alu instid0(SALU_CYCLE_1) | instskip(NEXT) | instid1(SALU_CYCLE_1)
	s_bitset0_b32 s2, 31
	s_cmp_eq_u32 s2, 0
	s_cbranch_scc1 .LBB93_63
; %bb.1:
	s_add_i32 s2, s10, -1
	s_delay_alu instid0(SALU_CYCLE_1) | instskip(NEXT) | instid1(SALU_CYCLE_1)
	s_ashr_i32 s3, s2, 31
	s_lshr_b32 s3, s3, 27
	s_delay_alu instid0(SALU_CYCLE_1) | instskip(NEXT) | instid1(SALU_CYCLE_1)
	s_add_i32 s2, s2, s3
	s_ashr_i32 s44, s2, 5
	s_delay_alu instid0(SALU_CYCLE_1)
	s_cmp_gt_i32 s14, s44
	s_cbranch_scc1 .LBB93_63
; %bb.2:
	s_clause 0x1
	s_load_b512 s[16:31], s[0:1], 0x20
	s_load_b256 s[36:43], s[0:1], 0x60
	v_and_b32_e32 v39, 0x3ff, v0
	s_load_b32 s45, s[0:1], 0x8c
	v_mov_b32_e32 v5, 0
	v_bfe_u32 v40, v0, 10, 10
	s_delay_alu instid0(VALU_DEP_3) | instskip(SKIP_1) | instid1(VALU_DEP_3)
	v_lshlrev_b32_e32 v4, 3, v39
	v_lshl_add_u32 v0, s13, 5, v39
	v_lshlrev_b32_e32 v41, 8, v40
	v_lshl_add_u32 v18, v40, 3, 0x80
	s_delay_alu instid0(VALU_DEP_4) | instskip(NEXT) | instid1(VALU_DEP_4)
	v_add_nc_u32_e32 v15, 0x80, v4
	v_ashrrev_i32_e32 v1, 31, v0
	v_sub_co_u32 v12, vcc_lo, s9, v0
	v_or_b32_e32 v43, 0x2000, v4
	v_add_nc_u32_e32 v45, 0x2080, v4
	s_waitcnt lgkmcnt(0)
	s_mul_i32 s1, s15, s23
	s_mul_hi_u32 s2, s15, s22
	s_mul_i32 s0, s15, s22
	s_add_i32 s1, s2, s1
	v_mad_u64_u32 v[2:3], null, v39, s20, 0
	s_lshl_b64 s[0:1], s[0:1], 3
	s_mul_i32 s3, s15, s43
	s_add_u32 s7, s16, s0
	s_addc_u32 s12, s17, s1
	s_lshl_b64 s[4:5], s[18:19], 3
	s_mul_hi_u32 s6, s15, s42
	s_add_u32 s7, s7, s4
	s_mul_i32 s2, s15, s42
	s_addc_u32 s12, s12, s5
	s_add_i32 s3, s6, s3
	v_mad_u64_u32 v[6:7], null, v39, s21, v[3:4]
	s_lshl_b64 s[2:3], s[2:3], 3
	v_add_nc_u32_e32 v42, v41, v4
	s_add_u32 s6, s36, s2
	s_addc_u32 s13, s37, s3
	s_lshl_b64 s[2:3], s[38:39], 3
	s_delay_alu instid0(VALU_DEP_2)
	v_mov_b32_e32 v3, v6
	s_add_u32 s36, s6, s2
	s_addc_u32 s37, s13, s3
	s_cmpk_eq_i32 s8, 0x84
	s_cselect_b32 s38, -1, 0
	s_ashr_i32 s13, s10, 31
	s_ashr_i32 s2, s9, 31
	s_lshl_b64 s[18:19], s[20:21], 8
	s_lshl_b64 s[22:23], s[28:29], 8
	s_add_u32 s34, s10, -16
	s_addc_u32 s35, s13, -1
	s_lshl_b32 s39, s45, 5
	v_sub_co_ci_u32_e32 v13, vcc_lo, s2, v1, vcc_lo
	s_add_u32 s2, s16, s4
	s_addc_u32 s3, s17, s5
	v_lshlrev_b64 v[2:3], 3, v[2:3]
	s_add_u32 s0, s2, s0
	s_addc_u32 s1, s3, s1
	s_mul_hi_u32 s4, s30, s15
	v_mad_u64_u32 v[10:11], null, s20, v15, s[0:1]
	s_delay_alu instid0(VALU_DEP_2) | instskip(SKIP_2) | instid1(VALU_DEP_4)
	v_add_co_u32 v6, vcc_lo, s7, v2
	v_add_co_ci_u32_e32 v7, vcc_lo, s12, v3, vcc_lo
	v_mad_u64_u32 v[3:4], null, s28, v40, 0
	v_mov_b32_e32 v2, v11
	v_cmp_gt_i64_e32 vcc_lo, 1, v[12:13]
	v_cmp_gt_i64_e64 s0, 17, v[12:13]
	v_sub_co_u32 v46, s3, 0, v39
	s_delay_alu instid0(VALU_DEP_1)
	v_sub_co_ci_u32_e64 v47, null, 0, 0, s3
	v_mad_u64_u32 v[13:14], null, s21, v15, v[2:3]
	v_mov_b32_e32 v2, v4
	v_mad_u64_u32 v[14:15], null, s28, v18, 0
	s_mul_i32 s3, s31, s15
	s_lshl_b64 s[6:7], s[26:27], 3
	s_delay_alu instid0(VALU_DEP_2) | instskip(SKIP_2) | instid1(VALU_DEP_2)
	v_mad_u64_u32 v[16:17], null, s29, v40, v[2:3]
	s_add_i32 s5, s4, s3
	s_mul_i32 s4, s30, s15
	v_mov_b32_e32 v2, v15
	s_lshl_b64 s[4:5], s[4:5], 3
	v_dual_mov_b32 v11, v13 :: v_dual_add_nc_u32 v8, 16, v0
	s_delay_alu instid0(VALU_DEP_3)
	v_mov_b32_e32 v4, v16
	v_lshlrev_b64 v[15:16], 3, v[0:1]
	s_add_u32 s3, s4, s6
	s_addc_u32 s4, s5, s7
	s_add_u32 s3, s24, s3
	v_cmp_gt_i32_e64 s1, s9, v0
	v_mad_u64_u32 v[0:1], null, s29, v18, v[2:3]
	s_addc_u32 s4, s25, s4
	v_add_co_u32 v1, s3, s3, v15
	s_delay_alu instid0(VALU_DEP_1) | instskip(SKIP_1) | instid1(VALU_DEP_3)
	v_add_co_ci_u32_e64 v2, s3, s4, v16, s3
	v_lshlrev_b64 v[17:18], 3, v[3:4]
	v_add_co_u32 v19, s3, 0x80, v1
	v_add_nc_u32_e32 v44, v43, v41
	v_cmp_gt_i32_e64 s2, s9, v8
	v_ashrrev_i32_e32 v9, 31, v8
	v_lshl_add_u32 v12, s14, 5, v40
	v_add_co_ci_u32_e64 v20, s3, 0, v2, s3
	v_mov_b32_e32 v48, v0
	v_mov_b32_e32 v4, 1.0
	s_mov_b32 s12, s10
	s_branch .LBB93_4
.LBB93_3:                               ;   in Loop: Header=BB93_4 Depth=1
	s_or_b32 exec_lo, exec_lo, s4
	v_add_nc_u32_e32 v12, s39, v12
	s_add_i32 s14, s45, s14
	s_delay_alu instid0(SALU_CYCLE_1)
	s_cmp_le_i32 s14, s44
	s_cbranch_scc0 .LBB93_63
.LBB93_4:                               ; =>This Loop Header: Depth=1
                                        ;     Child Loop BB93_7 Depth 2
	s_lshl_b32 s15, s14, 5
	s_delay_alu instid0(SALU_CYCLE_1)
	v_dual_mov_b32 v54, v5 :: v_dual_add_nc_u32 v21, s15, v40
	v_mov_b32_e32 v55, v5
	v_mov_b32_e32 v52, v5
	;; [unrolled: 1-line block ×4, first 2 shown]
	v_ashrrev_i32_e32 v22, 31, v21
	v_mov_b32_e32 v51, v5
	v_mov_b32_e32 v49, v5
	;; [unrolled: 1-line block ×3, first 2 shown]
	s_cmp_lt_i32 s14, 0
	s_cbranch_scc1 .LBB93_55
; %bb.5:                                ;   in Loop: Header=BB93_4 Depth=1
	v_ashrrev_i32_e32 v13, 31, v12
	v_add_co_u32 v23, s3, v21, 16
	s_delay_alu instid0(VALU_DEP_1) | instskip(SKIP_1) | instid1(VALU_DEP_1)
	v_add_co_ci_u32_e64 v24, s3, 0, v22, s3
	v_add_co_u32 v25, s3, v46, v12
	v_add_co_ci_u32_e64 v26, s3, v47, v13, s3
	v_lshlrev_b64 v[27:28], 3, v[12:13]
	s_delay_alu instid0(VALU_DEP_3) | instskip(NEXT) | instid1(VALU_DEP_1)
	v_add_co_u32 v29, s5, v25, 16
	v_add_co_ci_u32_e64 v30, s5, 0, v26, s5
	v_add_co_u32 v31, s5, v25, -16
	v_cmp_le_i64_e64 s4, s[12:13], v[23:24]
	v_dual_mov_b32 v13, 0 :: v_dual_mov_b32 v34, v20
	v_cmp_le_i32_e64 s3, s10, v21
	v_add_co_ci_u32_e64 v32, s5, -1, v26, s5
	v_dual_mov_b32 v33, v19 :: v_dual_mov_b32 v50, 0
	v_dual_mov_b32 v36, v7 :: v_dual_mov_b32 v35, v6
	;; [unrolled: 1-line block ×5, first 2 shown]
	v_mov_b32_e32 v53, 0
	v_mov_b32_e32 v55, 0
	s_mov_b64 s[16:17], 0
	s_branch .LBB93_7
.LBB93_6:                               ;   in Loop: Header=BB93_7 Depth=2
	s_or_b32 exec_lo, exec_lo, s5
	s_waitcnt lgkmcnt(0)
	s_waitcnt_vscnt null, 0x0
	s_barrier
	buffer_gl0_inv
	ds_load_2addr_b64 v[56:59], v43 offset1:32
	ds_load_b128 v[60:63], v41
	ds_load_2addr_b64 v[64:67], v45 offset1:32
	ds_load_b128 v[68:71], v41 offset:4096
	ds_load_b128 v[72:75], v41 offset:16
	;; [unrolled: 1-line block ×5, first 2 shown]
	v_add_co_u32 v37, s5, v37, s18
	s_delay_alu instid0(VALU_DEP_1) | instskip(SKIP_1) | instid1(VALU_DEP_1)
	v_add_co_ci_u32_e64 v38, s5, s19, v38, s5
	v_add_co_u32 v35, s5, v35, s18
	v_add_co_ci_u32_e64 v36, s5, s19, v36, s5
	v_add_co_u32 v33, s5, v33, s22
	s_add_u32 s16, s16, 32
	v_add_co_ci_u32_e64 v34, s5, s23, v34, s5
	s_waitcnt lgkmcnt(6)
	v_mul_f32_e32 v84, v61, v57
	s_waitcnt lgkmcnt(5)
	v_mul_f32_e32 v86, v61, v65
	v_mul_f32_e32 v87, v60, v65
	s_waitcnt lgkmcnt(4)
	v_mul_f32_e32 v89, v69, v65
	v_mul_f32_e32 v65, v68, v65
	;; [unrolled: 1-line block ×3, first 2 shown]
	s_addc_u32 s17, s17, 0
	s_sub_i32 s6, s16, 32
	s_delay_alu instid0(VALU_DEP_2) | instskip(SKIP_1) | instid1(VALU_DEP_1)
	v_fmac_f32_e32 v65, v69, v64
	s_cmp_ge_i32 s6, s15
	v_add_f32_e32 v13, v13, v65
	v_mul_f32_e32 v65, v63, v67
	v_fma_f32 v84, v60, v56, -v84
	s_delay_alu instid0(VALU_DEP_1) | instskip(NEXT) | instid1(VALU_DEP_1)
	v_dual_mul_f32 v85, v60, v57 :: v_dual_add_f32 v54, v54, v84
	v_fmac_f32_e32 v85, v61, v56
	v_fmac_f32_e32 v87, v61, v64
	v_mul_f32_e32 v57, v68, v57
	v_fma_f32 v61, v68, v56, -v88
	s_delay_alu instid0(VALU_DEP_3) | instskip(SKIP_3) | instid1(VALU_DEP_2)
	v_add_f32_e32 v84, v53, v87
	v_mul_f32_e32 v87, v71, v59
	v_fma_f32 v60, v60, v64, -v86
	v_dual_fmac_f32 v57, v69, v56 :: v_dual_mul_f32 v86, v62, v67
	v_add_f32_e32 v60, v52, v60
	v_fma_f32 v56, v68, v64, -v89
	v_mul_f32_e32 v64, v62, v59
	s_delay_alu instid0(VALU_DEP_2) | instskip(NEXT) | instid1(VALU_DEP_2)
	v_dual_fmac_f32 v86, v63, v66 :: v_dual_add_f32 v69, v49, v56
	v_fmac_f32_e32 v64, v63, v58
	v_add_f32_e32 v68, v55, v85
	v_dual_add_f32 v61, v50, v61 :: v_dual_mul_f32 v50, v63, v59
	v_fma_f32 v63, v70, v58, -v87
	s_delay_alu instid0(VALU_DEP_3) | instskip(NEXT) | instid1(VALU_DEP_3)
	v_dual_mul_f32 v59, v70, v59 :: v_dual_add_f32 v64, v68, v64
	v_fma_f32 v53, v62, v58, -v50
	v_fma_f32 v62, v62, v66, -v65
	v_add_f32_e32 v57, v51, v57
	ds_load_2addr_b64 v[49:52], v43 offset0:64 offset1:96
	v_fmac_f32_e32 v59, v71, v58
	v_dual_add_f32 v85, v54, v53 :: v_dual_add_f32 v58, v61, v63
	ds_load_2addr_b64 v[53:56], v45 offset0:64 offset1:96
	v_add_f32_e32 v60, v60, v62
	v_mul_f32_e32 v62, v71, v67
	s_delay_alu instid0(VALU_DEP_1) | instskip(NEXT) | instid1(VALU_DEP_1)
	v_fma_f32 v62, v70, v66, -v62
	v_dual_mul_f32 v61, v70, v67 :: v_dual_add_f32 v62, v69, v62
	s_delay_alu instid0(VALU_DEP_1) | instskip(SKIP_4) | instid1(VALU_DEP_1)
	v_fmac_f32_e32 v61, v71, v66
	s_waitcnt lgkmcnt(1)
	v_mul_f32_e32 v68, v83, v52
	s_waitcnt lgkmcnt(0)
	v_dual_mul_f32 v66, v73, v54 :: v_dual_mul_f32 v71, v74, v56
	v_fma_f32 v66, v72, v53, -v66
	v_add_f32_e32 v57, v57, v59
	v_mul_f32_e32 v59, v72, v50
	s_delay_alu instid0(VALU_DEP_3) | instskip(SKIP_1) | instid1(VALU_DEP_3)
	v_add_f32_e32 v66, v60, v66
	v_mul_f32_e32 v60, v81, v54
	v_fmac_f32_e32 v59, v73, v49
	s_delay_alu instid0(VALU_DEP_1) | instskip(SKIP_1) | instid1(VALU_DEP_1)
	v_add_f32_e32 v67, v64, v59
	v_mul_f32_e32 v59, v81, v50
	v_fma_f32 v59, v80, v49, -v59
	v_mul_f32_e32 v63, v73, v50
	v_dual_mul_f32 v50, v80, v50 :: v_dual_add_f32 v13, v13, v61
	v_mul_f32_e32 v61, v72, v54
	s_delay_alu instid0(VALU_DEP_4) | instskip(NEXT) | instid1(VALU_DEP_3)
	v_dual_add_f32 v65, v84, v86 :: v_dual_add_f32 v70, v58, v59
	v_fmac_f32_e32 v50, v81, v49
	v_fma_f32 v63, v72, v49, -v63
	s_delay_alu instid0(VALU_DEP_4)
	v_fmac_f32_e32 v61, v73, v53
	v_fma_f32 v73, v82, v51, -v68
	v_mul_f32_e32 v49, v80, v54
	v_fma_f32 v54, v80, v53, -v60
	v_mul_f32_e32 v58, v75, v52
	v_add_f32_e32 v50, v57, v50
	s_delay_alu instid0(VALU_DEP_4) | instskip(NEXT) | instid1(VALU_DEP_4)
	v_fmac_f32_e32 v49, v81, v53
	v_add_f32_e32 v53, v62, v54
	v_mul_f32_e32 v54, v74, v52
	v_mul_f32_e32 v52, v82, v52
	;; [unrolled: 1-line block ×3, first 2 shown]
	s_delay_alu instid0(VALU_DEP_3) | instskip(SKIP_1) | instid1(VALU_DEP_4)
	v_fmac_f32_e32 v54, v75, v51
	v_add_f32_e32 v63, v85, v63
	v_fmac_f32_e32 v52, v83, v51
	s_delay_alu instid0(VALU_DEP_3) | instskip(SKIP_3) | instid1(VALU_DEP_1)
	v_dual_add_f32 v54, v67, v54 :: v_dual_add_f32 v69, v65, v61
	v_fma_f32 v61, v74, v51, -v58
	ds_load_2addr_b64 v[57:60], v43 offset0:128 offset1:160
	v_fma_f32 v65, v74, v55, -v62
	v_dual_fmac_f32 v71, v75, v55 :: v_dual_add_f32 v72, v66, v65
	ds_load_b128 v[65:68], v41 offset:4128
	v_add_f32_e32 v13, v13, v49
	v_add_f32_e32 v49, v63, v61
	ds_load_2addr_b64 v[61:64], v45 offset0:128 offset1:160
	v_add_f32_e32 v69, v69, v71
	v_mul_f32_e32 v71, v83, v56
	v_mul_f32_e32 v51, v82, v56
	v_add_f32_e32 v56, v70, v73
	s_waitcnt lgkmcnt(2)
	v_dual_add_f32 v73, v50, v52 :: v_dual_mul_f32 v70, v77, v58
	s_delay_alu instid0(VALU_DEP_1) | instskip(SKIP_3) | instid1(VALU_DEP_3)
	v_fma_f32 v50, v76, v57, -v70
	s_waitcnt lgkmcnt(0)
	v_mul_f32_e32 v52, v77, v62
	v_fma_f32 v71, v82, v55, -v71
	v_dual_add_f32 v70, v49, v50 :: v_dual_fmac_f32 v51, v83, v55
	v_mul_f32_e32 v55, v76, v58
	s_delay_alu instid0(VALU_DEP_4) | instskip(NEXT) | instid1(VALU_DEP_3)
	v_fma_f32 v74, v76, v61, -v52
	v_add_f32_e32 v13, v13, v51
	s_delay_alu instid0(VALU_DEP_3)
	v_fmac_f32_e32 v55, v77, v57
	ds_load_b128 v[49:52], v41 offset:4144
	v_add_f32_e32 v53, v53, v71
	v_mul_f32_e32 v71, v76, v62
	v_mul_f32_e32 v75, v66, v58
	v_add_f32_e32 v76, v54, v55
	v_mul_f32_e32 v54, v65, v58
	v_add_f32_e32 v58, v72, v74
	v_mul_f32_e32 v72, v66, v62
	v_fma_f32 v55, v65, v57, -v75
	v_fmac_f32_e32 v71, v77, v61
	v_dual_fmac_f32 v54, v66, v57 :: v_dual_mul_f32 v57, v65, v62
	v_mul_f32_e32 v77, v68, v60
	s_delay_alu instid0(VALU_DEP_4) | instskip(SKIP_1) | instid1(VALU_DEP_4)
	v_add_f32_e32 v62, v56, v55
	v_fma_f32 v55, v65, v61, -v72
	v_dual_mul_f32 v56, v79, v60 :: v_dual_fmac_f32 v57, v66, v61
	v_mul_f32_e32 v61, v78, v60
	v_mul_f32_e32 v60, v67, v60
	s_delay_alu instid0(VALU_DEP_4) | instskip(NEXT) | instid1(VALU_DEP_2)
	v_add_f32_e32 v66, v53, v55
	v_fmac_f32_e32 v60, v68, v59
	s_delay_alu instid0(VALU_DEP_4) | instskip(SKIP_2) | instid1(VALU_DEP_3)
	v_fmac_f32_e32 v61, v79, v59
	v_add_f32_e32 v74, v69, v71
	v_fma_f32 v69, v78, v59, -v56
	v_add_f32_e32 v61, v76, v61
	v_fma_f32 v76, v67, v59, -v77
	s_delay_alu instid0(VALU_DEP_1)
	v_add_f32_e32 v59, v62, v76
	v_add_f32_e32 v65, v73, v54
	ds_load_2addr_b64 v[53:56], v43 offset0:192 offset1:224
	v_add_f32_e32 v73, v70, v69
	ds_load_2addr_b64 v[69:72], v45 offset0:192 offset1:224
	v_dual_mul_f32 v62, v67, v64 :: v_dual_add_f32 v13, v13, v57
	v_mul_f32_e32 v57, v79, v64
	v_mul_f32_e32 v75, v78, v64
	v_add_f32_e32 v60, v65, v60
	s_delay_alu instid0(VALU_DEP_4) | instskip(NEXT) | instid1(VALU_DEP_4)
	v_fmac_f32_e32 v62, v68, v63
	v_fma_f32 v57, v78, v63, -v57
	s_delay_alu instid0(VALU_DEP_4) | instskip(NEXT) | instid1(VALU_DEP_2)
	v_dual_fmac_f32 v75, v79, v63 :: v_dual_add_nc_u32 v78, 0x800, v45
	v_dual_add_f32 v57, v58, v57 :: v_dual_mul_f32 v58, v68, v64
	s_waitcnt lgkmcnt(1)
	v_mul_f32_e32 v64, v1, v54
	s_delay_alu instid0(VALU_DEP_2)
	v_fma_f32 v58, v67, v63, -v58
	v_mul_f32_e32 v65, v0, v54
	s_waitcnt lgkmcnt(0)
	v_mul_f32_e32 v76, v52, v72
	v_fma_f32 v63, v0, v53, -v64
	v_mul_f32_e32 v64, v1, v70
	v_dual_add_f32 v58, v66, v58 :: v_dual_fmac_f32 v65, v1, v53
	v_add_f32_e32 v13, v13, v62
	v_mul_f32_e32 v62, v0, v70
	s_delay_alu instid0(VALU_DEP_4) | instskip(NEXT) | instid1(VALU_DEP_2)
	v_fma_f32 v0, v0, v69, -v64
	v_fmac_f32_e32 v62, v1, v69
	s_delay_alu instid0(VALU_DEP_2)
	v_add_f32_e32 v0, v57, v0
	v_add_f32_e32 v66, v73, v63
	;; [unrolled: 1-line block ×3, first 2 shown]
	v_mul_f32_e32 v61, v50, v54
	v_mul_f32_e32 v1, v49, v54
	v_dual_mul_f32 v54, v50, v70 :: v_dual_mul_f32 v65, v3, v72
	s_delay_alu instid0(VALU_DEP_3) | instskip(SKIP_2) | instid1(VALU_DEP_4)
	v_fma_f32 v57, v49, v53, -v61
	v_dual_mul_f32 v61, v49, v70 :: v_dual_mul_f32 v70, v2, v72
	v_mul_f32_e32 v72, v51, v72
	v_fma_f32 v49, v49, v69, -v54
	s_delay_alu instid0(VALU_DEP_4) | instskip(NEXT) | instid1(VALU_DEP_4)
	v_add_f32_e32 v54, v59, v57
	v_dual_fmac_f32 v61, v50, v69 :: v_dual_fmac_f32 v70, v3, v71
	s_delay_alu instid0(VALU_DEP_4) | instskip(NEXT) | instid1(VALU_DEP_4)
	v_dual_fmac_f32 v72, v52, v71 :: v_dual_fmac_f32 v1, v50, v53
	v_add_f32_e32 v49, v58, v49
	s_delay_alu instid0(VALU_DEP_2) | instskip(SKIP_1) | instid1(VALU_DEP_2)
	v_dual_add_f32 v50, v60, v1 :: v_dual_mul_f32 v1, v3, v56
	v_add_f32_e32 v74, v74, v75
	v_fma_f32 v1, v2, v55, -v1
	s_delay_alu instid0(VALU_DEP_2) | instskip(NEXT) | instid1(VALU_DEP_2)
	v_add_f32_e32 v53, v74, v62
	v_dual_add_f32 v74, v66, v1 :: v_dual_add_nc_u32 v77, 0x800, v43
	v_add_f32_e32 v13, v13, v61
	ds_load_2addr_b64 v[57:60], v77 offset1:32
	ds_load_b128 v[61:64], v41 offset:64
	v_fma_f32 v1, v2, v71, -v65
	ds_load_2addr_b64 v[65:68], v78 offset1:32
	v_mul_f32_e32 v69, v2, v56
	v_add_f32_e32 v13, v13, v72
	v_mul_f32_e32 v2, v52, v56
	s_waitcnt lgkmcnt(1)
	v_dual_add_f32 v75, v0, v1 :: v_dual_mul_f32 v80, v62, v58
	s_waitcnt lgkmcnt(0)
	v_mul_f32_e32 v72, v61, v66
	s_delay_alu instid0(VALU_DEP_1) | instskip(NEXT) | instid1(VALU_DEP_1)
	v_dual_fmac_f32 v72, v62, v65 :: v_dual_fmac_f32 v69, v3, v55
	v_add_f32_e32 v69, v73, v69
	v_mul_f32_e32 v73, v51, v56
	v_fma_f32 v56, v51, v55, -v2
	ds_load_b128 v[0:3], v41 offset:4160
	v_fma_f32 v51, v51, v71, -v76
	v_fmac_f32_e32 v73, v52, v55
	s_delay_alu instid0(VALU_DEP_2)
	v_dual_add_f32 v79, v54, v56 :: v_dual_add_f32 v76, v49, v51
	v_add_f32_e32 v70, v53, v70
	ds_load_b128 v[53:56], v41 offset:80
	v_add_f32_e32 v73, v50, v73
	v_mul_f32_e32 v71, v61, v58
	v_fma_f32 v50, v61, v57, -v80
	v_mul_f32_e32 v49, v62, v66
	s_delay_alu instid0(VALU_DEP_3) | instskip(NEXT) | instid1(VALU_DEP_3)
	v_fmac_f32_e32 v71, v62, v57
	v_add_f32_e32 v74, v74, v50
	s_waitcnt lgkmcnt(1)
	v_mul_f32_e32 v80, v1, v58
	v_mul_f32_e32 v58, v0, v58
	s_delay_alu instid0(VALU_DEP_2) | instskip(NEXT) | instid1(VALU_DEP_2)
	v_fma_f32 v62, v0, v57, -v80
	v_dual_fmac_f32 v58, v1, v57 :: v_dual_mul_f32 v57, v0, v66
	v_add_f32_e32 v80, v70, v72
	s_delay_alu instid0(VALU_DEP_3) | instskip(SKIP_1) | instid1(VALU_DEP_4)
	v_dual_add_f32 v62, v79, v62 :: v_dual_add_f32 v81, v69, v71
	v_dual_mul_f32 v69, v1, v66 :: v_dual_mul_f32 v66, v64, v60
	v_dual_mul_f32 v79, v3, v60 :: v_dual_add_f32 v58, v73, v58
	s_delay_alu instid0(VALU_DEP_2) | instskip(SKIP_4) | instid1(VALU_DEP_1)
	v_fma_f32 v0, v0, v65, -v69
	ds_load_2addr_b64 v[69:72], v77 offset0:64 offset1:96
	v_dual_add_f32 v0, v76, v0 :: v_dual_fmac_f32 v57, v1, v65
	v_mul_f32_e32 v1, v63, v60
	v_mul_f32_e32 v60, v2, v60
	v_fmac_f32_e32 v60, v3, v59
	v_fma_f32 v61, v61, v65, -v49
	v_fma_f32 v65, v63, v59, -v66
	ds_load_b128 v[49:52], v41 offset:4176
	v_mul_f32_e32 v66, v63, v68
	v_dual_add_f32 v58, v58, v60 :: v_dual_add_f32 v61, v75, v61
	v_add_f32_e32 v65, v74, v65
	ds_load_2addr_b64 v[73:76], v78 offset0:64 offset1:96
	v_add_f32_e32 v13, v13, v57
	s_waitcnt lgkmcnt(2)
	v_dual_mul_f32 v57, v64, v68 :: v_dual_mul_f32 v60, v53, v70
	v_fmac_f32_e32 v66, v64, v67
	s_delay_alu instid0(VALU_DEP_2) | instskip(SKIP_1) | instid1(VALU_DEP_4)
	v_fma_f32 v57, v63, v67, -v57
	v_fma_f32 v63, v2, v59, -v79
	v_fmac_f32_e32 v60, v54, v69
	s_delay_alu instid0(VALU_DEP_3)
	v_add_f32_e32 v57, v61, v57
	v_mul_f32_e32 v61, v3, v68
	v_fmac_f32_e32 v1, v64, v59
	v_add_f32_e32 v59, v62, v63
	v_mul_f32_e32 v62, v2, v68
	v_add_f32_e32 v64, v80, v66
	v_fma_f32 v2, v2, v67, -v61
	s_waitcnt lgkmcnt(0)
	v_dual_mul_f32 v61, v54, v70 :: v_dual_mul_f32 v68, v55, v76
	v_dual_fmac_f32 v62, v3, v67 :: v_dual_mul_f32 v3, v54, v74
	s_delay_alu instid0(VALU_DEP_3) | instskip(NEXT) | instid1(VALU_DEP_3)
	v_add_f32_e32 v0, v0, v2
	v_fma_f32 v2, v53, v69, -v61
	v_mul_f32_e32 v61, v53, v74
	s_delay_alu instid0(VALU_DEP_4) | instskip(SKIP_1) | instid1(VALU_DEP_4)
	v_add_f32_e32 v13, v13, v62
	v_mul_f32_e32 v67, v55, v72
	v_dual_mul_f32 v63, v56, v76 :: v_dual_add_f32 v62, v65, v2
	v_fma_f32 v2, v53, v73, -v3
	v_fmac_f32_e32 v61, v54, v73
	v_mul_f32_e32 v3, v49, v70
	v_fmac_f32_e32 v67, v56, v71
	v_fmac_f32_e32 v68, v56, v75
	v_add_f32_e32 v54, v57, v2
	v_dual_add_f32 v1, v81, v1 :: v_dual_mul_f32 v2, v50, v74
	v_add_f32_e32 v65, v64, v61
	v_mul_f32_e32 v61, v49, v74
	v_fmac_f32_e32 v3, v50, v69
	s_delay_alu instid0(VALU_DEP_4) | instskip(SKIP_3) | instid1(VALU_DEP_4)
	v_add_f32_e32 v53, v1, v60
	v_mul_f32_e32 v1, v50, v70
	v_fma_f32 v2, v49, v73, -v2
	v_dual_mul_f32 v70, v52, v72 :: v_dual_fmac_f32 v61, v50, v73
	v_add_f32_e32 v73, v53, v67
	s_delay_alu instid0(VALU_DEP_4)
	v_fma_f32 v1, v49, v69, -v1
	v_mul_f32_e32 v49, v56, v72
	v_mul_f32_e32 v72, v51, v72
	v_fma_f32 v67, v51, v71, -v70
	v_add_f32_e32 v50, v0, v2
	v_add_f32_e32 v66, v59, v1
	v_fma_f32 v49, v55, v71, -v49
	v_fmac_f32_e32 v72, v52, v71
	v_mul_f32_e32 v71, v52, v76
	v_mul_f32_e32 v76, v51, v76
	v_fma_f32 v55, v55, v75, -v63
	v_add_f32_e32 v79, v66, v67
	v_add_f32_e32 v69, v58, v3
	ds_load_2addr_b64 v[0:3], v77 offset0:128 offset1:160
	ds_load_b128 v[57:60], v41 offset:96
	v_dual_add_f32 v49, v62, v49 :: v_dual_fmac_f32 v76, v52, v75
	v_add_f32_e32 v13, v13, v61
	ds_load_2addr_b64 v[61:64], v78 offset0:128 offset1:160
	v_add_f32_e32 v74, v54, v55
	ds_load_b128 v[53:56], v41 offset:4192
	v_fma_f32 v51, v51, v75, -v71
	s_delay_alu instid0(VALU_DEP_1)
	v_dual_add_f32 v69, v69, v72 :: v_dual_add_f32 v72, v50, v51
	s_waitcnt lgkmcnt(2)
	v_mul_f32_e32 v80, v58, v1
	s_waitcnt lgkmcnt(1)
	v_mul_f32_e32 v50, v58, v62
	v_add_f32_e32 v70, v65, v68
	ds_load_b128 v[65:68], v41 offset:112
	v_mul_f32_e32 v71, v57, v1
	v_fma_f32 v52, v57, v0, -v80
	v_add_f32_e32 v13, v13, v76
	v_mul_f32_e32 v76, v57, v62
	s_waitcnt lgkmcnt(1)
	v_mul_f32_e32 v80, v54, v1
	v_fmac_f32_e32 v71, v58, v0
	v_mul_f32_e32 v1, v53, v1
	v_fma_f32 v57, v57, v61, -v50
	v_fmac_f32_e32 v76, v58, v61
	v_fma_f32 v58, v53, v0, -v80
	v_add_f32_e32 v81, v73, v71
	v_mul_f32_e32 v71, v54, v62
	v_dual_fmac_f32 v1, v54, v0 :: v_dual_mul_f32 v0, v53, v62
	v_mul_f32_e32 v62, v60, v3
	v_add_f32_e32 v80, v70, v76
	s_delay_alu instid0(VALU_DEP_4) | instskip(SKIP_3) | instid1(VALU_DEP_4)
	v_fma_f32 v53, v53, v61, -v71
	v_add_f32_e32 v58, v79, v58
	v_fmac_f32_e32 v0, v54, v61
	v_fma_f32 v61, v59, v2, -v62
	v_dual_mul_f32 v62, v59, v64 :: v_dual_add_f32 v53, v72, v53
	v_mul_f32_e32 v54, v59, v3
	s_delay_alu instid0(VALU_DEP_4) | instskip(NEXT) | instid1(VALU_DEP_3)
	v_add_f32_e32 v0, v13, v0
	v_dual_fmac_f32 v62, v60, v63 :: v_dual_add_f32 v1, v69, v1
	ds_load_2addr_b64 v[69:72], v77 offset0:192 offset1:224
	v_add_f32_e32 v75, v49, v52
	ds_load_b128 v[49:52], v41 offset:4208
	v_mul_f32_e32 v77, v56, v3
	v_dual_mul_f32 v3, v55, v3 :: v_dual_fmac_f32 v54, v60, v2
	v_add_f32_e32 v61, v75, v61
	v_add_f32_e32 v57, v74, v57
	ds_load_2addr_b64 v[73:76], v78 offset0:192 offset1:224
	v_mul_f32_e32 v13, v60, v64
	v_fmac_f32_e32 v3, v56, v2
	v_add_f32_e32 v60, v80, v62
	v_add_nc_u32_e32 v78, 0x1000, v45
	s_delay_alu instid0(VALU_DEP_4) | instskip(SKIP_2) | instid1(VALU_DEP_3)
	v_fma_f32 v13, v59, v63, -v13
	v_fma_f32 v59, v55, v2, -v77
	v_add_nc_u32_e32 v77, 0x1000, v43
	v_add_f32_e32 v13, v57, v13
	s_delay_alu instid0(VALU_DEP_3) | instskip(SKIP_1) | instid1(VALU_DEP_2)
	v_dual_mul_f32 v57, v56, v64 :: v_dual_add_f32 v2, v58, v59
	v_mul_f32_e32 v58, v55, v64
	v_fma_f32 v55, v55, v63, -v57
	s_waitcnt lgkmcnt(2)
	s_delay_alu instid0(VALU_DEP_2) | instskip(SKIP_3) | instid1(VALU_DEP_3)
	v_dual_mul_f32 v57, v66, v70 :: v_dual_fmac_f32 v58, v56, v63
	s_waitcnt lgkmcnt(0)
	v_mul_f32_e32 v64, v67, v76
	v_dual_mul_f32 v56, v66, v74 :: v_dual_add_f32 v53, v53, v55
	v_fma_f32 v55, v65, v69, -v57
	s_delay_alu instid0(VALU_DEP_3) | instskip(SKIP_2) | instid1(VALU_DEP_3)
	v_dual_mul_f32 v57, v65, v74 :: v_dual_fmac_f32 v64, v68, v75
	v_add_f32_e32 v1, v1, v3
	v_mul_f32_e32 v3, v65, v70
	v_dual_add_f32 v0, v0, v58 :: v_dual_fmac_f32 v57, v66, v73
	v_add_f32_e32 v58, v61, v55
	v_fma_f32 v55, v65, v73, -v56
	s_delay_alu instid0(VALU_DEP_4) | instskip(NEXT) | instid1(VALU_DEP_4)
	v_dual_fmac_f32 v3, v66, v69 :: v_dual_mul_f32 v56, v49, v74
	v_add_f32_e32 v62, v60, v57
	v_add_f32_e32 v54, v81, v54
	s_delay_alu instid0(VALU_DEP_4) | instskip(SKIP_2) | instid1(VALU_DEP_4)
	v_add_f32_e32 v13, v13, v55
	v_mul_f32_e32 v55, v50, v74
	v_dual_fmac_f32 v56, v50, v73 :: v_dual_mul_f32 v59, v68, v76
	v_dual_add_f32 v61, v54, v3 :: v_dual_mul_f32 v54, v49, v70
	v_mul_f32_e32 v3, v50, v70
	v_add_f32_e32 v74, v62, v64
	v_mul_f32_e32 v63, v67, v72
	v_fma_f32 v66, v67, v75, -v59
	v_fmac_f32_e32 v54, v50, v69
	v_fma_f32 v3, v49, v69, -v3
	v_fma_f32 v49, v49, v73, -v55
	v_fmac_f32_e32 v63, v68, v71
	v_add_f32_e32 v13, v13, v66
	v_dual_add_f32 v50, v1, v54 :: v_dual_mul_f32 v1, v68, v72
	s_delay_alu instid0(VALU_DEP_4) | instskip(SKIP_1) | instid1(VALU_DEP_3)
	v_add_f32_e32 v49, v53, v49
	v_add_f32_e32 v69, v0, v56
	v_fma_f32 v57, v67, v71, -v1
	v_mul_f32_e32 v67, v52, v72
	v_mul_f32_e32 v72, v51, v72
	s_delay_alu instid0(VALU_DEP_3) | instskip(NEXT) | instid1(VALU_DEP_3)
	v_add_f32_e32 v70, v58, v57
	v_fma_f32 v66, v51, v71, -v67
	s_delay_alu instid0(VALU_DEP_3) | instskip(SKIP_2) | instid1(VALU_DEP_2)
	v_fmac_f32_e32 v72, v52, v71
	v_mul_f32_e32 v71, v52, v76
	v_mul_f32_e32 v76, v51, v76
	v_fma_f32 v51, v51, v75, -v71
	s_delay_alu instid0(VALU_DEP_2) | instskip(NEXT) | instid1(VALU_DEP_2)
	v_dual_fmac_f32 v76, v52, v75 :: v_dual_add_f32 v71, v50, v72
	v_add_f32_e32 v75, v49, v51
	v_add_f32_e32 v65, v2, v3
	ds_load_2addr_b64 v[0:3], v77 offset1:32
	ds_load_b128 v[53:56], v41 offset:128
	ds_load_2addr_b64 v[57:60], v78 offset1:32
	v_add_f32_e32 v76, v69, v76
	v_add_f32_e32 v79, v65, v66
	ds_load_b128 v[65:68], v41 offset:144
	s_waitcnt lgkmcnt(2)
	v_mul_f32_e32 v72, v53, v1
	v_add_f32_e32 v73, v61, v63
	ds_load_b128 v[61:64], v41 offset:4224
	v_mul_f32_e32 v80, v54, v1
	s_waitcnt lgkmcnt(2)
	v_mul_f32_e32 v49, v54, v58
	v_dual_mul_f32 v69, v53, v58 :: v_dual_fmac_f32 v72, v54, v0
	s_delay_alu instid0(VALU_DEP_3) | instskip(NEXT) | instid1(VALU_DEP_3)
	v_fma_f32 v50, v53, v0, -v80
	v_fma_f32 v53, v53, v57, -v49
	s_delay_alu instid0(VALU_DEP_2) | instskip(SKIP_3) | instid1(VALU_DEP_2)
	v_add_f32_e32 v80, v70, v50
	ds_load_b128 v[49:52], v41 offset:4240
	v_fmac_f32_e32 v69, v54, v57
	v_add_f32_e32 v13, v13, v53
	v_add_f32_e32 v82, v74, v69
	s_waitcnt lgkmcnt(1)
	v_mul_f32_e32 v70, v62, v1
	v_dual_mul_f32 v1, v61, v1 :: v_dual_mul_f32 v54, v62, v58
	s_delay_alu instid0(VALU_DEP_2) | instskip(NEXT) | instid1(VALU_DEP_2)
	v_fma_f32 v53, v61, v0, -v70
	v_dual_fmac_f32 v1, v62, v0 :: v_dual_mul_f32 v0, v61, v58
	s_delay_alu instid0(VALU_DEP_3) | instskip(NEXT) | instid1(VALU_DEP_3)
	v_fma_f32 v54, v61, v57, -v54
	v_dual_mul_f32 v58, v56, v3 :: v_dual_add_f32 v53, v79, v53
	s_delay_alu instid0(VALU_DEP_3)
	v_dual_mul_f32 v79, v64, v3 :: v_dual_fmac_f32 v0, v62, v57
	v_mul_f32_e32 v57, v55, v3
	v_mul_f32_e32 v62, v55, v60
	;; [unrolled: 1-line block ×4, first 2 shown]
	v_fma_f32 v58, v55, v2, -v58
	v_fmac_f32_e32 v57, v56, v2
	v_fmac_f32_e32 v62, v56, v59
	v_fma_f32 v56, v63, v2, -v79
	v_fmac_f32_e32 v3, v64, v2
	v_add_f32_e32 v0, v76, v0
	v_fma_f32 v55, v55, v59, -v61
	s_delay_alu instid0(VALU_DEP_4) | instskip(SKIP_1) | instid1(VALU_DEP_3)
	v_dual_add_f32 v1, v71, v1 :: v_dual_add_f32 v2, v53, v56
	v_mul_f32_e32 v53, v63, v60
	v_dual_add_f32 v54, v75, v54 :: v_dual_add_f32 v13, v13, v55
	v_mul_f32_e32 v55, v64, v60
	s_delay_alu instid0(VALU_DEP_4) | instskip(NEXT) | instid1(VALU_DEP_4)
	v_add_f32_e32 v1, v1, v3
	v_fmac_f32_e32 v53, v64, v59
	v_add_f32_e32 v61, v82, v62
	v_add_f32_e32 v58, v80, v58
	v_fma_f32 v55, v63, v59, -v55
	s_delay_alu instid0(VALU_DEP_4)
	v_dual_add_f32 v60, v0, v53 :: v_dual_add_f32 v81, v73, v72
	ds_load_2addr_b64 v[69:72], v77 offset0:64 offset1:96
	ds_load_2addr_b64 v[73:76], v78 offset0:64 offset1:96
	v_add_f32_e32 v54, v54, v55
	s_waitcnt lgkmcnt(1)
	v_mul_f32_e32 v56, v66, v70
	s_waitcnt lgkmcnt(0)
	v_dual_mul_f32 v3, v65, v70 :: v_dual_mul_f32 v64, v67, v76
	v_mul_f32_e32 v59, v65, v74
	v_mul_f32_e32 v53, v49, v70
	v_fma_f32 v55, v65, v69, -v56
	v_mul_f32_e32 v56, v66, v74
	v_dual_fmac_f32 v3, v66, v69 :: v_dual_fmac_f32 v64, v68, v75
	v_add_f32_e32 v57, v81, v57
	v_fmac_f32_e32 v59, v66, v73
	s_delay_alu instid0(VALU_DEP_4) | instskip(SKIP_1) | instid1(VALU_DEP_4)
	v_fma_f32 v0, v65, v73, -v56
	v_dual_mul_f32 v63, v67, v72 :: v_dual_add_f32 v58, v58, v55
	v_dual_add_f32 v62, v57, v3 :: v_dual_mul_f32 v3, v50, v70
	s_delay_alu instid0(VALU_DEP_3) | instskip(SKIP_2) | instid1(VALU_DEP_4)
	v_dual_add_f32 v13, v13, v0 :: v_dual_mul_f32 v0, v50, v74
	v_add_f32_e32 v61, v61, v59
	v_mul_f32_e32 v57, v49, v74
	v_fma_f32 v3, v49, v69, -v3
	v_mul_f32_e32 v59, v68, v76
	v_fma_f32 v0, v49, v73, -v0
	v_mul_f32_e32 v49, v68, v72
	v_fmac_f32_e32 v53, v50, v69
	v_add_f32_e32 v65, v2, v3
	v_fma_f32 v66, v67, v75, -v59
	v_fmac_f32_e32 v57, v50, v73
	v_fma_f32 v49, v67, v71, -v49
	v_mul_f32_e32 v67, v52, v72
	v_fmac_f32_e32 v63, v68, v71
	v_add_f32_e32 v13, v13, v66
	v_dual_add_f32 v69, v1, v53 :: v_dual_add_f32 v50, v54, v0
	s_delay_alu instid0(VALU_DEP_4)
	v_fma_f32 v66, v51, v71, -v67
	ds_load_2addr_b64 v[0:3], v77 offset0:128 offset1:160
	ds_load_b128 v[53:56], v41 offset:160
	v_dual_add_f32 v70, v60, v57 :: v_dual_add_f32 v73, v62, v63
	v_add_f32_e32 v74, v61, v64
	ds_load_b128 v[61:64], v41 offset:4256
	v_add_f32_e32 v79, v65, v66
	ds_load_b128 v[65:68], v41 offset:176
	v_add_f32_e32 v49, v58, v49
	ds_load_2addr_b64 v[57:60], v78 offset0:128 offset1:160
	v_mul_f32_e32 v72, v51, v72
	s_delay_alu instid0(VALU_DEP_1) | instskip(SKIP_2) | instid1(VALU_DEP_3)
	v_fmac_f32_e32 v72, v52, v71
	v_mul_f32_e32 v71, v52, v76
	v_mul_f32_e32 v76, v51, v76
	v_add_f32_e32 v69, v69, v72
	s_delay_alu instid0(VALU_DEP_3) | instskip(NEXT) | instid1(VALU_DEP_3)
	v_fma_f32 v51, v51, v75, -v71
	v_fmac_f32_e32 v76, v52, v75
	s_waitcnt lgkmcnt(3)
	v_mul_f32_e32 v80, v54, v1
	s_delay_alu instid0(VALU_DEP_3) | instskip(NEXT) | instid1(VALU_DEP_3)
	v_dual_mul_f32 v71, v53, v1 :: v_dual_add_f32 v72, v50, v51
	v_add_f32_e32 v75, v70, v76
	s_delay_alu instid0(VALU_DEP_3)
	v_fma_f32 v52, v53, v0, -v80
	s_waitcnt lgkmcnt(0)
	v_mul_f32_e32 v50, v54, v58
	v_dual_mul_f32 v70, v53, v58 :: v_dual_fmac_f32 v71, v54, v0
	v_mul_f32_e32 v80, v62, v1
	v_mul_f32_e32 v1, v61, v1
	s_delay_alu instid0(VALU_DEP_4) | instskip(NEXT) | instid1(VALU_DEP_4)
	v_fma_f32 v53, v53, v57, -v50
	v_fmac_f32_e32 v70, v54, v57
	v_mul_f32_e32 v54, v62, v58
	v_add_f32_e32 v76, v49, v52
	v_fmac_f32_e32 v1, v62, v0
	v_add_f32_e32 v13, v13, v53
	v_fma_f32 v53, v61, v0, -v80
	v_mul_f32_e32 v0, v61, v58
	v_fma_f32 v54, v61, v57, -v54
	v_mul_f32_e32 v58, v56, v3
	v_dual_add_f32 v81, v73, v71 :: v_dual_add_f32 v80, v74, v70
	v_add_f32_e32 v1, v69, v1
	v_fmac_f32_e32 v0, v62, v57
	v_add_f32_e32 v54, v72, v54
	v_fma_f32 v58, v55, v2, -v58
	ds_load_2addr_b64 v[69:72], v77 offset0:192 offset1:224
	v_mul_f32_e32 v61, v56, v60
	v_add_f32_e32 v0, v75, v0
	ds_load_b128 v[49:52], v41 offset:4272
	v_add_f32_e32 v58, v76, v58
	ds_load_2addr_b64 v[73:76], v78 offset0:192 offset1:224
	v_mul_f32_e32 v57, v55, v3
	v_dual_mul_f32 v62, v55, v60 :: v_dual_mul_f32 v77, v64, v3
	v_fma_f32 v55, v55, v59, -v61
	v_add_f32_e32 v53, v79, v53
	s_delay_alu instid0(VALU_DEP_4) | instskip(NEXT) | instid1(VALU_DEP_4)
	v_fmac_f32_e32 v57, v56, v2
	v_fmac_f32_e32 v62, v56, v59
	v_mul_f32_e32 v3, v63, v3
	v_fma_f32 v56, v63, v2, -v77
	v_add_f32_e32 v13, v13, v55
	v_mul_f32_e32 v55, v64, v60
	v_add_f32_e32 v57, v81, v57
	s_delay_alu instid0(VALU_DEP_4)
	v_dual_fmac_f32 v3, v64, v2 :: v_dual_add_f32 v2, v53, v56
	s_waitcnt lgkmcnt(2)
	v_mul_f32_e32 v56, v66, v70
	v_fma_f32 v55, v63, v59, -v55
	v_mul_f32_e32 v53, v63, v60
	v_add_f32_e32 v1, v1, v3
	v_mul_f32_e32 v3, v65, v70
	s_delay_alu instid0(VALU_DEP_4)
	v_dual_add_f32 v61, v80, v62 :: v_dual_add_f32 v54, v54, v55
	v_fma_f32 v55, v65, v69, -v56
	s_waitcnt lgkmcnt(0)
	v_dual_mul_f32 v56, v66, v74 :: v_dual_fmac_f32 v53, v64, v59
	v_fmac_f32_e32 v3, v66, v69
	v_add_nc_u32_e32 v77, 0x1800, v43
	v_add_f32_e32 v58, v58, v55
	s_delay_alu instid0(VALU_DEP_4) | instskip(SKIP_3) | instid1(VALU_DEP_4)
	v_fma_f32 v55, v65, v73, -v56
	v_mul_f32_e32 v56, v49, v70
	v_dual_add_f32 v0, v0, v53 :: v_dual_mul_f32 v53, v65, v74
	v_dual_add_f32 v62, v57, v3 :: v_dual_mul_f32 v3, v50, v70
	v_add_f32_e32 v13, v13, v55
	v_mul_f32_e32 v55, v50, v74
	v_dual_mul_f32 v57, v49, v74 :: v_dual_fmac_f32 v56, v50, v69
	v_fmac_f32_e32 v53, v66, v73
	v_fma_f32 v3, v49, v69, -v3
	s_delay_alu instid0(VALU_DEP_4) | instskip(NEXT) | instid1(VALU_DEP_4)
	v_fma_f32 v49, v49, v73, -v55
	v_dual_fmac_f32 v57, v50, v73 :: v_dual_add_f32 v50, v1, v56
	v_mul_f32_e32 v1, v68, v72
	v_add_f32_e32 v61, v61, v53
	v_add_f32_e32 v65, v2, v3
	;; [unrolled: 1-line block ×4, first 2 shown]
	v_mul_f32_e32 v63, v67, v72
	v_fma_f32 v57, v67, v71, -v1
	v_mul_f32_e32 v59, v68, v76
	ds_load_2addr_b64 v[0:3], v77 offset1:32
	ds_load_b128 v[53:56], v41 offset:192
	v_add_nc_u32_e32 v78, 0x1800, v45
	v_dual_mul_f32 v64, v67, v76 :: v_dual_fmac_f32 v63, v68, v71
	v_add_f32_e32 v70, v58, v57
	v_fma_f32 v66, v67, v75, -v59
	ds_load_2addr_b64 v[57:60], v78 offset1:32
	v_fmac_f32_e32 v64, v68, v75
	v_mul_f32_e32 v67, v52, v72
	v_dual_add_f32 v73, v62, v63 :: v_dual_mul_f32 v72, v51, v72
	v_add_f32_e32 v13, v13, v66
	s_delay_alu instid0(VALU_DEP_4) | instskip(SKIP_4) | instid1(VALU_DEP_3)
	v_add_f32_e32 v74, v61, v64
	ds_load_b128 v[61:64], v41 offset:4288
	v_fma_f32 v66, v51, v71, -v67
	v_fmac_f32_e32 v72, v52, v71
	v_mul_f32_e32 v71, v52, v76
	v_dual_mul_f32 v76, v51, v76 :: v_dual_add_f32 v79, v65, v66
	s_waitcnt lgkmcnt(2)
	v_mul_f32_e32 v80, v54, v1
	s_delay_alu instid0(VALU_DEP_3) | instskip(NEXT) | instid1(VALU_DEP_3)
	v_fma_f32 v51, v51, v75, -v71
	v_dual_add_f32 v71, v50, v72 :: v_dual_fmac_f32 v76, v52, v75
	ds_load_b128 v[65:68], v41 offset:208
	v_fma_f32 v50, v53, v0, -v80
	v_add_f32_e32 v75, v49, v51
	s_waitcnt lgkmcnt(2)
	v_dual_mul_f32 v49, v54, v58 :: v_dual_mul_f32 v72, v53, v1
	v_add_f32_e32 v76, v69, v76
	v_add_f32_e32 v80, v70, v50
	v_mul_f32_e32 v69, v53, v58
	s_delay_alu instid0(VALU_DEP_4)
	v_fma_f32 v53, v53, v57, -v49
	s_waitcnt lgkmcnt(1)
	v_mul_f32_e32 v70, v62, v1
	v_dual_mul_f32 v1, v61, v1 :: v_dual_fmac_f32 v72, v54, v0
	v_fmac_f32_e32 v69, v54, v57
	v_add_f32_e32 v13, v13, v53
	s_delay_alu instid0(VALU_DEP_4) | instskip(SKIP_3) | instid1(VALU_DEP_3)
	v_fma_f32 v53, v61, v0, -v70
	v_mul_f32_e32 v54, v62, v58
	v_dual_fmac_f32 v1, v62, v0 :: v_dual_mul_f32 v0, v61, v58
	v_dual_add_f32 v81, v73, v72 :: v_dual_add_f32 v82, v74, v69
	v_fma_f32 v54, v61, v57, -v54
	s_delay_alu instid0(VALU_DEP_3) | instskip(NEXT) | instid1(VALU_DEP_4)
	v_add_f32_e32 v1, v71, v1
	v_fmac_f32_e32 v0, v62, v57
	ds_load_2addr_b64 v[69:72], v77 offset0:64 offset1:96
	v_mul_f32_e32 v58, v56, v3
	v_dual_add_f32 v54, v75, v54 :: v_dual_mul_f32 v61, v56, v60
	v_add_f32_e32 v0, v76, v0
	ds_load_2addr_b64 v[73:76], v78 offset0:64 offset1:96
	v_add_f32_e32 v53, v79, v53
	v_mul_f32_e32 v57, v55, v3
	v_fma_f32 v58, v55, v2, -v58
	v_dual_mul_f32 v62, v55, v60 :: v_dual_mul_f32 v79, v64, v3
	v_fma_f32 v55, v55, v59, -v61
	ds_load_b128 v[49:52], v41 offset:4304
	v_fmac_f32_e32 v57, v56, v2
	v_fmac_f32_e32 v62, v56, v59
	v_mul_f32_e32 v3, v63, v3
	v_fma_f32 v56, v63, v2, -v79
	v_add_f32_e32 v13, v13, v55
	v_mul_f32_e32 v55, v64, v60
	v_add_f32_e32 v57, v81, v57
	s_delay_alu instid0(VALU_DEP_4) | instskip(SKIP_1) | instid1(VALU_DEP_4)
	v_dual_fmac_f32 v3, v64, v2 :: v_dual_add_f32 v2, v53, v56
	v_mul_f32_e32 v53, v63, v60
	v_fma_f32 v55, v63, v59, -v55
	s_waitcnt lgkmcnt(2)
	s_delay_alu instid0(VALU_DEP_3) | instskip(SKIP_3) | instid1(VALU_DEP_4)
	v_dual_mul_f32 v56, v66, v70 :: v_dual_add_f32 v1, v1, v3
	v_mul_f32_e32 v3, v65, v70
	v_fmac_f32_e32 v53, v64, v59
	v_add_f32_e32 v54, v54, v55
	v_fma_f32 v55, v65, v69, -v56
	s_waitcnt lgkmcnt(1)
	v_mul_f32_e32 v56, v66, v74
	v_fmac_f32_e32 v3, v66, v69
	v_dual_add_f32 v60, v0, v53 :: v_dual_add_f32 v61, v82, v62
	v_mul_f32_e32 v59, v65, v74
	s_delay_alu instid0(VALU_DEP_4) | instskip(SKIP_3) | instid1(VALU_DEP_3)
	v_fma_f32 v0, v65, v73, -v56
	s_waitcnt lgkmcnt(0)
	v_dual_add_f32 v62, v57, v3 :: v_dual_mul_f32 v3, v50, v70
	v_mul_f32_e32 v53, v49, v70
	v_dual_add_f32 v58, v80, v58 :: v_dual_add_f32 v13, v13, v0
	v_mul_f32_e32 v0, v50, v74
	v_fmac_f32_e32 v59, v66, v73
	v_fma_f32 v3, v49, v69, -v3
	v_fmac_f32_e32 v53, v50, v69
	v_mul_f32_e32 v57, v49, v74
	v_fma_f32 v0, v49, v73, -v0
	v_dual_mul_f32 v49, v68, v72 :: v_dual_add_f32 v58, v58, v55
	v_add_f32_e32 v61, v61, v59
	v_add_f32_e32 v65, v2, v3
	;; [unrolled: 1-line block ×3, first 2 shown]
	v_fmac_f32_e32 v57, v50, v73
	v_add_f32_e32 v50, v54, v0
	v_fma_f32 v49, v67, v71, -v49
	v_mul_f32_e32 v59, v68, v76
	ds_load_2addr_b64 v[0:3], v77 offset0:128 offset1:160
	ds_load_b128 v[53:56], v41 offset:224
	v_mul_f32_e32 v63, v67, v72
	v_mul_f32_e32 v64, v67, v76
	v_add_f32_e32 v70, v60, v57
	v_add_f32_e32 v49, v58, v49
	v_fma_f32 v66, v67, v75, -v59
	ds_load_2addr_b64 v[57:60], v78 offset0:128 offset1:160
	v_fmac_f32_e32 v63, v68, v71
	v_fmac_f32_e32 v64, v68, v75
	v_mul_f32_e32 v67, v52, v72
	v_dual_mul_f32 v72, v51, v72 :: v_dual_add_f32 v13, v13, v66
	s_delay_alu instid0(VALU_DEP_3) | instskip(NEXT) | instid1(VALU_DEP_3)
	v_dual_add_f32 v73, v62, v63 :: v_dual_add_f32 v74, v61, v64
	v_fma_f32 v66, v51, v71, -v67
	s_delay_alu instid0(VALU_DEP_3)
	v_fmac_f32_e32 v72, v52, v71
	ds_load_b128 v[61:64], v41 offset:4320
	v_mul_f32_e32 v71, v52, v76
	v_dual_mul_f32 v76, v51, v76 :: v_dual_add_f32 v79, v65, v66
	ds_load_b128 v[65:68], v41 offset:240
	s_waitcnt lgkmcnt(3)
	v_mul_f32_e32 v80, v54, v1
	v_fma_f32 v51, v51, v75, -v71
	v_dual_fmac_f32 v76, v52, v75 :: v_dual_mul_f32 v71, v53, v1
	v_add_f32_e32 v81, v69, v72
	s_delay_alu instid0(VALU_DEP_4) | instskip(NEXT) | instid1(VALU_DEP_4)
	v_fma_f32 v52, v53, v0, -v80
	v_add_f32_e32 v50, v50, v51
	s_waitcnt lgkmcnt(2)
	v_mul_f32_e32 v51, v54, v58
	v_add_f32_e32 v75, v70, v76
	v_fmac_f32_e32 v71, v54, v0
	v_add_f32_e32 v76, v49, v52
	v_mul_f32_e32 v49, v53, v58
	v_fma_f32 v51, v53, v57, -v51
	s_delay_alu instid0(VALU_DEP_4)
	v_add_f32_e32 v80, v73, v71
	s_waitcnt lgkmcnt(1)
	v_mul_f32_e32 v52, v62, v1
	v_fmac_f32_e32 v49, v54, v57
	v_mul_f32_e32 v1, v61, v1
	v_add_f32_e32 v13, v13, v51
	v_mul_f32_e32 v51, v62, v58
	v_fma_f32 v52, v61, v0, -v52
	v_add_f32_e32 v53, v74, v49
	v_dual_fmac_f32 v1, v62, v0 :: v_dual_mul_f32 v0, v61, v58
	s_delay_alu instid0(VALU_DEP_4) | instskip(NEXT) | instid1(VALU_DEP_4)
	v_fma_f32 v49, v61, v57, -v51
	v_dual_mul_f32 v51, v56, v3 :: v_dual_add_f32 v54, v79, v52
	ds_load_b128 v[69:72], v41 offset:4336
	v_fmac_f32_e32 v0, v62, v57
	v_add_f32_e32 v57, v50, v49
	v_fma_f32 v61, v55, v2, -v51
	ds_load_2addr_b64 v[49:52], v77 offset0:192 offset1:224
	v_mul_f32_e32 v62, v56, v60
	v_add_f32_e32 v0, v75, v0
	v_dual_mul_f32 v58, v55, v3 :: v_dual_add_f32 v61, v76, v61
	ds_load_2addr_b64 v[73:76], v78 offset0:192 offset1:224
	v_mul_f32_e32 v77, v55, v60
	v_fma_f32 v55, v55, v59, -v62
	v_mul_f32_e32 v62, v64, v3
	v_mul_f32_e32 v3, v63, v3
	v_dual_add_f32 v1, v81, v1 :: v_dual_fmac_f32 v58, v56, v2
	v_fmac_f32_e32 v77, v56, v59
	v_add_f32_e32 v13, v13, v55
	v_fma_f32 v55, v63, v2, -v62
	v_mul_f32_e32 v56, v64, v60
	v_dual_fmac_f32 v3, v64, v2 :: v_dual_mul_f32 v60, v63, v60
	v_add_f32_e32 v58, v80, v58
	s_delay_alu instid0(VALU_DEP_4) | instskip(NEXT) | instid1(VALU_DEP_4)
	v_add_f32_e32 v2, v54, v55
	v_fma_f32 v54, v63, v59, -v56
	s_delay_alu instid0(VALU_DEP_4)
	v_add_f32_e32 v1, v1, v3
	s_waitcnt lgkmcnt(1)
	v_dual_mul_f32 v3, v65, v50 :: v_dual_fmac_f32 v60, v64, v59
	v_mul_f32_e32 v59, v70, v50
	v_add_f32_e32 v54, v57, v54
	s_waitcnt lgkmcnt(0)
	v_mul_f32_e32 v56, v66, v74
	v_fmac_f32_e32 v3, v66, v49
	v_mul_f32_e32 v57, v65, v74
	v_add_f32_e32 v53, v53, v77
	v_mul_f32_e32 v55, v66, v50
	v_fma_f32 v56, v65, v73, -v56
	v_add_f32_e32 v3, v58, v3
	v_dual_fmac_f32 v57, v66, v73 :: v_dual_mul_f32 v50, v69, v50
	v_fma_f32 v58, v69, v49, -v59
	v_fma_f32 v55, v65, v49, -v55
	v_dual_add_f32 v13, v13, v56 :: v_dual_mul_f32 v56, v70, v74
	s_delay_alu instid0(VALU_DEP_4)
	v_add_f32_e32 v53, v53, v57
	v_fmac_f32_e32 v50, v70, v49
	v_add_f32_e32 v2, v2, v58
	v_mul_f32_e32 v49, v69, v74
	v_mul_f32_e32 v57, v68, v52
	;; [unrolled: 1-line block ×3, first 2 shown]
	v_dual_add_f32 v0, v0, v60 :: v_dual_add_f32 v55, v61, v55
	v_fma_f32 v56, v69, v73, -v56
	v_add_f32_e32 v1, v1, v50
	v_fmac_f32_e32 v49, v70, v73
	v_fma_f32 v50, v67, v51, -v57
	v_fmac_f32_e32 v58, v68, v51
	v_mul_f32_e32 v57, v68, v76
	v_add_f32_e32 v56, v54, v56
	v_dual_mul_f32 v59, v67, v76 :: v_dual_add_f32 v0, v0, v49
	v_add_f32_e32 v54, v55, v50
	v_add_f32_e32 v55, v3, v58
	v_fma_f32 v3, v67, v75, -v57
	v_mul_f32_e32 v49, v72, v52
	v_mul_f32_e32 v57, v71, v52
	;; [unrolled: 1-line block ×3, first 2 shown]
	v_dual_mul_f32 v58, v71, v76 :: v_dual_fmac_f32 v59, v68, v75
	v_add_f32_e32 v52, v13, v3
	v_fma_f32 v3, v71, v51, -v49
	v_fmac_f32_e32 v57, v72, v51
	v_fma_f32 v13, v71, v75, -v50
	v_fmac_f32_e32 v58, v72, v75
	v_add_f32_e32 v53, v53, v59
	s_delay_alu instid0(VALU_DEP_4) | instskip(NEXT) | instid1(VALU_DEP_4)
	v_dual_add_f32 v50, v2, v3 :: v_dual_add_f32 v51, v1, v57
	v_add_f32_e32 v49, v56, v13
	s_delay_alu instid0(VALU_DEP_4)
	v_add_f32_e32 v13, v0, v58
	s_barrier
	buffer_gl0_inv
	s_cbranch_scc1 .LBB93_55
.LBB93_7:                               ;   Parent Loop BB93_4 Depth=1
                                        ; =>  This Inner Loop Header: Depth=2
	v_add_co_u32 v0, s5, v39, s16
	s_delay_alu instid0(VALU_DEP_1) | instskip(SKIP_1) | instid1(VALU_DEP_2)
	v_add_co_ci_u32_e64 v1, null, 0, s17, s5
	v_cmp_eq_u64_e64 s6, s[16:17], v[25:26]
	v_cmp_gt_i64_e64 s5, v[0:1], v[21:22]
	s_delay_alu instid0(VALU_DEP_2) | instskip(SKIP_1) | instid1(VALU_DEP_2)
	s_and_b32 s21, s38, s6
	v_cmp_le_i64_e64 s6, s[12:13], v[0:1]
	s_or_b32 s7, s3, s5
	s_delay_alu instid0(SALU_CYCLE_1) | instskip(SKIP_1) | instid1(VALU_DEP_1)
	s_or_b32 s8, s7, s21
	v_add_co_u32 v2, s7, v35, v27
	v_add_co_ci_u32_e64 v3, s7, v36, v28, s7
	s_delay_alu instid0(VALU_DEP_3) | instskip(NEXT) | instid1(SALU_CYCLE_1)
	s_or_b32 s7, s6, s8
	s_xor_b32 s7, s7, -1
	s_delay_alu instid0(SALU_CYCLE_1) | instskip(NEXT) | instid1(SALU_CYCLE_1)
	s_and_saveexec_b32 s8, s7
	s_xor_b32 s7, exec_lo, s8
	s_cbranch_execz .LBB93_9
; %bb.8:                                ;   in Loop: Header=BB93_7 Depth=2
	global_load_b64 v[56:57], v[2:3], off
	s_waitcnt vmcnt(0)
	v_xor_b32_e32 v57, 0x80000000, v57
	ds_store_b64 v42, v[56:57]
.LBB93_9:                               ;   in Loop: Header=BB93_7 Depth=2
	s_or_saveexec_b32 s7, s7
	s_xor_b32 s20, s21, -1
	s_xor_b32 exec_lo, exec_lo, s7
	s_cbranch_execz .LBB93_15
; %bb.10:                               ;   in Loop: Header=BB93_7 Depth=2
	s_and_saveexec_b32 s8, s20
	s_delay_alu instid0(SALU_CYCLE_1)
	s_xor_b32 s8, exec_lo, s8
	s_cbranch_execz .LBB93_12
; %bb.11:                               ;   in Loop: Header=BB93_7 Depth=2
	v_mov_b32_e32 v56, v5
	v_mov_b32_e32 v57, v5
	ds_store_b64 v42, v[56:57]
.LBB93_12:                              ;   in Loop: Header=BB93_7 Depth=2
	s_and_not1_saveexec_b32 s8, s8
	s_cbranch_execz .LBB93_14
; %bb.13:                               ;   in Loop: Header=BB93_7 Depth=2
	ds_store_b64 v42, v[4:5]
.LBB93_14:                              ;   in Loop: Header=BB93_7 Depth=2
	s_or_b32 exec_lo, exec_lo, s8
.LBB93_15:                              ;   in Loop: Header=BB93_7 Depth=2
	s_delay_alu instid0(SALU_CYCLE_1) | instskip(SKIP_1) | instid1(VALU_DEP_1)
	s_or_b32 exec_lo, exec_lo, s7
	v_add_co_u32 v56, s7, v0, 16
	v_add_co_ci_u32_e64 v57, s7, 0, v1, s7
	v_cmp_eq_u64_e64 s8, s[16:17], v[31:32]
	s_delay_alu instid0(VALU_DEP_2) | instskip(SKIP_1) | instid1(VALU_DEP_3)
	v_cmp_gt_i64_e64 s9, v[56:57], v[21:22]
	v_cmp_le_i64_e64 s7, s[12:13], v[56:57]
	s_and_b32 s24, s38, s8
	s_delay_alu instid0(VALU_DEP_2) | instskip(NEXT) | instid1(SALU_CYCLE_1)
	s_or_b32 s8, s3, s9
	s_or_b32 s8, s8, s24
	s_delay_alu instid0(VALU_DEP_1) | instid1(SALU_CYCLE_1)
	s_or_b32 s8, s7, s8
	s_delay_alu instid0(SALU_CYCLE_1) | instskip(NEXT) | instid1(SALU_CYCLE_1)
	s_xor_b32 s8, s8, -1
	s_and_saveexec_b32 s9, s8
	s_delay_alu instid0(SALU_CYCLE_1)
	s_xor_b32 s9, exec_lo, s9
	s_cbranch_execz .LBB93_17
; %bb.16:                               ;   in Loop: Header=BB93_7 Depth=2
	v_add_co_u32 v56, s8, v37, v27
	s_delay_alu instid0(VALU_DEP_1)
	v_add_co_ci_u32_e64 v57, s8, v38, v28, s8
	global_load_b64 v[56:57], v[56:57], off
	s_waitcnt vmcnt(0)
	v_xor_b32_e32 v57, 0x80000000, v57
	ds_store_b64 v42, v[56:57] offset:128
.LBB93_17:                              ;   in Loop: Header=BB93_7 Depth=2
	s_and_not1_saveexec_b32 s8, s9
	s_cbranch_execz .LBB93_23
; %bb.18:                               ;   in Loop: Header=BB93_7 Depth=2
	s_xor_b32 s9, s24, -1
	s_delay_alu instid0(SALU_CYCLE_1) | instskip(NEXT) | instid1(SALU_CYCLE_1)
	s_and_saveexec_b32 s24, s9
	s_xor_b32 s9, exec_lo, s24
	s_cbranch_execz .LBB93_20
; %bb.19:                               ;   in Loop: Header=BB93_7 Depth=2
	v_mov_b32_e32 v56, v5
	v_mov_b32_e32 v57, v5
	ds_store_b64 v42, v[56:57] offset:128
.LBB93_20:                              ;   in Loop: Header=BB93_7 Depth=2
	s_and_not1_saveexec_b32 s9, s9
	s_cbranch_execz .LBB93_22
; %bb.21:                               ;   in Loop: Header=BB93_7 Depth=2
	ds_store_b64 v42, v[4:5] offset:128
.LBB93_22:                              ;   in Loop: Header=BB93_7 Depth=2
	s_or_b32 exec_lo, exec_lo, s9
.LBB93_23:                              ;   in Loop: Header=BB93_7 Depth=2
	s_delay_alu instid0(SALU_CYCLE_1) | instskip(SKIP_2) | instid1(VALU_DEP_2)
	s_or_b32 exec_lo, exec_lo, s8
	v_cmp_eq_u64_e64 s8, s[16:17], v[29:30]
	v_cmp_gt_i64_e64 s9, v[0:1], v[23:24]
	s_and_b32 s8, s38, s8
	s_delay_alu instid0(VALU_DEP_1) | instskip(NEXT) | instid1(SALU_CYCLE_1)
	s_or_b32 s9, s4, s9
	s_or_b32 s9, s9, s8
	s_delay_alu instid0(SALU_CYCLE_1) | instskip(NEXT) | instid1(SALU_CYCLE_1)
	s_or_b32 s6, s6, s9
	s_xor_b32 s6, s6, -1
	s_delay_alu instid0(SALU_CYCLE_1) | instskip(NEXT) | instid1(SALU_CYCLE_1)
	s_and_saveexec_b32 s9, s6
	s_xor_b32 s6, exec_lo, s9
	s_cbranch_execz .LBB93_25
; %bb.24:                               ;   in Loop: Header=BB93_7 Depth=2
	global_load_b64 v[0:1], v[2:3], off offset:128
	s_waitcnt vmcnt(0)
	v_xor_b32_e32 v1, 0x80000000, v1
	ds_store_b64 v42, v[0:1] offset:4096
.LBB93_25:                              ;   in Loop: Header=BB93_7 Depth=2
	s_and_not1_saveexec_b32 s6, s6
	s_cbranch_execz .LBB93_31
; %bb.26:                               ;   in Loop: Header=BB93_7 Depth=2
	s_xor_b32 s8, s8, -1
	s_delay_alu instid0(SALU_CYCLE_1) | instskip(NEXT) | instid1(SALU_CYCLE_1)
	s_and_saveexec_b32 s9, s8
	s_xor_b32 s8, exec_lo, s9
	s_cbranch_execz .LBB93_28
; %bb.27:                               ;   in Loop: Header=BB93_7 Depth=2
	v_mov_b32_e32 v0, v5
	v_mov_b32_e32 v1, v5
	ds_store_b64 v42, v[0:1] offset:4096
.LBB93_28:                              ;   in Loop: Header=BB93_7 Depth=2
	s_and_not1_saveexec_b32 s8, s8
	s_cbranch_execz .LBB93_30
; %bb.29:                               ;   in Loop: Header=BB93_7 Depth=2
	ds_store_b64 v42, v[4:5] offset:4096
.LBB93_30:                              ;   in Loop: Header=BB93_7 Depth=2
	s_or_b32 exec_lo, exec_lo, s8
.LBB93_31:                              ;   in Loop: Header=BB93_7 Depth=2
	s_delay_alu instid0(SALU_CYCLE_1) | instskip(SKIP_1) | instid1(SALU_CYCLE_1)
	s_or_b32 exec_lo, exec_lo, s6
	s_or_b32 s5, s4, s5
	s_or_b32 s5, s5, s21
	s_delay_alu instid0(SALU_CYCLE_1) | instskip(NEXT) | instid1(SALU_CYCLE_1)
	s_or_b32 s5, s7, s5
	s_xor_b32 s5, s5, -1
	s_delay_alu instid0(SALU_CYCLE_1) | instskip(NEXT) | instid1(SALU_CYCLE_1)
	s_and_saveexec_b32 s6, s5
	s_xor_b32 s6, exec_lo, s6
	s_cbranch_execz .LBB93_33
; %bb.32:                               ;   in Loop: Header=BB93_7 Depth=2
	v_add_co_u32 v0, s5, v37, v27
	s_delay_alu instid0(VALU_DEP_1)
	v_add_co_ci_u32_e64 v1, s5, v38, v28, s5
	global_load_b64 v[0:1], v[0:1], off offset:128
	s_waitcnt vmcnt(0)
	v_xor_b32_e32 v1, 0x80000000, v1
	ds_store_b64 v42, v[0:1] offset:4224
.LBB93_33:                              ;   in Loop: Header=BB93_7 Depth=2
	s_and_not1_saveexec_b32 s5, s6
	s_cbranch_execz .LBB93_39
; %bb.34:                               ;   in Loop: Header=BB93_7 Depth=2
	s_and_saveexec_b32 s6, s20
	s_delay_alu instid0(SALU_CYCLE_1)
	s_xor_b32 s6, exec_lo, s6
	s_cbranch_execz .LBB93_36
; %bb.35:                               ;   in Loop: Header=BB93_7 Depth=2
	v_mov_b32_e32 v0, v5
	v_mov_b32_e32 v1, v5
	ds_store_b64 v42, v[0:1] offset:4224
.LBB93_36:                              ;   in Loop: Header=BB93_7 Depth=2
	s_and_not1_saveexec_b32 s6, s6
	s_cbranch_execz .LBB93_38
; %bb.37:                               ;   in Loop: Header=BB93_7 Depth=2
	ds_store_b64 v42, v[4:5] offset:4224
.LBB93_38:                              ;   in Loop: Header=BB93_7 Depth=2
	s_or_b32 exec_lo, exec_lo, s6
.LBB93_39:                              ;   in Loop: Header=BB93_7 Depth=2
	s_delay_alu instid0(SALU_CYCLE_1) | instskip(SKIP_1) | instid1(VALU_DEP_1)
	s_or_b32 exec_lo, exec_lo, s5
	v_add_co_u32 v0, s5, v40, s16
	v_add_co_ci_u32_e64 v1, null, 0, s17, s5
	v_add_co_u32 v2, s6, v33, v17
	s_delay_alu instid0(VALU_DEP_1) | instskip(NEXT) | instid1(VALU_DEP_3)
	v_add_co_ci_u32_e64 v3, s6, v34, v18, s6
	v_cmp_le_i64_e64 s5, s[12:13], v[0:1]
	s_delay_alu instid0(VALU_DEP_1) | instskip(NEXT) | instid1(SALU_CYCLE_1)
	s_or_b32 s6, s5, vcc_lo
	s_xor_b32 s6, s6, -1
	s_delay_alu instid0(SALU_CYCLE_1) | instskip(NEXT) | instid1(SALU_CYCLE_1)
	s_and_saveexec_b32 s7, s6
	s_xor_b32 s6, exec_lo, s7
	s_cbranch_execz .LBB93_41
; %bb.40:                               ;   in Loop: Header=BB93_7 Depth=2
	global_load_b64 v[56:57], v[2:3], off offset:-128
	s_waitcnt vmcnt(0)
	ds_store_b64 v44, v[56:57]
.LBB93_41:                              ;   in Loop: Header=BB93_7 Depth=2
	s_and_not1_saveexec_b32 s6, s6
	s_cbranch_execz .LBB93_43
; %bb.42:                               ;   in Loop: Header=BB93_7 Depth=2
	v_mov_b32_e32 v56, v5
	v_mov_b32_e32 v57, v5
	ds_store_b64 v44, v[56:57]
.LBB93_43:                              ;   in Loop: Header=BB93_7 Depth=2
	s_or_b32 exec_lo, exec_lo, s6
	s_or_b32 s5, s5, s0
	s_delay_alu instid0(SALU_CYCLE_1) | instskip(NEXT) | instid1(SALU_CYCLE_1)
	s_xor_b32 s5, s5, -1
	s_and_saveexec_b32 s6, s5
	s_delay_alu instid0(SALU_CYCLE_1)
	s_xor_b32 s5, exec_lo, s6
	s_cbranch_execz .LBB93_45
; %bb.44:                               ;   in Loop: Header=BB93_7 Depth=2
	global_load_b64 v[2:3], v[2:3], off
	s_waitcnt vmcnt(0)
	ds_store_b64 v44, v[2:3] offset:128
.LBB93_45:                              ;   in Loop: Header=BB93_7 Depth=2
	s_and_not1_saveexec_b32 s5, s5
	s_cbranch_execz .LBB93_47
; %bb.46:                               ;   in Loop: Header=BB93_7 Depth=2
	v_mov_b32_e32 v2, v5
	v_mov_b32_e32 v3, v5
	ds_store_b64 v44, v[2:3] offset:128
.LBB93_47:                              ;   in Loop: Header=BB93_7 Depth=2
	s_or_b32 exec_lo, exec_lo, s5
	v_cmp_le_i64_e64 s5, s[34:35], v[0:1]
	s_delay_alu instid0(VALU_DEP_1) | instskip(NEXT) | instid1(SALU_CYCLE_1)
	s_or_b32 s6, s5, vcc_lo
	s_xor_b32 s6, s6, -1
	s_delay_alu instid0(SALU_CYCLE_1) | instskip(NEXT) | instid1(SALU_CYCLE_1)
	s_and_saveexec_b32 s7, s6
	s_xor_b32 s7, exec_lo, s7
	s_cbranch_execz .LBB93_49
; %bb.48:                               ;   in Loop: Header=BB93_7 Depth=2
	v_add_co_u32 v0, s6, v33, v14
	s_delay_alu instid0(VALU_DEP_1)
	v_add_co_ci_u32_e64 v1, s6, v34, v48, s6
	global_load_b64 v[0:1], v[0:1], off offset:-128
	s_waitcnt vmcnt(0)
	ds_store_b64 v44, v[0:1] offset:4096
.LBB93_49:                              ;   in Loop: Header=BB93_7 Depth=2
	s_and_not1_saveexec_b32 s6, s7
	s_cbranch_execz .LBB93_51
; %bb.50:                               ;   in Loop: Header=BB93_7 Depth=2
	v_mov_b32_e32 v0, v5
	v_mov_b32_e32 v1, v5
	ds_store_b64 v44, v[0:1] offset:4096
.LBB93_51:                              ;   in Loop: Header=BB93_7 Depth=2
	s_or_b32 exec_lo, exec_lo, s6
	s_or_b32 s5, s5, s0
	s_delay_alu instid0(SALU_CYCLE_1) | instskip(NEXT) | instid1(SALU_CYCLE_1)
	s_xor_b32 s5, s5, -1
	s_and_saveexec_b32 s6, s5
	s_delay_alu instid0(SALU_CYCLE_1)
	s_xor_b32 s6, exec_lo, s6
	s_cbranch_execz .LBB93_53
; %bb.52:                               ;   in Loop: Header=BB93_7 Depth=2
	v_add_co_u32 v0, s5, v33, v14
	s_delay_alu instid0(VALU_DEP_1)
	v_add_co_ci_u32_e64 v1, s5, v34, v48, s5
	global_load_b64 v[0:1], v[0:1], off
	s_waitcnt vmcnt(0)
	ds_store_b64 v44, v[0:1] offset:4224
.LBB93_53:                              ;   in Loop: Header=BB93_7 Depth=2
	s_and_not1_saveexec_b32 s5, s6
	s_cbranch_execz .LBB93_6
; %bb.54:                               ;   in Loop: Header=BB93_7 Depth=2
	v_mov_b32_e32 v0, v5
	v_mov_b32_e32 v1, v5
	ds_store_b64 v44, v[0:1] offset:4224
	s_branch .LBB93_6
.LBB93_55:                              ;   in Loop: Header=BB93_4 Depth=1
	v_mul_lo_u32 v2, v22, s40
	v_mul_lo_u32 v3, v21, s41
	v_mad_u64_u32 v[0:1], null, v21, s40, 0
	v_cmp_gt_i32_e64 s3, s10, v21
	s_delay_alu instid0(VALU_DEP_2) | instskip(NEXT) | instid1(VALU_DEP_1)
	v_add3_u32 v1, v1, v3, v2
	v_lshlrev_b64 v[0:1], 3, v[0:1]
	s_delay_alu instid0(VALU_DEP_1) | instskip(NEXT) | instid1(VALU_DEP_1)
	v_add_co_u32 v0, s4, s36, v0
	v_add_co_ci_u32_e64 v1, s4, s37, v1, s4
	s_and_b32 s4, s1, s3
	s_delay_alu instid0(SALU_CYCLE_1)
	s_and_saveexec_b32 s5, s4
	s_cbranch_execz .LBB93_57
; %bb.56:                               ;   in Loop: Header=BB93_4 Depth=1
	v_add_co_u32 v2, s4, v0, v15
	s_delay_alu instid0(VALU_DEP_1) | instskip(SKIP_2) | instid1(VALU_DEP_1)
	v_add_co_ci_u32_e64 v3, s4, v1, v16, s4
	global_load_b64 v[22:23], v[2:3], off
	v_mul_f32_e32 v25, s11, v55
	v_dual_mul_f32 v24, s33, v55 :: v_dual_fmac_f32 v25, s33, v54
	s_delay_alu instid0(VALU_DEP_1) | instskip(SKIP_1) | instid1(VALU_DEP_1)
	v_fma_f32 v24, v54, s11, -v24
	s_waitcnt vmcnt(0)
	v_dual_add_f32 v22, v22, v24 :: v_dual_add_f32 v23, v23, v25
	global_store_b64 v[2:3], v[22:23], off
.LBB93_57:                              ;   in Loop: Header=BB93_4 Depth=1
	s_or_b32 exec_lo, exec_lo, s5
	s_and_b32 s3, s2, s3
	s_delay_alu instid0(SALU_CYCLE_1)
	s_and_saveexec_b32 s4, s3
	s_cbranch_execz .LBB93_59
; %bb.58:                               ;   in Loop: Header=BB93_4 Depth=1
	v_lshlrev_b64 v[2:3], 3, v[8:9]
	s_delay_alu instid0(VALU_DEP_1) | instskip(NEXT) | instid1(VALU_DEP_1)
	v_add_co_u32 v0, s3, v0, v2
	v_add_co_ci_u32_e64 v1, s3, v1, v3, s3
	global_load_b64 v[2:3], v[0:1], off
	v_mul_f32_e32 v23, s11, v53
	s_delay_alu instid0(VALU_DEP_1) | instskip(NEXT) | instid1(VALU_DEP_1)
	v_dual_mul_f32 v22, s33, v53 :: v_dual_fmac_f32 v23, s33, v52
	v_fma_f32 v22, v52, s11, -v22
	s_waitcnt vmcnt(0)
	s_delay_alu instid0(VALU_DEP_1)
	v_dual_add_f32 v2, v2, v22 :: v_dual_add_f32 v3, v3, v23
	global_store_b64 v[0:1], v[2:3], off
.LBB93_59:                              ;   in Loop: Header=BB93_4 Depth=1
	s_or_b32 exec_lo, exec_lo, s4
	v_add_nc_u32_e32 v2, 16, v21
	s_delay_alu instid0(VALU_DEP_1) | instskip(SKIP_3) | instid1(VALU_DEP_4)
	v_ashrrev_i32_e32 v3, 31, v2
	v_mul_lo_u32 v21, v2, s41
	v_mad_u64_u32 v[0:1], null, v2, s40, 0
	v_cmp_gt_i32_e64 s3, s10, v2
	v_mul_lo_u32 v3, v3, s40
	s_delay_alu instid0(VALU_DEP_1) | instskip(NEXT) | instid1(VALU_DEP_1)
	v_add3_u32 v1, v1, v21, v3
	v_lshlrev_b64 v[0:1], 3, v[0:1]
	s_delay_alu instid0(VALU_DEP_1) | instskip(NEXT) | instid1(VALU_DEP_1)
	v_add_co_u32 v0, s4, s36, v0
	v_add_co_ci_u32_e64 v1, s4, s37, v1, s4
	s_and_b32 s4, s1, s3
	s_delay_alu instid0(SALU_CYCLE_1)
	s_and_saveexec_b32 s5, s4
	s_cbranch_execz .LBB93_61
; %bb.60:                               ;   in Loop: Header=BB93_4 Depth=1
	v_add_co_u32 v2, s4, v0, v15
	s_delay_alu instid0(VALU_DEP_1)
	v_add_co_ci_u32_e64 v3, s4, v1, v16, s4
	v_mul_f32_e32 v24, s11, v51
	v_mul_f32_e32 v23, s33, v51
	global_load_b64 v[21:22], v[2:3], off
	v_fmac_f32_e32 v24, s33, v50
	v_fma_f32 v23, v50, s11, -v23
	s_waitcnt vmcnt(0)
	s_delay_alu instid0(VALU_DEP_1)
	v_dual_add_f32 v21, v21, v23 :: v_dual_add_f32 v22, v22, v24
	global_store_b64 v[2:3], v[21:22], off
.LBB93_61:                              ;   in Loop: Header=BB93_4 Depth=1
	s_or_b32 exec_lo, exec_lo, s5
	s_and_b32 s3, s2, s3
	s_delay_alu instid0(SALU_CYCLE_1)
	s_and_saveexec_b32 s4, s3
	s_cbranch_execz .LBB93_3
; %bb.62:                               ;   in Loop: Header=BB93_4 Depth=1
	v_lshlrev_b64 v[2:3], 3, v[8:9]
	v_mul_f32_e32 v21, s33, v13
	v_mul_f32_e32 v13, s11, v13
	s_delay_alu instid0(VALU_DEP_2) | instskip(NEXT) | instid1(VALU_DEP_4)
	v_fma_f32 v21, v49, s11, -v21
	v_add_co_u32 v0, s3, v0, v2
	s_delay_alu instid0(VALU_DEP_1) | instskip(NEXT) | instid1(VALU_DEP_4)
	v_add_co_ci_u32_e64 v1, s3, v1, v3, s3
	v_fmac_f32_e32 v13, s33, v49
	global_load_b64 v[2:3], v[0:1], off
	s_waitcnt vmcnt(0)
	v_add_f32_e32 v2, v2, v21
	v_add_f32_e32 v3, v3, v13
	global_store_b64 v[0:1], v[2:3], off
	s_branch .LBB93_3
.LBB93_63:
	s_nop 0
	s_sendmsg sendmsg(MSG_DEALLOC_VGPRS)
	s_endpgm
	.section	.rodata,"a",@progbits
	.p2align	6, 0x0
	.amdhsa_kernel _ZL30rocblas_trmm_outofplace_kernelI19rocblas_complex_numIfELi32ELi2ELb0ELb0ELb1ELb1ES1_KS1_S1_Ev17rocblas_diagonal_iiT6_lPT7_lllS6_lllPT8_llli
		.amdhsa_group_segment_fixed_size 16384
		.amdhsa_private_segment_fixed_size 0
		.amdhsa_kernarg_size 392
		.amdhsa_user_sgpr_count 13
		.amdhsa_user_sgpr_dispatch_ptr 0
		.amdhsa_user_sgpr_queue_ptr 0
		.amdhsa_user_sgpr_kernarg_segment_ptr 1
		.amdhsa_user_sgpr_dispatch_id 0
		.amdhsa_user_sgpr_private_segment_size 0
		.amdhsa_wavefront_size32 1
		.amdhsa_uses_dynamic_stack 0
		.amdhsa_enable_private_segment 0
		.amdhsa_system_sgpr_workgroup_id_x 1
		.amdhsa_system_sgpr_workgroup_id_y 1
		.amdhsa_system_sgpr_workgroup_id_z 1
		.amdhsa_system_sgpr_workgroup_info 0
		.amdhsa_system_vgpr_workitem_id 1
		.amdhsa_next_free_vgpr 90
		.amdhsa_next_free_sgpr 46
		.amdhsa_reserve_vcc 1
		.amdhsa_float_round_mode_32 0
		.amdhsa_float_round_mode_16_64 0
		.amdhsa_float_denorm_mode_32 3
		.amdhsa_float_denorm_mode_16_64 3
		.amdhsa_dx10_clamp 1
		.amdhsa_ieee_mode 1
		.amdhsa_fp16_overflow 0
		.amdhsa_workgroup_processor_mode 1
		.amdhsa_memory_ordered 1
		.amdhsa_forward_progress 0
		.amdhsa_shared_vgpr_count 0
		.amdhsa_exception_fp_ieee_invalid_op 0
		.amdhsa_exception_fp_denorm_src 0
		.amdhsa_exception_fp_ieee_div_zero 0
		.amdhsa_exception_fp_ieee_overflow 0
		.amdhsa_exception_fp_ieee_underflow 0
		.amdhsa_exception_fp_ieee_inexact 0
		.amdhsa_exception_int_div_zero 0
	.end_amdhsa_kernel
	.section	.text._ZL30rocblas_trmm_outofplace_kernelI19rocblas_complex_numIfELi32ELi2ELb0ELb0ELb1ELb1ES1_KS1_S1_Ev17rocblas_diagonal_iiT6_lPT7_lllS6_lllPT8_llli,"axG",@progbits,_ZL30rocblas_trmm_outofplace_kernelI19rocblas_complex_numIfELi32ELi2ELb0ELb0ELb1ELb1ES1_KS1_S1_Ev17rocblas_diagonal_iiT6_lPT7_lllS6_lllPT8_llli,comdat
.Lfunc_end93:
	.size	_ZL30rocblas_trmm_outofplace_kernelI19rocblas_complex_numIfELi32ELi2ELb0ELb0ELb1ELb1ES1_KS1_S1_Ev17rocblas_diagonal_iiT6_lPT7_lllS6_lllPT8_llli, .Lfunc_end93-_ZL30rocblas_trmm_outofplace_kernelI19rocblas_complex_numIfELi32ELi2ELb0ELb0ELb1ELb1ES1_KS1_S1_Ev17rocblas_diagonal_iiT6_lPT7_lllS6_lllPT8_llli
                                        ; -- End function
	.section	.AMDGPU.csdata,"",@progbits
; Kernel info:
; codeLenInByte = 7372
; NumSgprs: 48
; NumVgprs: 90
; ScratchSize: 0
; MemoryBound: 0
; FloatMode: 240
; IeeeMode: 1
; LDSByteSize: 16384 bytes/workgroup (compile time only)
; SGPRBlocks: 5
; VGPRBlocks: 11
; NumSGPRsForWavesPerEU: 48
; NumVGPRsForWavesPerEU: 90
; Occupancy: 16
; WaveLimiterHint : 0
; COMPUTE_PGM_RSRC2:SCRATCH_EN: 0
; COMPUTE_PGM_RSRC2:USER_SGPR: 13
; COMPUTE_PGM_RSRC2:TRAP_HANDLER: 0
; COMPUTE_PGM_RSRC2:TGID_X_EN: 1
; COMPUTE_PGM_RSRC2:TGID_Y_EN: 1
; COMPUTE_PGM_RSRC2:TGID_Z_EN: 1
; COMPUTE_PGM_RSRC2:TIDIG_COMP_CNT: 1
	.section	.text._ZL30rocblas_trmm_outofplace_kernelI19rocblas_complex_numIfELi32ELi2ELb0ELb1ELb1ELb1EPKS1_S2_S1_Ev17rocblas_diagonal_iiT6_lPT7_lllS7_lllPT8_llli,"axG",@progbits,_ZL30rocblas_trmm_outofplace_kernelI19rocblas_complex_numIfELi32ELi2ELb0ELb1ELb1ELb1EPKS1_S2_S1_Ev17rocblas_diagonal_iiT6_lPT7_lllS7_lllPT8_llli,comdat
	.globl	_ZL30rocblas_trmm_outofplace_kernelI19rocblas_complex_numIfELi32ELi2ELb0ELb1ELb1ELb1EPKS1_S2_S1_Ev17rocblas_diagonal_iiT6_lPT7_lllS7_lllPT8_llli ; -- Begin function _ZL30rocblas_trmm_outofplace_kernelI19rocblas_complex_numIfELi32ELi2ELb0ELb1ELb1ELb1EPKS1_S2_S1_Ev17rocblas_diagonal_iiT6_lPT7_lllS7_lllPT8_llli
	.p2align	8
	.type	_ZL30rocblas_trmm_outofplace_kernelI19rocblas_complex_numIfELi32ELi2ELb0ELb1ELb1ELb1EPKS1_S2_S1_Ev17rocblas_diagonal_iiT6_lPT7_lllS7_lllPT8_llli,@function
_ZL30rocblas_trmm_outofplace_kernelI19rocblas_complex_numIfELi32ELi2ELb0ELb1ELb1ELb1EPKS1_S2_S1_Ev17rocblas_diagonal_iiT6_lPT7_lllS7_lllPT8_llli: ; @_ZL30rocblas_trmm_outofplace_kernelI19rocblas_complex_numIfELi32ELi2ELb0ELb1ELb1ELb1EPKS1_S2_S1_Ev17rocblas_diagonal_iiT6_lPT7_lllS7_lllPT8_llli
; %bb.0:
	s_load_b512 s[16:31], s[0:1], 0x10
	s_waitcnt lgkmcnt(0)
	s_mul_i32 s2, s15, s19
	s_mul_hi_u32 s3, s15, s18
	s_delay_alu instid0(SALU_CYCLE_1) | instskip(SKIP_1) | instid1(SALU_CYCLE_1)
	s_add_i32 s3, s3, s2
	s_mul_i32 s2, s15, s18
	s_lshl_b64 s[2:3], s[2:3], 3
	s_delay_alu instid0(SALU_CYCLE_1) | instskip(SKIP_4) | instid1(SALU_CYCLE_1)
	s_add_u32 s2, s16, s2
	s_addc_u32 s3, s17, s3
	s_load_b64 s[34:35], s[2:3], 0x0
	s_waitcnt lgkmcnt(0)
	s_or_b32 s2, s34, s35
	s_bitset0_b32 s2, 31
	s_delay_alu instid0(SALU_CYCLE_1)
	s_cmp_eq_u32 s2, 0
	s_cbranch_scc1 .LBB94_63
; %bb.1:
	s_load_b128 s[8:11], s[0:1], 0x0
	s_waitcnt lgkmcnt(0)
	s_add_i32 s2, s10, -1
	s_delay_alu instid0(SALU_CYCLE_1) | instskip(NEXT) | instid1(SALU_CYCLE_1)
	s_ashr_i32 s3, s2, 31
	s_lshr_b32 s3, s3, 27
	s_delay_alu instid0(SALU_CYCLE_1) | instskip(NEXT) | instid1(SALU_CYCLE_1)
	s_add_i32 s2, s2, s3
	s_ashr_i32 s33, s2, 5
	s_delay_alu instid0(SALU_CYCLE_1)
	s_cmp_gt_i32 s14, s33
	s_cbranch_scc1 .LBB94_63
; %bb.2:
	s_clause 0x2
	s_load_b256 s[36:43], s[0:1], 0x50
	s_load_b128 s[16:19], s[0:1], 0x70
	s_load_b32 s44, s[0:1], 0x8c
	v_dual_mov_b32 v15, 0 :: v_dual_and_b32 v10, 0x3ff, v0
	v_bfe_u32 v38, v0, 10, 10
	v_mov_b32_e32 v14, 1.0
	s_delay_alu instid0(VALU_DEP_3) | instskip(SKIP_1) | instid1(VALU_DEP_4)
	v_lshl_add_u32 v0, s13, 5, v10
	v_lshlrev_b32_e32 v11, 3, v10
	v_lshlrev_b32_e32 v39, 8, v38
	s_delay_alu instid0(VALU_DEP_3) | instskip(SKIP_1) | instid1(VALU_DEP_4)
	v_ashrrev_i32_e32 v1, 31, v0
	v_sub_co_u32 v2, vcc_lo, s9, v0
	v_or_b32_e32 v41, 0x2000, v11
	v_add_nc_u32_e32 v4, 16, v0
	s_delay_alu instid0(VALU_DEP_4)
	v_lshlrev_b64 v[6:7], 3, v[0:1]
	v_add_nc_u32_e32 v40, v39, v11
	s_waitcnt lgkmcnt(0)
	s_mul_i32 s1, s15, s39
	s_mul_hi_u32 s2, s15, s38
	s_mul_i32 s0, s15, s38
	s_add_i32 s1, s2, s1
	s_mul_i32 s3, s15, s19
	s_lshl_b64 s[0:1], s[0:1], 3
	s_mul_hi_u32 s4, s15, s18
	s_add_u32 s5, s28, s0
	s_addc_u32 s6, s29, s1
	s_lshl_b64 s[0:1], s[30:31], 3
	s_mul_i32 s2, s15, s18
	s_add_u32 s5, s5, s0
	s_addc_u32 s6, s6, s1
	s_add_i32 s3, s4, s3
	s_mul_i32 s4, s27, s15
	s_lshl_b64 s[0:1], s[2:3], 3
	v_add_nc_u32_e32 v42, v41, v39
	s_add_u32 s2, s40, s0
	s_addc_u32 s3, s41, s1
	s_lshl_b64 s[0:1], s[42:43], 3
	v_ashrrev_i32_e32 v5, 31, v4
	s_add_u32 s38, s2, s0
	s_addc_u32 s39, s3, s1
	s_cmpk_eq_i32 s8, 0x84
	v_cmp_gt_i32_e64 s1, s9, v0
	s_cselect_b32 s40, -1, 0
	s_ashr_i32 s0, s9, 31
	s_ashr_i32 s11, s10, 31
	v_sub_co_ci_u32_e32 v3, vcc_lo, s0, v1, vcc_lo
	v_add_co_u32 v8, vcc_lo, s5, v6
	s_lshl_b64 s[12:13], s[24:25], 8
	s_lshl_b64 s[18:19], s[36:37], 8
	s_mul_hi_u32 s5, s26, s15
	s_add_u32 s28, s10, -16
	s_addc_u32 s29, s11, -1
	s_add_i32 s5, s5, s4
	s_mul_i32 s4, s26, s15
	v_add_co_ci_u32_e32 v9, vcc_lo, s6, v7, vcc_lo
	s_lshl_b32 s3, s14, 5
	s_lshl_b64 s[4:5], s[4:5], 3
	s_lshl_b64 s[6:7], s[22:23], 3
	v_cmp_gt_i64_e32 vcc_lo, 1, v[2:3]
	v_cmp_gt_i64_e64 s0, 17, v[2:3]
	s_lshl_b32 s15, s44, 5
	v_cmp_gt_i32_e64 s2, s9, v4
	v_add_nc_u32_e32 v43, 0x2080, v11
	v_add_nc_u32_e32 v10, s3, v10
	;; [unrolled: 1-line block ×3, first 2 shown]
	s_add_u32 s3, s4, s6
	s_addc_u32 s4, s5, s7
	s_add_u32 s20, s20, s3
	s_addc_u32 s21, s21, s4
	s_lshl_b64 s[22:23], s[24:25], 3
	s_lshl_b64 s[26:27], s[36:37], 3
	s_branch .LBB94_4
.LBB94_3:                               ;   in Loop: Header=BB94_4 Depth=1
	s_or_b32 exec_lo, exec_lo, s4
	v_add_nc_u32_e32 v10, s15, v10
	v_add_nc_u32_e32 v12, s15, v12
	s_add_i32 s14, s44, s14
	s_delay_alu instid0(SALU_CYCLE_1)
	s_cmp_le_i32 s14, s33
	s_cbranch_scc0 .LBB94_63
.LBB94_4:                               ; =>This Loop Header: Depth=1
                                        ;     Child Loop BB94_7 Depth 2
	s_lshl_b32 s3, s14, 5
	v_ashrrev_i32_e32 v11, 31, v10
	v_dual_mov_b32 v51, v15 :: v_dual_add_nc_u32 v16, s3, v38
	v_ashrrev_i32_e32 v13, 31, v12
	v_mov_b32_e32 v50, v15
	v_mov_b32_e32 v48, v15
	s_delay_alu instid0(VALU_DEP_4)
	v_ashrrev_i32_e32 v17, 31, v16
	v_mov_b32_e32 v49, v15
	v_mov_b32_e32 v46, v15
	;; [unrolled: 1-line block ×5, first 2 shown]
	s_sub_i32 s41, s10, s3
	s_delay_alu instid0(SALU_CYCLE_1)
	s_cmp_lt_i32 s41, 1
	s_cbranch_scc1 .LBB94_55
; %bb.5:                                ;   in Loop: Header=BB94_4 Depth=1
	v_lshlrev_b64 v[0:1], 3, v[10:11]
	v_lshlrev_b64 v[20:21], 3, v[12:13]
	v_mad_u64_u32 v[26:27], null, s26, v12, 0x80
	v_mul_lo_u32 v32, s26, v13
	v_mul_lo_u32 v33, s27, v12
	v_add_co_u32 v0, s3, 0x80, v0
	s_delay_alu instid0(VALU_DEP_1) | instskip(SKIP_1) | instid1(VALU_DEP_1)
	v_add_co_ci_u32_e64 v1, s3, 0, v1, s3
	v_sub_co_u32 v18, s3, v12, v10
	v_sub_co_ci_u32_e64 v19, s3, v13, v11, s3
	v_add_co_u32 v30, s3, 0x80, v20
	s_delay_alu instid0(VALU_DEP_1) | instskip(SKIP_1) | instid1(VALU_DEP_3)
	v_add_co_ci_u32_e64 v28, s3, 0, v21, s3
	v_mul_lo_u32 v1, s24, v1
	v_mul_lo_u32 v35, s37, v30
	;; [unrolled: 1-line block ×3, first 2 shown]
	s_delay_alu instid0(VALU_DEP_4)
	v_mul_lo_u32 v34, s36, v28
	v_mad_u64_u32 v[28:29], null, s36, v30, 0x80
	v_mad_u64_u32 v[22:23], null, s24, v0, s[20:21]
	;; [unrolled: 1-line block ×3, first 2 shown]
	v_mul_lo_u32 v0, s22, v11
	v_mul_lo_u32 v3, s23, v10
	v_add_co_u32 v30, s3, v16, 16
	s_delay_alu instid0(VALU_DEP_1) | instskip(SKIP_2) | instid1(VALU_DEP_1)
	v_add_co_ci_u32_e64 v31, s3, 0, v17, s3
	v_add3_u32 v27, v33, v27, v32
	v_add_co_u32 v32, s5, v18, 16
	v_add_co_ci_u32_e64 v33, s5, 0, v19, s5
	v_add3_u32 v29, v35, v29, v34
	v_add_co_u32 v34, s5, v18, -16
	v_cmp_le_i64_e64 s4, s[10:11], v[30:31]
	v_dual_mov_b32 v44, 0 :: v_dual_mov_b32 v37, v9
	v_add3_u32 v23, v2, v23, v1
	v_add3_u32 v25, v3, v25, v0
	v_cmp_le_i32_e64 s3, s10, v16
	v_add_co_ci_u32_e64 v35, s5, -1, v19, s5
	v_dual_mov_b32 v36, v8 :: v_dual_mov_b32 v45, 0
	v_dual_mov_b32 v47, 0 :: v_dual_mov_b32 v46, 0
	;; [unrolled: 1-line block ×4, first 2 shown]
	s_mov_b64 s[30:31], 0
	s_branch .LBB94_7
.LBB94_6:                               ;   in Loop: Header=BB94_7 Depth=2
	s_or_b32 exec_lo, exec_lo, s5
	s_waitcnt lgkmcnt(0)
	s_waitcnt_vscnt null, 0x0
	s_barrier
	buffer_gl0_inv
	ds_load_2addr_b64 v[52:55], v41 offset1:32
	ds_load_b128 v[56:59], v39
	ds_load_2addr_b64 v[60:63], v43 offset1:32
	ds_load_b128 v[64:67], v39 offset:4096
	ds_load_b128 v[68:71], v39 offset:16
	;; [unrolled: 1-line block ×5, first 2 shown]
	v_add_co_u32 v22, s5, v22, s12
	s_delay_alu instid0(VALU_DEP_1) | instskip(SKIP_1) | instid1(VALU_DEP_1)
	v_add_co_ci_u32_e64 v23, s5, s13, v23, s5
	v_add_co_u32 v24, s5, v24, s12
	v_add_co_ci_u32_e64 v25, s5, s13, v25, s5
	v_add_co_u32 v36, s5, v36, s18
	s_delay_alu instid0(VALU_DEP_1)
	v_add_co_ci_u32_e64 v37, s5, s19, v37, s5
	s_add_u32 s30, s30, 32
	s_waitcnt lgkmcnt(6)
	v_mul_f32_e32 v80, v57, v53
	s_waitcnt lgkmcnt(5)
	v_mul_f32_e32 v82, v57, v61
	v_mul_f32_e32 v83, v56, v61
	s_waitcnt lgkmcnt(4)
	v_mul_f32_e32 v85, v65, v61
	v_mul_f32_e32 v61, v64, v61
	v_mul_f32_e32 v84, v65, v53
	s_addc_u32 s31, s31, 0
	s_cmp_ge_i32 s30, s41
	s_delay_alu instid0(VALU_DEP_2) | instskip(NEXT) | instid1(VALU_DEP_1)
	v_fmac_f32_e32 v61, v65, v60
	v_dual_add_f32 v44, v44, v61 :: v_dual_mul_f32 v61, v59, v63
	v_fma_f32 v80, v56, v52, -v80
	s_delay_alu instid0(VALU_DEP_1) | instskip(NEXT) | instid1(VALU_DEP_1)
	v_dual_mul_f32 v81, v56, v53 :: v_dual_add_f32 v50, v50, v80
	v_fmac_f32_e32 v81, v57, v52
	v_fmac_f32_e32 v83, v57, v60
	v_mul_f32_e32 v53, v64, v53
	v_fma_f32 v57, v64, v52, -v84
	s_delay_alu instid0(VALU_DEP_3) | instskip(SKIP_3) | instid1(VALU_DEP_2)
	v_add_f32_e32 v80, v49, v83
	v_mul_f32_e32 v83, v67, v55
	v_fma_f32 v56, v56, v60, -v82
	v_dual_fmac_f32 v53, v65, v52 :: v_dual_mul_f32 v82, v58, v63
	v_add_f32_e32 v56, v48, v56
	v_fma_f32 v52, v64, v60, -v85
	v_mul_f32_e32 v60, v58, v55
	s_delay_alu instid0(VALU_DEP_2) | instskip(NEXT) | instid1(VALU_DEP_2)
	v_dual_fmac_f32 v82, v59, v62 :: v_dual_add_f32 v65, v45, v52
	v_fmac_f32_e32 v60, v59, v54
	v_add_f32_e32 v64, v51, v81
	v_dual_add_f32 v57, v46, v57 :: v_dual_mul_f32 v46, v59, v55
	v_mul_f32_e32 v55, v66, v55
	v_fma_f32 v59, v66, v54, -v83
	s_delay_alu instid0(VALU_DEP_4) | instskip(NEXT) | instid1(VALU_DEP_4)
	v_add_f32_e32 v60, v64, v60
	v_fma_f32 v49, v58, v54, -v46
	v_fma_f32 v58, v58, v62, -v61
	v_add_f32_e32 v53, v47, v53
	ds_load_2addr_b64 v[45:48], v41 offset0:64 offset1:96
	v_fmac_f32_e32 v55, v67, v54
	v_dual_add_f32 v81, v50, v49 :: v_dual_add_f32 v54, v57, v59
	ds_load_2addr_b64 v[49:52], v43 offset0:64 offset1:96
	v_dual_add_f32 v56, v56, v58 :: v_dual_add_f32 v53, v53, v55
	v_mul_f32_e32 v58, v67, v63
	s_delay_alu instid0(VALU_DEP_1) | instskip(NEXT) | instid1(VALU_DEP_1)
	v_fma_f32 v58, v66, v62, -v58
	v_dual_mul_f32 v57, v66, v63 :: v_dual_add_f32 v58, v65, v58
	s_waitcnt lgkmcnt(1)
	v_dual_mul_f32 v55, v68, v46 :: v_dual_mul_f32 v64, v79, v48
	s_delay_alu instid0(VALU_DEP_1) | instskip(NEXT) | instid1(VALU_DEP_1)
	v_fmac_f32_e32 v55, v69, v45
	v_add_f32_e32 v63, v60, v55
	v_mul_f32_e32 v55, v77, v46
	s_delay_alu instid0(VALU_DEP_1) | instskip(SKIP_3) | instid1(VALU_DEP_3)
	v_fma_f32 v55, v76, v45, -v55
	v_fmac_f32_e32 v57, v67, v62
	s_waitcnt lgkmcnt(0)
	v_mul_f32_e32 v67, v70, v52
	v_dual_add_f32 v66, v54, v55 :: v_dual_mul_f32 v59, v69, v46
	s_delay_alu instid0(VALU_DEP_3) | instskip(SKIP_4) | instid1(VALU_DEP_4)
	v_add_f32_e32 v44, v44, v57
	v_mul_f32_e32 v57, v68, v50
	v_mul_f32_e32 v46, v76, v46
	v_add_f32_e32 v61, v80, v82
	v_fma_f32 v59, v68, v45, -v59
	v_dual_mul_f32 v54, v71, v48 :: v_dual_fmac_f32 v57, v69, v49
	s_delay_alu instid0(VALU_DEP_4) | instskip(NEXT) | instid1(VALU_DEP_3)
	v_dual_fmac_f32 v46, v77, v45 :: v_dual_mul_f32 v45, v76, v50
	v_add_f32_e32 v59, v81, v59
	v_fmac_f32_e32 v67, v71, v51
	s_delay_alu instid0(VALU_DEP_4)
	v_add_f32_e32 v65, v61, v57
	v_fma_f32 v57, v70, v47, -v54
	v_mul_f32_e32 v62, v69, v50
	v_fmac_f32_e32 v45, v77, v49
	v_add_f32_e32 v46, v53, v46
	v_fma_f32 v69, v78, v47, -v64
	s_delay_alu instid0(VALU_DEP_3) | instskip(SKIP_2) | instid1(VALU_DEP_1)
	v_add_f32_e32 v44, v44, v45
	v_add_f32_e32 v45, v59, v57
	v_fma_f32 v62, v68, v49, -v62
	v_add_f32_e32 v62, v56, v62
	v_mul_f32_e32 v56, v77, v50
	s_delay_alu instid0(VALU_DEP_1)
	v_fma_f32 v50, v76, v49, -v56
	ds_load_2addr_b64 v[53:56], v41 offset0:128 offset1:160
	v_dual_add_f32 v49, v58, v50 :: v_dual_mul_f32 v58, v71, v52
	v_mul_f32_e32 v50, v70, v48
	v_dual_mul_f32 v48, v78, v48 :: v_dual_add_f32 v65, v65, v67
	v_mul_f32_e32 v67, v79, v52
	s_delay_alu instid0(VALU_DEP_4)
	v_fma_f32 v61, v70, v51, -v58
	ds_load_2addr_b64 v[57:60], v43 offset0:128 offset1:160
	v_fmac_f32_e32 v50, v71, v47
	v_dual_fmac_f32 v48, v79, v47 :: v_dual_mul_f32 v47, v78, v52
	v_add_f32_e32 v68, v62, v61
	v_add_f32_e32 v52, v66, v69
	s_delay_alu instid0(VALU_DEP_4)
	v_add_f32_e32 v50, v63, v50
	ds_load_b128 v[61:64], v39 offset:4128
	v_add_f32_e32 v48, v46, v48
	s_waitcnt lgkmcnt(2)
	v_mul_f32_e32 v66, v73, v54
	v_fma_f32 v67, v78, v51, -v67
	s_delay_alu instid0(VALU_DEP_2) | instskip(SKIP_1) | instid1(VALU_DEP_2)
	v_fma_f32 v46, v72, v53, -v66
	s_waitcnt lgkmcnt(1)
	v_dual_add_f32 v49, v49, v67 :: v_dual_mul_f32 v70, v72, v58
	v_dual_mul_f32 v66, v73, v58 :: v_dual_fmac_f32 v47, v79, v51
	s_delay_alu instid0(VALU_DEP_2) | instskip(NEXT) | instid1(VALU_DEP_2)
	v_dual_mul_f32 v51, v72, v54 :: v_dual_fmac_f32 v70, v73, v57
	v_fma_f32 v66, v72, v57, -v66
	s_delay_alu instid0(VALU_DEP_3) | instskip(NEXT) | instid1(VALU_DEP_3)
	v_add_f32_e32 v67, v44, v47
	v_fmac_f32_e32 v51, v73, v53
	v_add_f32_e32 v69, v45, v46
	ds_load_b128 v[44:47], v39 offset:4144
	s_waitcnt lgkmcnt(1)
	v_mul_f32_e32 v71, v62, v54
	v_add_f32_e32 v72, v50, v51
	v_mul_f32_e32 v50, v61, v54
	v_add_f32_e32 v54, v68, v66
	s_delay_alu instid0(VALU_DEP_4) | instskip(NEXT) | instid1(VALU_DEP_3)
	v_fma_f32 v51, v61, v53, -v71
	v_dual_mul_f32 v73, v64, v56 :: v_dual_fmac_f32 v50, v62, v53
	v_mul_f32_e32 v53, v61, v58
	v_add_f32_e32 v70, v65, v70
	s_delay_alu instid0(VALU_DEP_2) | instskip(SKIP_2) | instid1(VALU_DEP_3)
	v_dual_add_f32 v52, v52, v51 :: v_dual_fmac_f32 v53, v62, v57
	v_mul_f32_e32 v66, v62, v58
	v_mul_f32_e32 v58, v75, v56
	v_add_f32_e32 v53, v67, v53
	s_delay_alu instid0(VALU_DEP_3)
	v_fma_f32 v51, v61, v57, -v66
	v_add_f32_e32 v61, v48, v50
	v_mul_f32_e32 v57, v74, v56
	v_fma_f32 v58, v74, v55, -v58
	v_mul_f32_e32 v56, v63, v56
	v_add_f32_e32 v62, v49, v51
	ds_load_2addr_b64 v[48:51], v41 offset0:192 offset1:224
	v_dual_fmac_f32 v57, v75, v55 :: v_dual_add_f32 v58, v69, v58
	v_dual_mul_f32 v71, v75, v60 :: v_dual_fmac_f32 v56, v64, v55
	ds_load_2addr_b64 v[65:68], v43 offset0:192 offset1:224
	v_add_f32_e32 v57, v72, v57
	v_mul_f32_e32 v69, v74, v60
	v_fma_f32 v71, v74, v59, -v71
	v_add_f32_e32 v56, v61, v56
	s_delay_alu instid0(VALU_DEP_2) | instskip(SKIP_3) | instid1(VALU_DEP_3)
	v_add_f32_e32 v54, v54, v71
	v_fma_f32 v72, v63, v55, -v73
	v_fmac_f32_e32 v69, v75, v59
	v_mul_f32_e32 v55, v63, v60
	v_add_f32_e32 v52, v52, v72
	v_add_nc_u32_e32 v72, 0x800, v41
	s_delay_alu instid0(VALU_DEP_4) | instskip(SKIP_4) | instid1(VALU_DEP_2)
	v_add_f32_e32 v69, v70, v69
	s_waitcnt lgkmcnt(1)
	v_mul_f32_e32 v61, v0, v49
	s_waitcnt lgkmcnt(0)
	v_dual_fmac_f32 v55, v64, v59 :: v_dual_mul_f32 v74, v47, v68
	v_fmac_f32_e32 v61, v1, v48
	v_mul_f32_e32 v71, v64, v60
	s_delay_alu instid0(VALU_DEP_3) | instskip(NEXT) | instid1(VALU_DEP_3)
	v_add_f32_e32 v53, v53, v55
	v_dual_mul_f32 v55, v0, v66 :: v_dual_add_f32 v64, v57, v61
	s_delay_alu instid0(VALU_DEP_3) | instskip(SKIP_1) | instid1(VALU_DEP_3)
	v_fma_f32 v60, v63, v59, -v71
	v_mul_f32_e32 v63, v1, v49
	v_fmac_f32_e32 v55, v1, v65
	v_mul_f32_e32 v57, v45, v49
	v_mul_f32_e32 v61, v3, v68
	v_dual_add_f32 v59, v62, v60 :: v_dual_mul_f32 v62, v1, v66
	v_fma_f32 v60, v0, v48, -v63
	v_mul_f32_e32 v1, v44, v49
	s_delay_alu instid0(VALU_DEP_3) | instskip(NEXT) | instid1(VALU_DEP_3)
	v_fma_f32 v0, v0, v65, -v62
	v_dual_add_f32 v60, v58, v60 :: v_dual_mul_f32 v49, v45, v66
	s_delay_alu instid0(VALU_DEP_2) | instskip(SKIP_2) | instid1(VALU_DEP_1)
	v_add_f32_e32 v0, v54, v0
	v_fma_f32 v54, v44, v48, -v57
	v_dual_mul_f32 v57, v44, v66 :: v_dual_mul_f32 v66, v2, v51
	v_dual_fmac_f32 v57, v45, v65 :: v_dual_fmac_f32 v66, v3, v50
	s_delay_alu instid0(VALU_DEP_1) | instskip(SKIP_1) | instid1(VALU_DEP_1)
	v_add_f32_e32 v64, v64, v66
	v_mul_f32_e32 v66, v46, v51
	v_dual_fmac_f32 v66, v47, v50 :: v_dual_fmac_f32 v1, v45, v48
	v_dual_add_f32 v48, v69, v55 :: v_dual_mul_f32 v69, v2, v68
	v_mul_f32_e32 v68, v46, v68
	s_delay_alu instid0(VALU_DEP_1) | instskip(SKIP_1) | instid1(VALU_DEP_1)
	v_dual_fmac_f32 v68, v47, v67 :: v_dual_add_f32 v45, v56, v1
	v_mul_f32_e32 v1, v3, v51
	v_fma_f32 v1, v2, v50, -v1
	s_delay_alu instid0(VALU_DEP_1) | instskip(SKIP_3) | instid1(VALU_DEP_3)
	v_add_f32_e32 v70, v60, v1
	v_fma_f32 v44, v44, v65, -v49
	v_fma_f32 v1, v2, v67, -v61
	v_dual_mul_f32 v2, v47, v51 :: v_dual_add_f32 v49, v52, v54
	v_add_f32_e32 v44, v59, v44
	s_delay_alu instid0(VALU_DEP_2)
	v_fma_f32 v51, v46, v50, -v2
	v_fma_f32 v46, v46, v67, -v74
	v_add_f32_e32 v65, v53, v57
	ds_load_2addr_b64 v[52:55], v72 offset1:32
	ds_load_b128 v[56:59], v39 offset:64
	v_dual_add_f32 v74, v44, v46 :: v_dual_add_nc_u32 v73, 0x800, v43
	v_add_f32_e32 v68, v65, v68
	v_add_f32_e32 v66, v45, v66
	ds_load_2addr_b64 v[60:63], v73 offset1:32
	v_fmac_f32_e32 v69, v3, v67
	v_add_f32_e32 v71, v0, v1
	ds_load_b128 v[0:3], v39 offset:4160
	s_waitcnt lgkmcnt(2)
	v_mul_f32_e32 v76, v57, v53
	v_add_f32_e32 v75, v49, v51
	v_mul_f32_e32 v67, v56, v53
	s_delay_alu instid0(VALU_DEP_3) | instskip(SKIP_2) | instid1(VALU_DEP_2)
	v_fma_f32 v45, v56, v52, -v76
	s_waitcnt lgkmcnt(1)
	v_mul_f32_e32 v44, v57, v61
	v_dual_fmac_f32 v67, v57, v52 :: v_dual_add_f32 v70, v70, v45
	v_mul_f32_e32 v65, v56, v61
	s_delay_alu instid0(VALU_DEP_3)
	v_fma_f32 v56, v56, v60, -v44
	v_add_f32_e32 v69, v48, v69
	ds_load_b128 v[48:51], v39 offset:80
	s_waitcnt lgkmcnt(1)
	v_mul_f32_e32 v76, v1, v53
	v_mul_f32_e32 v53, v0, v53
	v_fmac_f32_e32 v65, v57, v60
	ds_load_b128 v[44:47], v39 offset:4176
	v_fma_f32 v57, v0, v52, -v76
	v_dual_fmac_f32 v53, v1, v52 :: v_dual_mul_f32 v52, v0, v61
	s_delay_alu instid0(VALU_DEP_1) | instskip(SKIP_2) | instid1(VALU_DEP_3)
	v_fmac_f32_e32 v52, v1, v60
	v_dual_add_f32 v56, v71, v56 :: v_dual_add_f32 v77, v64, v67
	v_dual_mul_f32 v64, v1, v61 :: v_dual_mul_f32 v61, v59, v55
	v_dual_add_f32 v57, v75, v57 :: v_dual_add_f32 v52, v68, v52
	s_delay_alu instid0(VALU_DEP_2) | instskip(NEXT) | instid1(VALU_DEP_3)
	v_fma_f32 v0, v0, v60, -v64
	v_fma_f32 v60, v58, v54, -v61
	s_delay_alu instid0(VALU_DEP_2) | instskip(SKIP_1) | instid1(VALU_DEP_3)
	v_add_f32_e32 v0, v74, v0
	v_mul_f32_e32 v74, v58, v63
	v_add_f32_e32 v60, v70, v60
	s_delay_alu instid0(VALU_DEP_2)
	v_dual_mul_f32 v1, v58, v55 :: v_dual_fmac_f32 v74, v59, v62
	v_add_f32_e32 v76, v69, v65
	ds_load_2addr_b64 v[68:71], v73 offset0:64 offset1:96
	v_mul_f32_e32 v61, v59, v63
	v_mul_f32_e32 v75, v3, v55
	v_fmac_f32_e32 v1, v59, v54
	s_delay_alu instid0(VALU_DEP_3) | instskip(NEXT) | instid1(VALU_DEP_3)
	v_fma_f32 v58, v58, v62, -v61
	v_fma_f32 v59, v2, v54, -v75
	v_add_f32_e32 v61, v76, v74
	s_delay_alu instid0(VALU_DEP_3)
	v_dual_mul_f32 v55, v2, v55 :: v_dual_add_f32 v56, v56, v58
	v_add_f32_e32 v53, v66, v53
	ds_load_2addr_b64 v[64:67], v72 offset0:64 offset1:96
	v_mul_f32_e32 v58, v3, v63
	v_dual_fmac_f32 v55, v3, v54 :: v_dual_add_f32 v54, v57, v59
	v_mul_f32_e32 v57, v2, v63
	s_delay_alu instid0(VALU_DEP_3) | instskip(SKIP_2) | instid1(VALU_DEP_3)
	v_fma_f32 v2, v2, v62, -v58
	s_waitcnt lgkmcnt(1)
	v_mul_f32_e32 v63, v50, v71
	v_fmac_f32_e32 v57, v3, v62
	s_delay_alu instid0(VALU_DEP_3) | instskip(SKIP_1) | instid1(VALU_DEP_3)
	v_dual_mul_f32 v3, v49, v69 :: v_dual_add_f32 v0, v0, v2
	s_waitcnt lgkmcnt(0)
	v_dual_fmac_f32 v63, v51, v70 :: v_dual_mul_f32 v58, v49, v65
	v_mul_f32_e32 v62, v50, v67
	v_add_f32_e32 v53, v53, v55
	s_delay_alu instid0(VALU_DEP_3) | instskip(NEXT) | instid1(VALU_DEP_3)
	v_fma_f32 v2, v48, v64, -v58
	v_fmac_f32_e32 v62, v51, v66
	v_mul_f32_e32 v58, v48, v69
	v_add_f32_e32 v1, v77, v1
	s_delay_alu instid0(VALU_DEP_4) | instskip(SKIP_1) | instid1(VALU_DEP_4)
	v_add_f32_e32 v59, v60, v2
	v_fma_f32 v2, v48, v68, -v3
	v_dual_mul_f32 v3, v44, v65 :: v_dual_fmac_f32 v58, v49, v68
	s_delay_alu instid0(VALU_DEP_1) | instskip(SKIP_1) | instid1(VALU_DEP_1)
	v_fmac_f32_e32 v3, v45, v64
	v_mul_f32_e32 v55, v48, v65
	v_fmac_f32_e32 v55, v49, v64
	v_dual_add_f32 v49, v56, v2 :: v_dual_mul_f32 v2, v45, v69
	v_mul_f32_e32 v56, v44, v69
	s_delay_alu instid0(VALU_DEP_2) | instskip(NEXT) | instid1(VALU_DEP_2)
	v_fma_f32 v2, v44, v68, -v2
	v_fmac_f32_e32 v56, v45, v68
	v_mul_f32_e32 v68, v47, v67
	v_add_f32_e32 v48, v1, v55
	v_add_f32_e32 v60, v61, v58
	v_dual_mul_f32 v1, v45, v65 :: v_dual_mul_f32 v58, v51, v71
	v_add_f32_e32 v45, v0, v2
	s_delay_alu instid0(VALU_DEP_4)
	v_add_f32_e32 v69, v48, v62
	v_fma_f32 v62, v46, v66, -v68
	v_add_f32_e32 v68, v60, v63
	v_fma_f32 v1, v44, v64, -v1
	v_mul_f32_e32 v44, v51, v67
	v_mul_f32_e32 v67, v46, v67
	v_add_f32_e32 v64, v53, v3
	s_delay_alu instid0(VALU_DEP_3) | instskip(NEXT) | instid1(VALU_DEP_3)
	v_fma_f32 v44, v50, v66, -v44
	v_fmac_f32_e32 v67, v47, v66
	v_dual_mul_f32 v66, v47, v71 :: v_dual_add_f32 v57, v52, v57
	s_delay_alu instid0(VALU_DEP_3) | instskip(SKIP_1) | instid1(VALU_DEP_3)
	v_dual_mul_f32 v71, v46, v71 :: v_dual_add_f32 v44, v59, v44
	v_fma_f32 v50, v50, v70, -v58
	v_fma_f32 v46, v46, v70, -v66
	s_delay_alu instid0(VALU_DEP_4) | instskip(NEXT) | instid1(VALU_DEP_4)
	v_add_f32_e32 v65, v57, v56
	v_fmac_f32_e32 v71, v47, v70
	v_add_f32_e32 v61, v54, v1
	ds_load_2addr_b64 v[0:3], v72 offset0:128 offset1:160
	ds_load_b128 v[52:55], v39 offset:96
	ds_load_2addr_b64 v[56:59], v73 offset0:128 offset1:160
	v_add_f32_e32 v64, v64, v67
	s_waitcnt lgkmcnt(1)
	v_mul_f32_e32 v76, v53, v1
	v_add_f32_e32 v74, v49, v50
	ds_load_b128 v[48:51], v39 offset:4192
	v_mul_f32_e32 v66, v52, v1
	v_add_f32_e32 v70, v65, v71
	v_fma_f32 v47, v52, v0, -v76
	s_delay_alu instid0(VALU_DEP_1)
	v_dual_fmac_f32 v66, v53, v0 :: v_dual_add_f32 v71, v44, v47
	v_add_f32_e32 v67, v45, v46
	s_waitcnt lgkmcnt(1)
	v_mul_f32_e32 v45, v53, v57
	v_add_f32_e32 v75, v61, v62
	ds_load_b128 v[60:63], v39 offset:112
	v_mul_f32_e32 v65, v52, v57
	v_fma_f32 v52, v52, v56, -v45
	ds_load_b128 v[44:47], v39 offset:4208
	s_waitcnt lgkmcnt(2)
	v_mul_f32_e32 v76, v49, v1
	v_dual_mul_f32 v1, v48, v1 :: v_dual_add_f32 v52, v74, v52
	v_fmac_f32_e32 v65, v53, v56
	s_delay_alu instid0(VALU_DEP_3) | instskip(NEXT) | instid1(VALU_DEP_3)
	v_fma_f32 v53, v48, v0, -v76
	v_dual_fmac_f32 v1, v49, v0 :: v_dual_mul_f32 v0, v48, v57
	s_delay_alu instid0(VALU_DEP_3) | instskip(NEXT) | instid1(VALU_DEP_2)
	v_add_f32_e32 v74, v68, v65
	v_dual_add_f32 v1, v64, v1 :: v_dual_fmac_f32 v0, v49, v56
	s_delay_alu instid0(VALU_DEP_1) | instskip(SKIP_2) | instid1(VALU_DEP_2)
	v_dual_add_f32 v0, v70, v0 :: v_dual_add_f32 v77, v69, v66
	v_dual_mul_f32 v66, v49, v57 :: v_dual_mul_f32 v57, v55, v3
	v_mul_f32_e32 v49, v54, v3
	v_fma_f32 v48, v48, v56, -v66
	s_delay_alu instid0(VALU_DEP_3) | instskip(SKIP_1) | instid1(VALU_DEP_2)
	v_fma_f32 v56, v54, v2, -v57
	v_mul_f32_e32 v57, v55, v59
	v_add_f32_e32 v56, v71, v56
	s_delay_alu instid0(VALU_DEP_4)
	v_add_f32_e32 v48, v67, v48
	ds_load_2addr_b64 v[64:67], v72 offset0:192 offset1:224
	v_mul_f32_e32 v72, v54, v59
	ds_load_2addr_b64 v[68:71], v73 offset0:192 offset1:224
	v_mul_f32_e32 v73, v51, v3
	v_fma_f32 v54, v54, v58, -v57
	v_add_f32_e32 v53, v75, v53
	v_fmac_f32_e32 v72, v55, v58
	v_fmac_f32_e32 v49, v55, v2
	s_delay_alu instid0(VALU_DEP_4) | instskip(NEXT) | instid1(VALU_DEP_3)
	v_dual_mul_f32 v3, v50, v3 :: v_dual_add_f32 v52, v52, v54
	v_dual_mul_f32 v54, v51, v59 :: v_dual_add_f32 v57, v74, v72
	v_add_nc_u32_e32 v72, 0x1000, v41
	v_fma_f32 v55, v50, v2, -v73
	s_delay_alu instid0(VALU_DEP_1) | instskip(SKIP_3) | instid1(VALU_DEP_2)
	v_dual_fmac_f32 v3, v51, v2 :: v_dual_add_f32 v2, v53, v55
	v_mul_f32_e32 v53, v50, v59
	v_fma_f32 v50, v50, v58, -v54
	s_waitcnt lgkmcnt(1)
	v_dual_mul_f32 v54, v61, v65 :: v_dual_fmac_f32 v53, v51, v58
	s_delay_alu instid0(VALU_DEP_2) | instskip(NEXT) | instid1(VALU_DEP_2)
	v_add_f32_e32 v48, v48, v50
	v_fma_f32 v50, v60, v64, -v54
	s_waitcnt lgkmcnt(0)
	v_mul_f32_e32 v51, v61, v69
	v_add_f32_e32 v0, v0, v53
	v_mul_f32_e32 v53, v60, v69
	v_add_f32_e32 v54, v56, v50
	s_delay_alu instid0(VALU_DEP_4) | instskip(SKIP_1) | instid1(VALU_DEP_2)
	v_fma_f32 v50, v60, v68, -v51
	v_mul_f32_e32 v51, v44, v69
	v_dual_add_f32 v58, v52, v50 :: v_dual_add_f32 v1, v1, v3
	v_mul_f32_e32 v3, v60, v65
	v_mul_f32_e32 v50, v45, v69
	v_add_f32_e32 v49, v77, v49
	v_fmac_f32_e32 v51, v45, v68
	s_delay_alu instid0(VALU_DEP_4) | instskip(NEXT) | instid1(VALU_DEP_1)
	v_fmac_f32_e32 v3, v61, v64
	v_dual_add_f32 v56, v49, v3 :: v_dual_mul_f32 v49, v44, v65
	v_mul_f32_e32 v3, v45, v65
	s_delay_alu instid0(VALU_DEP_2) | instskip(NEXT) | instid1(VALU_DEP_2)
	v_fmac_f32_e32 v49, v45, v64
	v_fma_f32 v3, v44, v64, -v3
	v_fma_f32 v44, v44, v68, -v50
	s_delay_alu instid0(VALU_DEP_3) | instskip(SKIP_1) | instid1(VALU_DEP_4)
	v_dual_add_f32 v64, v0, v51 :: v_dual_add_f32 v45, v1, v49
	v_mul_f32_e32 v1, v63, v67
	v_add_f32_e32 v60, v2, v3
	s_delay_alu instid0(VALU_DEP_4) | instskip(NEXT) | instid1(VALU_DEP_3)
	v_add_f32_e32 v44, v48, v44
	v_fma_f32 v52, v62, v66, -v1
	ds_load_2addr_b64 v[0:3], v72 offset1:32
	ds_load_b128 v[48:51], v39 offset:128
	v_fmac_f32_e32 v53, v61, v68
	v_add_nc_u32_e32 v73, 0x1000, v43
	v_mul_f32_e32 v61, v62, v71
	v_add_f32_e32 v65, v54, v52
	v_mul_f32_e32 v59, v62, v67
	v_add_f32_e32 v57, v57, v53
	v_mul_f32_e32 v53, v63, v71
	v_mul_f32_e32 v68, v47, v67
	v_fmac_f32_e32 v61, v63, v70
	v_fmac_f32_e32 v59, v63, v66
	s_delay_alu instid0(VALU_DEP_4)
	v_fma_f32 v62, v62, v70, -v53
	ds_load_2addr_b64 v[52:55], v73 offset1:32
	v_dual_add_f32 v69, v56, v59 :: v_dual_add_f32 v74, v58, v62
	v_fma_f32 v62, v46, v66, -v68
	v_add_f32_e32 v68, v57, v61
	ds_load_b128 v[56:59], v39 offset:4224
	s_waitcnt lgkmcnt(2)
	v_dual_mul_f32 v76, v49, v1 :: v_dual_add_f32 v75, v60, v62
	ds_load_b128 v[60:63], v39 offset:144
	v_mul_f32_e32 v67, v46, v67
	s_delay_alu instid0(VALU_DEP_1) | instskip(SKIP_2) | instid1(VALU_DEP_2)
	v_fmac_f32_e32 v67, v47, v66
	v_mul_f32_e32 v66, v47, v71
	v_mul_f32_e32 v71, v46, v71
	v_fma_f32 v46, v46, v70, -v66
	s_delay_alu instid0(VALU_DEP_2) | instskip(SKIP_2) | instid1(VALU_DEP_4)
	v_dual_add_f32 v66, v45, v67 :: v_dual_fmac_f32 v71, v47, v70
	v_fma_f32 v45, v48, v0, -v76
	v_mul_f32_e32 v67, v48, v1
	v_add_f32_e32 v70, v44, v46
	s_waitcnt lgkmcnt(2)
	v_dual_mul_f32 v44, v49, v53 :: v_dual_add_f32 v71, v64, v71
	v_add_f32_e32 v76, v65, v45
	v_mul_f32_e32 v64, v48, v53
	s_waitcnt lgkmcnt(1)
	v_mul_f32_e32 v65, v57, v1
	v_fma_f32 v48, v48, v52, -v44
	ds_load_b128 v[44:47], v39 offset:4240
	v_mul_f32_e32 v1, v56, v1
	v_fmac_f32_e32 v67, v49, v0
	v_fmac_f32_e32 v64, v49, v52
	v_fma_f32 v49, v56, v0, -v65
	v_mul_f32_e32 v65, v57, v53
	v_dual_fmac_f32 v1, v57, v0 :: v_dual_mul_f32 v0, v56, v53
	s_delay_alu instid0(VALU_DEP_3) | instskip(NEXT) | instid1(VALU_DEP_3)
	v_dual_add_f32 v48, v74, v48 :: v_dual_add_f32 v49, v75, v49
	v_fma_f32 v53, v56, v52, -v65
	v_mul_f32_e32 v56, v51, v3
	s_delay_alu instid0(VALU_DEP_4) | instskip(SKIP_2) | instid1(VALU_DEP_4)
	v_dual_fmac_f32 v0, v57, v52 :: v_dual_mul_f32 v57, v51, v55
	v_mul_f32_e32 v52, v50, v3
	v_mul_f32_e32 v75, v50, v55
	v_fma_f32 v56, v50, v2, -v56
	v_add_f32_e32 v53, v70, v53
	v_fma_f32 v50, v50, v54, -v57
	v_add_f32_e32 v74, v68, v64
	v_add_f32_e32 v0, v71, v0
	v_fmac_f32_e32 v52, v51, v2
	v_add_f32_e32 v56, v76, v56
	v_add_f32_e32 v48, v48, v50
	v_mul_f32_e32 v50, v59, v55
	v_mul_f32_e32 v76, v59, v3
	v_fmac_f32_e32 v75, v51, v54
	v_mul_f32_e32 v3, v58, v3
	s_delay_alu instid0(VALU_DEP_4) | instskip(NEXT) | instid1(VALU_DEP_4)
	v_fma_f32 v50, v58, v54, -v50
	v_fma_f32 v51, v58, v2, -v76
	s_delay_alu instid0(VALU_DEP_3) | instskip(NEXT) | instid1(VALU_DEP_3)
	v_fmac_f32_e32 v3, v59, v2
	v_add_f32_e32 v50, v53, v50
	v_add_f32_e32 v77, v69, v67
	ds_load_2addr_b64 v[68:71], v73 offset0:64 offset1:96
	v_add_f32_e32 v1, v66, v1
	ds_load_2addr_b64 v[64:67], v72 offset0:64 offset1:96
	v_add_f32_e32 v2, v49, v51
	v_dual_mul_f32 v49, v58, v55 :: v_dual_add_f32 v52, v77, v52
	v_add_f32_e32 v1, v1, v3
	s_delay_alu instid0(VALU_DEP_2) | instskip(NEXT) | instid1(VALU_DEP_1)
	v_fmac_f32_e32 v49, v59, v54
	v_add_f32_e32 v55, v0, v49
	s_waitcnt lgkmcnt(1)
	v_mul_f32_e32 v53, v61, v69
	v_mul_f32_e32 v54, v60, v69
	s_waitcnt lgkmcnt(0)
	v_mul_f32_e32 v3, v60, v65
	v_mul_f32_e32 v51, v61, v65
	;; [unrolled: 1-line block ×3, first 2 shown]
	v_fma_f32 v0, v60, v68, -v53
	v_fmac_f32_e32 v54, v61, v68
	v_fmac_f32_e32 v3, v61, v64
	v_fma_f32 v51, v60, v64, -v51
	v_fmac_f32_e32 v49, v45, v64
	v_dual_add_f32 v59, v48, v0 :: v_dual_mul_f32 v0, v45, v69
	s_delay_alu instid0(VALU_DEP_4) | instskip(SKIP_2) | instid1(VALU_DEP_4)
	v_dual_add_f32 v58, v52, v3 :: v_dual_mul_f32 v3, v45, v65
	v_mul_f32_e32 v52, v44, v69
	v_add_f32_e32 v56, v56, v51
	v_fma_f32 v0, v44, v68, -v0
	v_mul_f32_e32 v61, v62, v67
	v_fma_f32 v3, v44, v64, -v3
	v_add_f32_e32 v64, v1, v49
	v_fmac_f32_e32 v52, v45, v68
	v_dual_add_f32 v45, v50, v0 :: v_dual_mul_f32 v44, v63, v67
	s_delay_alu instid0(VALU_DEP_4)
	v_add_f32_e32 v60, v2, v3
	ds_load_2addr_b64 v[0:3], v72 offset0:128 offset1:160
	ds_load_b128 v[48:51], v39 offset:160
	v_mul_f32_e32 v53, v63, v71
	v_fmac_f32_e32 v61, v63, v66
	v_fma_f32 v44, v62, v66, -v44
	v_dual_mul_f32 v68, v62, v71 :: v_dual_add_f32 v65, v55, v52
	s_delay_alu instid0(VALU_DEP_2) | instskip(SKIP_2) | instid1(VALU_DEP_4)
	v_dual_add_f32 v69, v58, v61 :: v_dual_add_f32 v44, v56, v44
	v_fma_f32 v56, v62, v70, -v53
	v_mul_f32_e32 v62, v47, v67
	v_dual_mul_f32 v67, v46, v67 :: v_dual_fmac_f32 v68, v63, v70
	s_delay_alu instid0(VALU_DEP_2) | instskip(NEXT) | instid1(VALU_DEP_2)
	v_fma_f32 v61, v46, v66, -v62
	v_fmac_f32_e32 v67, v47, v66
	v_mul_f32_e32 v66, v47, v71
	s_waitcnt lgkmcnt(0)
	v_dual_mul_f32 v71, v46, v71 :: v_dual_mul_f32 v76, v49, v1
	s_delay_alu instid0(VALU_DEP_3) | instskip(SKIP_1) | instid1(VALU_DEP_3)
	v_add_f32_e32 v64, v64, v67
	v_add_f32_e32 v57, v74, v75
	v_fmac_f32_e32 v71, v47, v70
	v_fma_f32 v46, v46, v70, -v66
	v_fma_f32 v47, v48, v0, -v76
	v_add_f32_e32 v74, v59, v56
	v_mul_f32_e32 v66, v48, v1
	v_add_f32_e32 v70, v65, v71
	v_add_f32_e32 v67, v45, v46
	;; [unrolled: 1-line block ×4, first 2 shown]
	ds_load_2addr_b64 v[52:55], v73 offset0:128 offset1:160
	v_fmac_f32_e32 v66, v49, v0
	v_add_f32_e32 v68, v57, v68
	ds_load_b128 v[56:59], v39 offset:4256
	v_add_f32_e32 v77, v69, v66
	s_waitcnt lgkmcnt(1)
	v_mul_f32_e32 v45, v49, v53
	v_mul_f32_e32 v65, v48, v53
	s_delay_alu instid0(VALU_DEP_2)
	v_fma_f32 v48, v48, v52, -v45
	ds_load_b128 v[44:47], v39 offset:4272
	v_add_f32_e32 v75, v60, v61
	ds_load_b128 v[60:63], v39 offset:176
	s_waitcnt lgkmcnt(2)
	v_mul_f32_e32 v76, v57, v1
	v_mul_f32_e32 v1, v56, v1
	;; [unrolled: 1-line block ×3, first 2 shown]
	v_fmac_f32_e32 v65, v49, v52
	v_add_f32_e32 v48, v74, v48
	v_fma_f32 v49, v56, v0, -v76
	v_dual_fmac_f32 v1, v57, v0 :: v_dual_mul_f32 v0, v56, v53
	v_fma_f32 v53, v56, v52, -v66
	v_mul_f32_e32 v56, v51, v3
	v_add_f32_e32 v74, v68, v65
	s_delay_alu instid0(VALU_DEP_4) | instskip(NEXT) | instid1(VALU_DEP_4)
	v_dual_add_f32 v1, v64, v1 :: v_dual_fmac_f32 v0, v57, v52
	v_add_f32_e32 v53, v67, v53
	s_delay_alu instid0(VALU_DEP_4)
	v_fma_f32 v56, v50, v2, -v56
	ds_load_2addr_b64 v[64:67], v72 offset0:192 offset1:224
	v_dual_mul_f32 v57, v51, v55 :: v_dual_add_f32 v0, v70, v0
	v_mul_f32_e32 v52, v50, v3
	v_add_f32_e32 v56, v71, v56
	ds_load_2addr_b64 v[68:71], v73 offset0:192 offset1:224
	v_mul_f32_e32 v72, v50, v55
	v_mul_f32_e32 v73, v59, v3
	v_fma_f32 v50, v50, v54, -v57
	v_mul_f32_e32 v3, v58, v3
	v_add_f32_e32 v49, v75, v49
	v_fmac_f32_e32 v52, v51, v2
	v_fmac_f32_e32 v72, v51, v54
	v_fma_f32 v51, v58, v2, -v73
	v_add_f32_e32 v48, v48, v50
	v_mul_f32_e32 v50, v59, v55
	v_fmac_f32_e32 v3, v59, v2
	s_delay_alu instid0(VALU_DEP_4) | instskip(SKIP_1) | instid1(VALU_DEP_4)
	v_dual_add_f32 v57, v74, v72 :: v_dual_add_f32 v2, v49, v51
	v_mul_f32_e32 v49, v58, v55
	v_fma_f32 v50, v58, v54, -v50
	s_waitcnt lgkmcnt(1)
	v_mul_f32_e32 v51, v61, v65
	v_add_f32_e32 v1, v1, v3
	v_mul_f32_e32 v3, v60, v65
	v_add_nc_u32_e32 v72, 0x1800, v41
	v_add_f32_e32 v52, v77, v52
	v_add_f32_e32 v50, v53, v50
	v_fma_f32 v51, v60, v64, -v51
	s_waitcnt lgkmcnt(0)
	v_mul_f32_e32 v53, v61, v69
	v_fmac_f32_e32 v3, v61, v64
	v_fmac_f32_e32 v49, v59, v54
	v_add_nc_u32_e32 v73, 0x1800, v43
	v_add_f32_e32 v54, v56, v51
	v_fma_f32 v51, v60, v68, -v53
	v_add_f32_e32 v56, v52, v3
	v_mul_f32_e32 v52, v44, v65
	v_add_f32_e32 v0, v0, v49
	v_mul_f32_e32 v49, v60, v69
	v_dual_mul_f32 v3, v45, v65 :: v_dual_add_f32 v58, v48, v51
	v_mul_f32_e32 v48, v45, v69
	v_dual_mul_f32 v51, v44, v69 :: v_dual_fmac_f32 v52, v45, v64
	s_delay_alu instid0(VALU_DEP_4) | instskip(NEXT) | instid1(VALU_DEP_4)
	v_fmac_f32_e32 v49, v61, v68
	v_fma_f32 v3, v44, v64, -v3
	s_delay_alu instid0(VALU_DEP_4) | instskip(NEXT) | instid1(VALU_DEP_4)
	v_fma_f32 v44, v44, v68, -v48
	v_fmac_f32_e32 v51, v45, v68
	v_add_f32_e32 v45, v1, v52
	v_mul_f32_e32 v1, v63, v67
	v_dual_add_f32 v57, v57, v49 :: v_dual_add_f32 v60, v2, v3
	v_add_f32_e32 v44, v50, v44
	v_add_f32_e32 v64, v0, v51
	s_delay_alu instid0(VALU_DEP_4)
	v_fma_f32 v52, v62, v66, -v1
	v_mul_f32_e32 v53, v63, v71
	ds_load_2addr_b64 v[0:3], v72 offset1:32
	ds_load_b128 v[48:51], v39 offset:192
	v_mul_f32_e32 v59, v62, v67
	v_mul_f32_e32 v61, v62, v71
	v_add_f32_e32 v65, v54, v52
	v_fma_f32 v62, v62, v70, -v53
	ds_load_2addr_b64 v[52:55], v73 offset1:32
	v_mul_f32_e32 v68, v47, v67
	v_mul_f32_e32 v67, v46, v67
	v_fmac_f32_e32 v59, v63, v66
	v_add_f32_e32 v74, v58, v62
	v_fmac_f32_e32 v61, v63, v70
	v_fma_f32 v62, v46, v66, -v68
	v_fmac_f32_e32 v67, v47, v66
	v_mul_f32_e32 v66, v47, v71
	s_delay_alu instid0(VALU_DEP_4) | instskip(NEXT) | instid1(VALU_DEP_4)
	v_dual_mul_f32 v71, v46, v71 :: v_dual_add_f32 v68, v57, v61
	v_add_f32_e32 v75, v60, v62
	ds_load_b128 v[60:63], v39 offset:208
	v_fma_f32 v46, v46, v70, -v66
	v_add_f32_e32 v66, v45, v67
	s_waitcnt lgkmcnt(2)
	v_dual_mul_f32 v76, v49, v1 :: v_dual_fmac_f32 v71, v47, v70
	v_mul_f32_e32 v67, v48, v1
	v_add_f32_e32 v70, v44, v46
	s_delay_alu instid0(VALU_DEP_3) | instskip(SKIP_3) | instid1(VALU_DEP_3)
	v_fma_f32 v45, v48, v0, -v76
	s_waitcnt lgkmcnt(1)
	v_dual_mul_f32 v44, v49, v53 :: v_dual_add_f32 v71, v64, v71
	v_mul_f32_e32 v64, v48, v53
	v_add_f32_e32 v76, v65, v45
	s_delay_alu instid0(VALU_DEP_3)
	v_fma_f32 v48, v48, v52, -v44
	ds_load_b128 v[44:47], v39 offset:4304
	v_add_f32_e32 v69, v56, v59
	ds_load_b128 v[56:59], v39 offset:4288
	v_fmac_f32_e32 v67, v49, v0
	v_fmac_f32_e32 v64, v49, v52
	s_delay_alu instid0(VALU_DEP_2) | instskip(SKIP_1) | instid1(VALU_DEP_2)
	v_dual_add_f32 v48, v74, v48 :: v_dual_add_f32 v77, v69, v67
	s_waitcnt lgkmcnt(0)
	v_dual_add_f32 v74, v68, v64 :: v_dual_mul_f32 v65, v57, v1
	v_mul_f32_e32 v1, v56, v1
	s_delay_alu instid0(VALU_DEP_2) | instskip(SKIP_1) | instid1(VALU_DEP_3)
	v_fma_f32 v49, v56, v0, -v65
	v_mul_f32_e32 v65, v57, v53
	v_dual_fmac_f32 v1, v57, v0 :: v_dual_mul_f32 v0, v56, v53
	s_delay_alu instid0(VALU_DEP_3) | instskip(NEXT) | instid1(VALU_DEP_3)
	v_add_f32_e32 v49, v75, v49
	v_fma_f32 v53, v56, v52, -v65
	v_mul_f32_e32 v56, v51, v3
	s_delay_alu instid0(VALU_DEP_4)
	v_dual_fmac_f32 v0, v57, v52 :: v_dual_add_f32 v1, v66, v1
	ds_load_2addr_b64 v[64:67], v72 offset0:64 offset1:96
	v_add_f32_e32 v53, v70, v53
	v_fma_f32 v56, v50, v2, -v56
	v_add_f32_e32 v0, v71, v0
	v_mul_f32_e32 v57, v51, v55
	ds_load_2addr_b64 v[68:71], v73 offset0:64 offset1:96
	v_mul_f32_e32 v52, v50, v3
	v_dual_add_f32 v56, v76, v56 :: v_dual_mul_f32 v75, v50, v55
	v_mul_f32_e32 v76, v59, v3
	v_fma_f32 v50, v50, v54, -v57
	s_delay_alu instid0(VALU_DEP_4) | instskip(NEXT) | instid1(VALU_DEP_4)
	v_dual_fmac_f32 v52, v51, v2 :: v_dual_mul_f32 v3, v58, v3
	v_fmac_f32_e32 v75, v51, v54
	s_delay_alu instid0(VALU_DEP_4) | instskip(NEXT) | instid1(VALU_DEP_4)
	v_fma_f32 v51, v58, v2, -v76
	v_add_f32_e32 v48, v48, v50
	v_mul_f32_e32 v50, v59, v55
	v_dual_fmac_f32 v3, v59, v2 :: v_dual_add_f32 v52, v77, v52
	s_delay_alu instid0(VALU_DEP_4) | instskip(SKIP_1) | instid1(VALU_DEP_4)
	v_add_f32_e32 v2, v49, v51
	v_mul_f32_e32 v49, v58, v55
	v_fma_f32 v50, v58, v54, -v50
	s_delay_alu instid0(VALU_DEP_4)
	v_add_f32_e32 v1, v1, v3
	s_waitcnt lgkmcnt(1)
	v_mul_f32_e32 v3, v60, v65
	v_mul_f32_e32 v51, v61, v65
	v_fmac_f32_e32 v49, v59, v54
	v_add_f32_e32 v50, v53, v50
	s_waitcnt lgkmcnt(0)
	v_mul_f32_e32 v53, v61, v69
	v_fmac_f32_e32 v3, v61, v64
	v_fma_f32 v51, v60, v64, -v51
	v_add_f32_e32 v55, v0, v49
	v_mul_f32_e32 v54, v60, v69
	v_fma_f32 v0, v60, v68, -v53
	v_dual_add_f32 v58, v52, v3 :: v_dual_mul_f32 v3, v45, v65
	v_mul_f32_e32 v49, v44, v65
	v_mul_f32_e32 v52, v44, v69
	s_delay_alu instid0(VALU_DEP_4) | instskip(NEXT) | instid1(VALU_DEP_4)
	v_dual_add_f32 v59, v48, v0 :: v_dual_mul_f32 v0, v45, v69
	v_fma_f32 v3, v44, v64, -v3
	v_add_f32_e32 v56, v56, v51
	v_dual_fmac_f32 v54, v61, v68 :: v_dual_mul_f32 v61, v62, v67
	s_delay_alu instid0(VALU_DEP_4) | instskip(SKIP_4) | instid1(VALU_DEP_4)
	v_fma_f32 v0, v44, v68, -v0
	v_mul_f32_e32 v44, v63, v67
	v_mul_f32_e32 v53, v63, v71
	v_mul_f32_e32 v65, v62, v71
	v_dual_fmac_f32 v61, v63, v66 :: v_dual_fmac_f32 v52, v45, v68
	v_fma_f32 v44, v62, v66, -v44
	v_dual_fmac_f32 v49, v45, v64 :: v_dual_add_f32 v60, v2, v3
	s_delay_alu instid0(VALU_DEP_3) | instskip(NEXT) | instid1(VALU_DEP_3)
	v_dual_add_f32 v69, v58, v61 :: v_dual_add_f32 v68, v55, v52
	v_add_f32_e32 v44, v56, v44
	v_fma_f32 v56, v62, v70, -v53
	v_mul_f32_e32 v62, v47, v67
	v_dual_mul_f32 v67, v46, v67 :: v_dual_add_f32 v64, v1, v49
	v_add_f32_e32 v45, v50, v0
	ds_load_2addr_b64 v[0:3], v72 offset0:128 offset1:160
	ds_load_b128 v[48:51], v39 offset:224
	v_fma_f32 v61, v46, v66, -v62
	v_fmac_f32_e32 v67, v47, v66
	v_mul_f32_e32 v66, v47, v71
	v_mul_f32_e32 v71, v46, v71
	s_delay_alu instid0(VALU_DEP_3) | instskip(NEXT) | instid1(VALU_DEP_3)
	v_dual_fmac_f32 v65, v63, v70 :: v_dual_add_f32 v64, v64, v67
	v_fma_f32 v46, v46, v70, -v66
	s_delay_alu instid0(VALU_DEP_3) | instskip(NEXT) | instid1(VALU_DEP_1)
	v_fmac_f32_e32 v71, v47, v70
	v_dual_add_f32 v67, v45, v46 :: v_dual_add_f32 v68, v68, v71
	v_dual_add_f32 v57, v74, v75 :: v_dual_add_f32 v74, v59, v56
	s_delay_alu instid0(VALU_DEP_1) | instskip(SKIP_4) | instid1(VALU_DEP_2)
	v_add_f32_e32 v57, v57, v54
	ds_load_2addr_b64 v[52:55], v73 offset0:128 offset1:160
	s_waitcnt lgkmcnt(1)
	v_mul_f32_e32 v76, v49, v1
	v_mul_f32_e32 v66, v48, v1
	v_fma_f32 v47, v48, v0, -v76
	s_delay_alu instid0(VALU_DEP_2) | instskip(NEXT) | instid1(VALU_DEP_2)
	v_fmac_f32_e32 v66, v49, v0
	v_add_f32_e32 v70, v44, v47
	s_delay_alu instid0(VALU_DEP_2) | instskip(SKIP_3) | instid1(VALU_DEP_2)
	v_add_f32_e32 v76, v69, v66
	s_waitcnt lgkmcnt(0)
	v_mul_f32_e32 v45, v49, v53
	v_mul_f32_e32 v71, v48, v53
	v_fma_f32 v48, v48, v52, -v45
	ds_load_b128 v[44:47], v39 offset:4336
	v_add_f32_e32 v65, v57, v65
	ds_load_b128 v[56:59], v39 offset:4320
	v_add_f32_e32 v75, v60, v61
	ds_load_b128 v[60:63], v39 offset:240
	v_fmac_f32_e32 v71, v49, v52
	v_add_f32_e32 v48, v74, v48
	s_delay_alu instid0(VALU_DEP_2) | instskip(SKIP_4) | instid1(VALU_DEP_3)
	v_add_f32_e32 v74, v65, v71
	s_waitcnt lgkmcnt(1)
	v_mul_f32_e32 v66, v57, v1
	v_mul_f32_e32 v1, v56, v1
	;; [unrolled: 1-line block ×3, first 2 shown]
	v_fma_f32 v66, v56, v0, -v66
	s_delay_alu instid0(VALU_DEP_3) | instskip(NEXT) | instid1(VALU_DEP_3)
	v_dual_fmac_f32 v1, v57, v0 :: v_dual_mul_f32 v0, v56, v53
	v_fma_f32 v49, v56, v52, -v49
	v_mul_f32_e32 v56, v51, v3
	s_delay_alu instid0(VALU_DEP_4) | instskip(NEXT) | instid1(VALU_DEP_4)
	v_add_f32_e32 v53, v75, v66
	v_dual_add_f32 v1, v64, v1 :: v_dual_fmac_f32 v0, v57, v52
	s_delay_alu instid0(VALU_DEP_4) | instskip(NEXT) | instid1(VALU_DEP_4)
	v_add_f32_e32 v49, v67, v49
	v_fma_f32 v56, v50, v2, -v56
	ds_load_2addr_b64 v[64:67], v72 offset0:192 offset1:224
	v_dual_mul_f32 v57, v51, v55 :: v_dual_add_f32 v0, v68, v0
	v_mul_f32_e32 v52, v50, v3
	v_add_f32_e32 v56, v70, v56
	ds_load_2addr_b64 v[68:71], v73 offset0:192 offset1:224
	v_mul_f32_e32 v72, v50, v55
	v_fma_f32 v50, v50, v54, -v57
	v_mul_f32_e32 v57, v59, v3
	v_dual_fmac_f32 v52, v51, v2 :: v_dual_mul_f32 v3, v58, v3
	s_delay_alu instid0(VALU_DEP_4) | instskip(NEXT) | instid1(VALU_DEP_4)
	v_fmac_f32_e32 v72, v51, v54
	v_add_f32_e32 v48, v48, v50
	s_delay_alu instid0(VALU_DEP_4) | instskip(SKIP_3) | instid1(VALU_DEP_4)
	v_fma_f32 v50, v58, v2, -v57
	v_mul_f32_e32 v51, v59, v55
	v_fmac_f32_e32 v3, v59, v2
	v_dual_mul_f32 v55, v58, v55 :: v_dual_add_f32 v52, v76, v52
	v_add_f32_e32 v2, v53, v50
	s_delay_alu instid0(VALU_DEP_4)
	v_fma_f32 v50, v58, v54, -v51
	s_waitcnt lgkmcnt(1)
	v_mul_f32_e32 v51, v61, v65
	v_fmac_f32_e32 v55, v59, v54
	v_add_f32_e32 v1, v1, v3
	v_mul_f32_e32 v3, v60, v65
	v_add_f32_e32 v49, v49, v50
	v_fma_f32 v50, v60, v64, -v51
	s_waitcnt lgkmcnt(0)
	v_mul_f32_e32 v51, v61, v69
	v_mul_f32_e32 v54, v45, v65
	v_dual_fmac_f32 v3, v61, v64 :: v_dual_add_f32 v0, v0, v55
	v_mul_f32_e32 v55, v62, v67
	s_delay_alu instid0(VALU_DEP_4) | instskip(NEXT) | instid1(VALU_DEP_4)
	v_fma_f32 v51, v60, v68, -v51
	v_fma_f32 v54, v44, v64, -v54
	s_delay_alu instid0(VALU_DEP_4)
	v_add_f32_e32 v3, v52, v3
	v_mul_f32_e32 v52, v44, v65
	v_mul_f32_e32 v53, v60, v69
	v_dual_add_f32 v48, v48, v51 :: v_dual_mul_f32 v51, v45, v69
	v_add_f32_e32 v2, v2, v54
	v_mul_f32_e32 v54, v44, v69
	v_add_f32_e32 v50, v56, v50
	v_fmac_f32_e32 v52, v45, v64
	v_fma_f32 v44, v44, v68, -v51
	s_delay_alu instid0(VALU_DEP_4) | instskip(SKIP_2) | instid1(VALU_DEP_4)
	v_dual_mul_f32 v51, v63, v67 :: v_dual_fmac_f32 v54, v45, v68
	v_fmac_f32_e32 v55, v63, v66
	v_add_f32_e32 v57, v74, v72
	v_add_f32_e32 v44, v49, v44
	s_delay_alu instid0(VALU_DEP_4)
	v_fma_f32 v45, v62, v66, -v51
	v_mul_f32_e32 v49, v63, v71
	v_fmac_f32_e32 v53, v61, v68
	v_dual_add_f32 v1, v1, v52 :: v_dual_mul_f32 v52, v62, v71
	v_add_f32_e32 v0, v0, v54
	v_dual_add_f32 v50, v50, v45 :: v_dual_add_f32 v51, v3, v55
	v_fma_f32 v3, v62, v70, -v49
	v_mul_f32_e32 v45, v47, v67
	v_mul_f32_e32 v54, v46, v67
	;; [unrolled: 1-line block ×4, first 2 shown]
	v_dual_add_f32 v53, v57, v53 :: v_dual_fmac_f32 v52, v63, v70
	s_delay_alu instid0(VALU_DEP_4)
	v_fmac_f32_e32 v54, v47, v66
	v_add_f32_e32 v48, v48, v3
	v_fma_f32 v3, v46, v66, -v45
	v_fma_f32 v45, v46, v70, -v49
	v_fmac_f32_e32 v55, v47, v70
	v_add_f32_e32 v49, v53, v52
	s_delay_alu instid0(VALU_DEP_4) | instskip(NEXT) | instid1(VALU_DEP_4)
	v_dual_add_f32 v47, v1, v54 :: v_dual_add_f32 v46, v2, v3
	v_add_f32_e32 v45, v44, v45
	s_delay_alu instid0(VALU_DEP_4)
	v_add_f32_e32 v44, v0, v55
	s_barrier
	buffer_gl0_inv
	s_cbranch_scc1 .LBB94_55
.LBB94_7:                               ;   Parent Loop BB94_4 Depth=1
                                        ; =>  This Inner Loop Header: Depth=2
	v_add_co_u32 v0, s5, v10, s30
	s_delay_alu instid0(VALU_DEP_1) | instskip(SKIP_1) | instid1(VALU_DEP_2)
	v_add_co_ci_u32_e64 v1, s5, s31, v11, s5
	v_cmp_eq_u64_e64 s7, s[30:31], v[18:19]
	v_cmp_lt_i64_e64 s5, v[0:1], v[16:17]
	v_cmp_le_i64_e64 s6, s[10:11], v[0:1]
	s_delay_alu instid0(VALU_DEP_3) | instskip(SKIP_1) | instid1(VALU_DEP_3)
	s_and_b32 s43, s40, s7
	v_add_co_u32 v2, s7, v24, v20
	s_or_b32 s8, s3, s5
	v_add_co_ci_u32_e64 v3, s7, v25, v21, s7
	s_delay_alu instid0(VALU_DEP_3) | instskip(NEXT) | instid1(SALU_CYCLE_1)
	s_or_b32 s8, s6, s8
	s_or_b32 s7, s8, s43
	s_delay_alu instid0(SALU_CYCLE_1) | instskip(NEXT) | instid1(SALU_CYCLE_1)
	s_xor_b32 s7, s7, -1
	s_and_saveexec_b32 s8, s7
	s_delay_alu instid0(SALU_CYCLE_1)
	s_xor_b32 s7, exec_lo, s8
	s_cbranch_execz .LBB94_9
; %bb.8:                                ;   in Loop: Header=BB94_7 Depth=2
	global_load_b64 v[52:53], v[2:3], off
	s_waitcnt vmcnt(0)
	v_xor_b32_e32 v53, 0x80000000, v53
	ds_store_b64 v40, v[52:53]
.LBB94_9:                               ;   in Loop: Header=BB94_7 Depth=2
	s_or_saveexec_b32 s7, s7
	s_xor_b32 s42, s43, -1
	s_xor_b32 exec_lo, exec_lo, s7
	s_cbranch_execz .LBB94_15
; %bb.10:                               ;   in Loop: Header=BB94_7 Depth=2
	s_and_saveexec_b32 s8, s42
	s_delay_alu instid0(SALU_CYCLE_1)
	s_xor_b32 s8, exec_lo, s8
	s_cbranch_execz .LBB94_12
; %bb.11:                               ;   in Loop: Header=BB94_7 Depth=2
	v_mov_b32_e32 v52, v15
	v_mov_b32_e32 v53, v15
	ds_store_b64 v40, v[52:53]
.LBB94_12:                              ;   in Loop: Header=BB94_7 Depth=2
	s_and_not1_saveexec_b32 s8, s8
	s_cbranch_execz .LBB94_14
; %bb.13:                               ;   in Loop: Header=BB94_7 Depth=2
	ds_store_b64 v40, v[14:15]
.LBB94_14:                              ;   in Loop: Header=BB94_7 Depth=2
	s_or_b32 exec_lo, exec_lo, s8
.LBB94_15:                              ;   in Loop: Header=BB94_7 Depth=2
	s_delay_alu instid0(SALU_CYCLE_1) | instskip(SKIP_1) | instid1(VALU_DEP_1)
	s_or_b32 exec_lo, exec_lo, s7
	v_add_co_u32 v52, s7, v0, 16
	v_add_co_ci_u32_e64 v53, s7, 0, v1, s7
	v_cmp_eq_u64_e64 s9, s[30:31], v[34:35]
	s_delay_alu instid0(VALU_DEP_2) | instskip(SKIP_1) | instid1(VALU_DEP_3)
	v_cmp_lt_i64_e64 s8, v[52:53], v[16:17]
	v_cmp_le_i64_e64 s7, s[10:11], v[52:53]
	s_and_b32 s9, s40, s9
	s_delay_alu instid0(VALU_DEP_2)
	s_or_b32 s8, s3, s8
	s_delay_alu instid0(VALU_DEP_1) | instid1(SALU_CYCLE_1)
	s_or_b32 s8, s7, s8
	s_delay_alu instid0(SALU_CYCLE_1) | instskip(NEXT) | instid1(SALU_CYCLE_1)
	s_or_b32 s8, s8, s9
	s_xor_b32 s8, s8, -1
	s_delay_alu instid0(SALU_CYCLE_1) | instskip(NEXT) | instid1(SALU_CYCLE_1)
	s_and_saveexec_b32 s45, s8
	s_xor_b32 s45, exec_lo, s45
	s_cbranch_execz .LBB94_17
; %bb.16:                               ;   in Loop: Header=BB94_7 Depth=2
	v_add_co_u32 v52, s8, v22, v20
	s_delay_alu instid0(VALU_DEP_1)
	v_add_co_ci_u32_e64 v53, s8, v23, v21, s8
	global_load_b64 v[52:53], v[52:53], off
	s_waitcnt vmcnt(0)
	v_xor_b32_e32 v53, 0x80000000, v53
	ds_store_b64 v40, v[52:53] offset:128
.LBB94_17:                              ;   in Loop: Header=BB94_7 Depth=2
	s_and_not1_saveexec_b32 s8, s45
	s_cbranch_execz .LBB94_23
; %bb.18:                               ;   in Loop: Header=BB94_7 Depth=2
	s_xor_b32 s9, s9, -1
	s_delay_alu instid0(SALU_CYCLE_1) | instskip(NEXT) | instid1(SALU_CYCLE_1)
	s_and_saveexec_b32 s45, s9
	s_xor_b32 s9, exec_lo, s45
	s_cbranch_execz .LBB94_20
; %bb.19:                               ;   in Loop: Header=BB94_7 Depth=2
	v_mov_b32_e32 v52, v15
	v_mov_b32_e32 v53, v15
	ds_store_b64 v40, v[52:53] offset:128
.LBB94_20:                              ;   in Loop: Header=BB94_7 Depth=2
	s_and_not1_saveexec_b32 s9, s9
	s_cbranch_execz .LBB94_22
; %bb.21:                               ;   in Loop: Header=BB94_7 Depth=2
	ds_store_b64 v40, v[14:15] offset:128
.LBB94_22:                              ;   in Loop: Header=BB94_7 Depth=2
	s_or_b32 exec_lo, exec_lo, s9
.LBB94_23:                              ;   in Loop: Header=BB94_7 Depth=2
	s_delay_alu instid0(SALU_CYCLE_1) | instskip(SKIP_2) | instid1(VALU_DEP_2)
	s_or_b32 exec_lo, exec_lo, s8
	v_cmp_eq_u64_e64 s8, s[30:31], v[32:33]
	v_cmp_lt_i64_e64 s9, v[0:1], v[30:31]
	s_and_b32 s8, s40, s8
	s_delay_alu instid0(VALU_DEP_1) | instskip(NEXT) | instid1(SALU_CYCLE_1)
	s_or_b32 s9, s4, s9
	s_or_b32 s9, s9, s8
	s_delay_alu instid0(SALU_CYCLE_1) | instskip(NEXT) | instid1(SALU_CYCLE_1)
	s_or_b32 s6, s6, s9
	s_xor_b32 s6, s6, -1
	s_delay_alu instid0(SALU_CYCLE_1) | instskip(NEXT) | instid1(SALU_CYCLE_1)
	s_and_saveexec_b32 s9, s6
	s_xor_b32 s6, exec_lo, s9
	s_cbranch_execz .LBB94_25
; %bb.24:                               ;   in Loop: Header=BB94_7 Depth=2
	global_load_b64 v[0:1], v[2:3], off offset:128
	s_waitcnt vmcnt(0)
	v_xor_b32_e32 v1, 0x80000000, v1
	ds_store_b64 v40, v[0:1] offset:4096
.LBB94_25:                              ;   in Loop: Header=BB94_7 Depth=2
	s_and_not1_saveexec_b32 s6, s6
	s_cbranch_execz .LBB94_31
; %bb.26:                               ;   in Loop: Header=BB94_7 Depth=2
	s_xor_b32 s8, s8, -1
	s_delay_alu instid0(SALU_CYCLE_1) | instskip(NEXT) | instid1(SALU_CYCLE_1)
	s_and_saveexec_b32 s9, s8
	s_xor_b32 s8, exec_lo, s9
	s_cbranch_execz .LBB94_28
; %bb.27:                               ;   in Loop: Header=BB94_7 Depth=2
	v_mov_b32_e32 v0, v15
	v_mov_b32_e32 v1, v15
	ds_store_b64 v40, v[0:1] offset:4096
.LBB94_28:                              ;   in Loop: Header=BB94_7 Depth=2
	s_and_not1_saveexec_b32 s8, s8
	s_cbranch_execz .LBB94_30
; %bb.29:                               ;   in Loop: Header=BB94_7 Depth=2
	ds_store_b64 v40, v[14:15] offset:4096
.LBB94_30:                              ;   in Loop: Header=BB94_7 Depth=2
	s_or_b32 exec_lo, exec_lo, s8
.LBB94_31:                              ;   in Loop: Header=BB94_7 Depth=2
	s_delay_alu instid0(SALU_CYCLE_1) | instskip(SKIP_1) | instid1(SALU_CYCLE_1)
	s_or_b32 exec_lo, exec_lo, s6
	s_or_b32 s5, s4, s5
	s_or_b32 s5, s7, s5
	s_delay_alu instid0(SALU_CYCLE_1) | instskip(NEXT) | instid1(SALU_CYCLE_1)
	s_or_b32 s5, s5, s43
	s_xor_b32 s5, s5, -1
	s_delay_alu instid0(SALU_CYCLE_1) | instskip(NEXT) | instid1(SALU_CYCLE_1)
	s_and_saveexec_b32 s6, s5
	s_xor_b32 s6, exec_lo, s6
	s_cbranch_execz .LBB94_33
; %bb.32:                               ;   in Loop: Header=BB94_7 Depth=2
	v_add_co_u32 v0, s5, v22, v20
	s_delay_alu instid0(VALU_DEP_1)
	v_add_co_ci_u32_e64 v1, s5, v23, v21, s5
	global_load_b64 v[0:1], v[0:1], off offset:128
	s_waitcnt vmcnt(0)
	v_xor_b32_e32 v1, 0x80000000, v1
	ds_store_b64 v40, v[0:1] offset:4224
.LBB94_33:                              ;   in Loop: Header=BB94_7 Depth=2
	s_and_not1_saveexec_b32 s5, s6
	s_cbranch_execz .LBB94_39
; %bb.34:                               ;   in Loop: Header=BB94_7 Depth=2
	s_and_saveexec_b32 s6, s42
	s_delay_alu instid0(SALU_CYCLE_1)
	s_xor_b32 s6, exec_lo, s6
	s_cbranch_execz .LBB94_36
; %bb.35:                               ;   in Loop: Header=BB94_7 Depth=2
	v_mov_b32_e32 v0, v15
	v_mov_b32_e32 v1, v15
	ds_store_b64 v40, v[0:1] offset:4224
.LBB94_36:                              ;   in Loop: Header=BB94_7 Depth=2
	s_and_not1_saveexec_b32 s6, s6
	s_cbranch_execz .LBB94_38
; %bb.37:                               ;   in Loop: Header=BB94_7 Depth=2
	ds_store_b64 v40, v[14:15] offset:4224
.LBB94_38:                              ;   in Loop: Header=BB94_7 Depth=2
	s_or_b32 exec_lo, exec_lo, s6
.LBB94_39:                              ;   in Loop: Header=BB94_7 Depth=2
	s_delay_alu instid0(SALU_CYCLE_1) | instskip(SKIP_1) | instid1(VALU_DEP_1)
	s_or_b32 exec_lo, exec_lo, s5
	v_add_co_u32 v0, s5, v12, s30
	v_add_co_ci_u32_e64 v1, s5, s31, v13, s5
	v_add_co_u32 v2, s6, v36, v26
	s_delay_alu instid0(VALU_DEP_1) | instskip(NEXT) | instid1(VALU_DEP_3)
	v_add_co_ci_u32_e64 v3, s6, v37, v27, s6
	v_cmp_le_i64_e64 s5, s[10:11], v[0:1]
	s_delay_alu instid0(VALU_DEP_1) | instskip(NEXT) | instid1(SALU_CYCLE_1)
	s_or_b32 s6, s5, vcc_lo
	s_xor_b32 s6, s6, -1
	s_delay_alu instid0(SALU_CYCLE_1) | instskip(NEXT) | instid1(SALU_CYCLE_1)
	s_and_saveexec_b32 s7, s6
	s_xor_b32 s6, exec_lo, s7
	s_cbranch_execz .LBB94_41
; %bb.40:                               ;   in Loop: Header=BB94_7 Depth=2
	global_load_b64 v[52:53], v[2:3], off offset:-128
	s_waitcnt vmcnt(0)
	ds_store_b64 v42, v[52:53]
.LBB94_41:                              ;   in Loop: Header=BB94_7 Depth=2
	s_and_not1_saveexec_b32 s6, s6
	s_cbranch_execz .LBB94_43
; %bb.42:                               ;   in Loop: Header=BB94_7 Depth=2
	v_mov_b32_e32 v52, v15
	v_mov_b32_e32 v53, v15
	ds_store_b64 v42, v[52:53]
.LBB94_43:                              ;   in Loop: Header=BB94_7 Depth=2
	s_or_b32 exec_lo, exec_lo, s6
	s_or_b32 s5, s5, s0
	s_delay_alu instid0(SALU_CYCLE_1) | instskip(NEXT) | instid1(SALU_CYCLE_1)
	s_xor_b32 s5, s5, -1
	s_and_saveexec_b32 s6, s5
	s_delay_alu instid0(SALU_CYCLE_1)
	s_xor_b32 s5, exec_lo, s6
	s_cbranch_execz .LBB94_45
; %bb.44:                               ;   in Loop: Header=BB94_7 Depth=2
	global_load_b64 v[2:3], v[2:3], off
	s_waitcnt vmcnt(0)
	ds_store_b64 v42, v[2:3] offset:128
.LBB94_45:                              ;   in Loop: Header=BB94_7 Depth=2
	s_and_not1_saveexec_b32 s5, s5
	s_cbranch_execz .LBB94_47
; %bb.46:                               ;   in Loop: Header=BB94_7 Depth=2
	v_mov_b32_e32 v2, v15
	v_mov_b32_e32 v3, v15
	ds_store_b64 v42, v[2:3] offset:128
.LBB94_47:                              ;   in Loop: Header=BB94_7 Depth=2
	s_or_b32 exec_lo, exec_lo, s5
	v_cmp_le_i64_e64 s5, s[28:29], v[0:1]
	s_delay_alu instid0(VALU_DEP_1) | instskip(NEXT) | instid1(SALU_CYCLE_1)
	s_or_b32 s6, s5, vcc_lo
	s_xor_b32 s6, s6, -1
	s_delay_alu instid0(SALU_CYCLE_1) | instskip(NEXT) | instid1(SALU_CYCLE_1)
	s_and_saveexec_b32 s7, s6
	s_xor_b32 s7, exec_lo, s7
	s_cbranch_execz .LBB94_49
; %bb.48:                               ;   in Loop: Header=BB94_7 Depth=2
	v_add_co_u32 v0, s6, v36, v28
	s_delay_alu instid0(VALU_DEP_1)
	v_add_co_ci_u32_e64 v1, s6, v37, v29, s6
	global_load_b64 v[0:1], v[0:1], off offset:-128
	s_waitcnt vmcnt(0)
	ds_store_b64 v42, v[0:1] offset:4096
.LBB94_49:                              ;   in Loop: Header=BB94_7 Depth=2
	s_and_not1_saveexec_b32 s6, s7
	s_cbranch_execz .LBB94_51
; %bb.50:                               ;   in Loop: Header=BB94_7 Depth=2
	v_mov_b32_e32 v0, v15
	v_mov_b32_e32 v1, v15
	ds_store_b64 v42, v[0:1] offset:4096
.LBB94_51:                              ;   in Loop: Header=BB94_7 Depth=2
	s_or_b32 exec_lo, exec_lo, s6
	s_or_b32 s5, s5, s0
	s_delay_alu instid0(SALU_CYCLE_1) | instskip(NEXT) | instid1(SALU_CYCLE_1)
	s_xor_b32 s5, s5, -1
	s_and_saveexec_b32 s6, s5
	s_delay_alu instid0(SALU_CYCLE_1)
	s_xor_b32 s6, exec_lo, s6
	s_cbranch_execz .LBB94_53
; %bb.52:                               ;   in Loop: Header=BB94_7 Depth=2
	v_add_co_u32 v0, s5, v36, v28
	s_delay_alu instid0(VALU_DEP_1)
	v_add_co_ci_u32_e64 v1, s5, v37, v29, s5
	global_load_b64 v[0:1], v[0:1], off
	s_waitcnt vmcnt(0)
	ds_store_b64 v42, v[0:1] offset:4224
.LBB94_53:                              ;   in Loop: Header=BB94_7 Depth=2
	s_and_not1_saveexec_b32 s5, s6
	s_cbranch_execz .LBB94_6
; %bb.54:                               ;   in Loop: Header=BB94_7 Depth=2
	v_mov_b32_e32 v0, v15
	v_mov_b32_e32 v1, v15
	ds_store_b64 v42, v[0:1] offset:4224
	s_branch .LBB94_6
.LBB94_55:                              ;   in Loop: Header=BB94_4 Depth=1
	v_mul_lo_u32 v2, v17, s16
	v_mul_lo_u32 v3, v16, s17
	v_mad_u64_u32 v[0:1], null, v16, s16, 0
	v_cmp_gt_i32_e64 s3, s10, v16
	s_delay_alu instid0(VALU_DEP_2) | instskip(NEXT) | instid1(VALU_DEP_1)
	v_add3_u32 v1, v1, v3, v2
	v_lshlrev_b64 v[0:1], 3, v[0:1]
	s_delay_alu instid0(VALU_DEP_1) | instskip(NEXT) | instid1(VALU_DEP_1)
	v_add_co_u32 v0, s4, s38, v0
	v_add_co_ci_u32_e64 v1, s4, s39, v1, s4
	s_and_b32 s4, s1, s3
	s_delay_alu instid0(SALU_CYCLE_1)
	s_and_saveexec_b32 s5, s4
	s_cbranch_execz .LBB94_57
; %bb.56:                               ;   in Loop: Header=BB94_4 Depth=1
	v_add_co_u32 v2, s4, v0, v6
	s_delay_alu instid0(VALU_DEP_1) | instskip(SKIP_4) | instid1(VALU_DEP_1)
	v_add_co_ci_u32_e64 v3, s4, v1, v7, s4
	v_mul_f32_e32 v13, s34, v51
	global_load_b64 v[17:18], v[2:3], off
	v_fmac_f32_e32 v13, s35, v50
	s_waitcnt vmcnt(0)
	v_dual_mul_f32 v11, s35, v51 :: v_dual_add_f32 v18, v18, v13
	s_delay_alu instid0(VALU_DEP_1) | instskip(NEXT) | instid1(VALU_DEP_1)
	v_fma_f32 v11, v50, s34, -v11
	v_add_f32_e32 v17, v17, v11
	global_store_b64 v[2:3], v[17:18], off
.LBB94_57:                              ;   in Loop: Header=BB94_4 Depth=1
	s_or_b32 exec_lo, exec_lo, s5
	s_and_b32 s3, s2, s3
	s_delay_alu instid0(SALU_CYCLE_1)
	s_and_saveexec_b32 s4, s3
	s_cbranch_execz .LBB94_59
; %bb.58:                               ;   in Loop: Header=BB94_4 Depth=1
	v_lshlrev_b64 v[2:3], 3, v[4:5]
	v_mul_f32_e32 v11, s35, v49
	s_delay_alu instid0(VALU_DEP_1) | instskip(NEXT) | instid1(VALU_DEP_3)
	v_fma_f32 v11, v48, s34, -v11
	v_add_co_u32 v0, s3, v0, v2
	s_delay_alu instid0(VALU_DEP_1) | instskip(SKIP_3) | instid1(VALU_DEP_1)
	v_add_co_ci_u32_e64 v1, s3, v1, v3, s3
	global_load_b64 v[2:3], v[0:1], off
	s_waitcnt vmcnt(0)
	v_dual_mul_f32 v13, s34, v49 :: v_dual_add_f32 v2, v2, v11
	v_fmac_f32_e32 v13, s35, v48
	s_delay_alu instid0(VALU_DEP_1)
	v_add_f32_e32 v3, v3, v13
	global_store_b64 v[0:1], v[2:3], off
.LBB94_59:                              ;   in Loop: Header=BB94_4 Depth=1
	s_or_b32 exec_lo, exec_lo, s4
	v_add_nc_u32_e32 v2, 16, v16
	s_delay_alu instid0(VALU_DEP_1) | instskip(SKIP_3) | instid1(VALU_DEP_4)
	v_ashrrev_i32_e32 v3, 31, v2
	v_mul_lo_u32 v11, v2, s17
	v_mad_u64_u32 v[0:1], null, v2, s16, 0
	v_cmp_gt_i32_e64 s3, s10, v2
	v_mul_lo_u32 v3, v3, s16
	s_delay_alu instid0(VALU_DEP_1) | instskip(NEXT) | instid1(VALU_DEP_1)
	v_add3_u32 v1, v1, v11, v3
	v_lshlrev_b64 v[0:1], 3, v[0:1]
	s_delay_alu instid0(VALU_DEP_1) | instskip(NEXT) | instid1(VALU_DEP_1)
	v_add_co_u32 v0, s4, s38, v0
	v_add_co_ci_u32_e64 v1, s4, s39, v1, s4
	s_and_b32 s4, s1, s3
	s_delay_alu instid0(SALU_CYCLE_1)
	s_and_saveexec_b32 s5, s4
	s_cbranch_execz .LBB94_61
; %bb.60:                               ;   in Loop: Header=BB94_4 Depth=1
	v_add_co_u32 v2, s4, v0, v6
	s_delay_alu instid0(VALU_DEP_1)
	v_add_co_ci_u32_e64 v3, s4, v1, v7, s4
	v_mul_f32_e32 v11, s35, v47
	v_mul_f32_e32 v13, s34, v47
	global_load_b64 v[16:17], v[2:3], off
	v_fma_f32 v11, v46, s34, -v11
	s_waitcnt vmcnt(0)
	s_delay_alu instid0(VALU_DEP_1) | instskip(NEXT) | instid1(VALU_DEP_1)
	v_dual_fmac_f32 v13, s35, v46 :: v_dual_add_f32 v16, v16, v11
	v_add_f32_e32 v17, v17, v13
	global_store_b64 v[2:3], v[16:17], off
.LBB94_61:                              ;   in Loop: Header=BB94_4 Depth=1
	s_or_b32 exec_lo, exec_lo, s5
	s_and_b32 s3, s2, s3
	s_delay_alu instid0(SALU_CYCLE_1)
	s_and_saveexec_b32 s4, s3
	s_cbranch_execz .LBB94_3
; %bb.62:                               ;   in Loop: Header=BB94_4 Depth=1
	v_lshlrev_b64 v[2:3], 3, v[4:5]
	v_mul_f32_e32 v11, s35, v44
	s_delay_alu instid0(VALU_DEP_1) | instskip(NEXT) | instid1(VALU_DEP_3)
	v_fma_f32 v11, v45, s34, -v11
	v_add_co_u32 v0, s3, v0, v2
	s_delay_alu instid0(VALU_DEP_1) | instskip(SKIP_3) | instid1(VALU_DEP_1)
	v_add_co_ci_u32_e64 v1, s3, v1, v3, s3
	global_load_b64 v[2:3], v[0:1], off
	s_waitcnt vmcnt(0)
	v_dual_mul_f32 v13, s34, v44 :: v_dual_add_f32 v2, v2, v11
	v_fmac_f32_e32 v13, s35, v45
	s_delay_alu instid0(VALU_DEP_1)
	v_add_f32_e32 v3, v3, v13
	global_store_b64 v[0:1], v[2:3], off
	s_branch .LBB94_3
.LBB94_63:
	s_nop 0
	s_sendmsg sendmsg(MSG_DEALLOC_VGPRS)
	s_endpgm
	.section	.rodata,"a",@progbits
	.p2align	6, 0x0
	.amdhsa_kernel _ZL30rocblas_trmm_outofplace_kernelI19rocblas_complex_numIfELi32ELi2ELb0ELb1ELb1ELb1EPKS1_S2_S1_Ev17rocblas_diagonal_iiT6_lPT7_lllS7_lllPT8_llli
		.amdhsa_group_segment_fixed_size 16384
		.amdhsa_private_segment_fixed_size 0
		.amdhsa_kernarg_size 392
		.amdhsa_user_sgpr_count 13
		.amdhsa_user_sgpr_dispatch_ptr 0
		.amdhsa_user_sgpr_queue_ptr 0
		.amdhsa_user_sgpr_kernarg_segment_ptr 1
		.amdhsa_user_sgpr_dispatch_id 0
		.amdhsa_user_sgpr_private_segment_size 0
		.amdhsa_wavefront_size32 1
		.amdhsa_uses_dynamic_stack 0
		.amdhsa_enable_private_segment 0
		.amdhsa_system_sgpr_workgroup_id_x 1
		.amdhsa_system_sgpr_workgroup_id_y 1
		.amdhsa_system_sgpr_workgroup_id_z 1
		.amdhsa_system_sgpr_workgroup_info 0
		.amdhsa_system_vgpr_workitem_id 1
		.amdhsa_next_free_vgpr 86
		.amdhsa_next_free_sgpr 46
		.amdhsa_reserve_vcc 1
		.amdhsa_float_round_mode_32 0
		.amdhsa_float_round_mode_16_64 0
		.amdhsa_float_denorm_mode_32 3
		.amdhsa_float_denorm_mode_16_64 3
		.amdhsa_dx10_clamp 1
		.amdhsa_ieee_mode 1
		.amdhsa_fp16_overflow 0
		.amdhsa_workgroup_processor_mode 1
		.amdhsa_memory_ordered 1
		.amdhsa_forward_progress 0
		.amdhsa_shared_vgpr_count 0
		.amdhsa_exception_fp_ieee_invalid_op 0
		.amdhsa_exception_fp_denorm_src 0
		.amdhsa_exception_fp_ieee_div_zero 0
		.amdhsa_exception_fp_ieee_overflow 0
		.amdhsa_exception_fp_ieee_underflow 0
		.amdhsa_exception_fp_ieee_inexact 0
		.amdhsa_exception_int_div_zero 0
	.end_amdhsa_kernel
	.section	.text._ZL30rocblas_trmm_outofplace_kernelI19rocblas_complex_numIfELi32ELi2ELb0ELb1ELb1ELb1EPKS1_S2_S1_Ev17rocblas_diagonal_iiT6_lPT7_lllS7_lllPT8_llli,"axG",@progbits,_ZL30rocblas_trmm_outofplace_kernelI19rocblas_complex_numIfELi32ELi2ELb0ELb1ELb1ELb1EPKS1_S2_S1_Ev17rocblas_diagonal_iiT6_lPT7_lllS7_lllPT8_llli,comdat
.Lfunc_end94:
	.size	_ZL30rocblas_trmm_outofplace_kernelI19rocblas_complex_numIfELi32ELi2ELb0ELb1ELb1ELb1EPKS1_S2_S1_Ev17rocblas_diagonal_iiT6_lPT7_lllS7_lllPT8_llli, .Lfunc_end94-_ZL30rocblas_trmm_outofplace_kernelI19rocblas_complex_numIfELi32ELi2ELb0ELb1ELb1ELb1EPKS1_S2_S1_Ev17rocblas_diagonal_iiT6_lPT7_lllS7_lllPT8_llli
                                        ; -- End function
	.section	.AMDGPU.csdata,"",@progbits
; Kernel info:
; codeLenInByte = 7496
; NumSgprs: 48
; NumVgprs: 86
; ScratchSize: 0
; MemoryBound: 0
; FloatMode: 240
; IeeeMode: 1
; LDSByteSize: 16384 bytes/workgroup (compile time only)
; SGPRBlocks: 5
; VGPRBlocks: 10
; NumSGPRsForWavesPerEU: 48
; NumVGPRsForWavesPerEU: 86
; Occupancy: 16
; WaveLimiterHint : 0
; COMPUTE_PGM_RSRC2:SCRATCH_EN: 0
; COMPUTE_PGM_RSRC2:USER_SGPR: 13
; COMPUTE_PGM_RSRC2:TRAP_HANDLER: 0
; COMPUTE_PGM_RSRC2:TGID_X_EN: 1
; COMPUTE_PGM_RSRC2:TGID_Y_EN: 1
; COMPUTE_PGM_RSRC2:TGID_Z_EN: 1
; COMPUTE_PGM_RSRC2:TIDIG_COMP_CNT: 1
	.section	.text._ZL30rocblas_trmm_outofplace_kernelI19rocblas_complex_numIfELi32ELi2ELb0ELb1ELb1ELb1ES1_KS1_S1_Ev17rocblas_diagonal_iiT6_lPT7_lllS6_lllPT8_llli,"axG",@progbits,_ZL30rocblas_trmm_outofplace_kernelI19rocblas_complex_numIfELi32ELi2ELb0ELb1ELb1ELb1ES1_KS1_S1_Ev17rocblas_diagonal_iiT6_lPT7_lllS6_lllPT8_llli,comdat
	.globl	_ZL30rocblas_trmm_outofplace_kernelI19rocblas_complex_numIfELi32ELi2ELb0ELb1ELb1ELb1ES1_KS1_S1_Ev17rocblas_diagonal_iiT6_lPT7_lllS6_lllPT8_llli ; -- Begin function _ZL30rocblas_trmm_outofplace_kernelI19rocblas_complex_numIfELi32ELi2ELb0ELb1ELb1ELb1ES1_KS1_S1_Ev17rocblas_diagonal_iiT6_lPT7_lllS6_lllPT8_llli
	.p2align	8
	.type	_ZL30rocblas_trmm_outofplace_kernelI19rocblas_complex_numIfELi32ELi2ELb0ELb1ELb1ELb1ES1_KS1_S1_Ev17rocblas_diagonal_iiT6_lPT7_lllS6_lllPT8_llli,@function
_ZL30rocblas_trmm_outofplace_kernelI19rocblas_complex_numIfELi32ELi2ELb0ELb1ELb1ELb1ES1_KS1_S1_Ev17rocblas_diagonal_iiT6_lPT7_lllS6_lllPT8_llli: ; @_ZL30rocblas_trmm_outofplace_kernelI19rocblas_complex_numIfELi32ELi2ELb0ELb1ELb1ELb1ES1_KS1_S1_Ev17rocblas_diagonal_iiT6_lPT7_lllS6_lllPT8_llli
; %bb.0:
	s_clause 0x1
	s_load_b128 s[8:11], s[0:1], 0x0
	s_load_b32 s33, s[0:1], 0x10
	s_waitcnt lgkmcnt(0)
	s_or_b32 s2, s11, s33
	s_delay_alu instid0(SALU_CYCLE_1) | instskip(NEXT) | instid1(SALU_CYCLE_1)
	s_bitset0_b32 s2, 31
	s_cmp_eq_u32 s2, 0
	s_cbranch_scc1 .LBB95_63
; %bb.1:
	s_add_i32 s2, s10, -1
	s_delay_alu instid0(SALU_CYCLE_1) | instskip(NEXT) | instid1(SALU_CYCLE_1)
	s_ashr_i32 s3, s2, 31
	s_lshr_b32 s3, s3, 27
	s_delay_alu instid0(SALU_CYCLE_1) | instskip(NEXT) | instid1(SALU_CYCLE_1)
	s_add_i32 s2, s2, s3
	s_ashr_i32 s44, s2, 5
	s_delay_alu instid0(SALU_CYCLE_1)
	s_cmp_gt_i32 s14, s44
	s_cbranch_scc1 .LBB95_63
; %bb.2:
	s_clause 0x2
	s_load_b512 s[16:31], s[0:1], 0x20
	s_load_b256 s[36:43], s[0:1], 0x60
	s_load_b32 s45, s[0:1], 0x8c
	v_dual_mov_b32 v15, 0 :: v_dual_and_b32 v10, 0x3ff, v0
	v_bfe_u32 v38, v0, 10, 10
	v_mov_b32_e32 v14, 1.0
	s_mov_b32 s12, s10
	s_delay_alu instid0(VALU_DEP_3) | instskip(SKIP_2) | instid1(VALU_DEP_3)
	v_lshl_add_u32 v0, s13, 5, v10
	v_lshlrev_b32_e32 v11, 3, v10
	v_lshlrev_b32_e32 v39, 8, v38
	v_ashrrev_i32_e32 v1, 31, v0
	v_sub_co_u32 v2, vcc_lo, s9, v0
	s_delay_alu instid0(VALU_DEP_4) | instskip(SKIP_1) | instid1(VALU_DEP_4)
	v_or_b32_e32 v41, 0x2000, v11
	v_add_nc_u32_e32 v8, 16, v0
	v_lshlrev_b64 v[4:5], 3, v[0:1]
	v_add_nc_u32_e32 v40, v39, v11
	s_waitcnt lgkmcnt(0)
	s_mul_i32 s1, s15, s31
	s_mul_hi_u32 s2, s15, s30
	s_mul_i32 s0, s15, s30
	s_add_i32 s1, s2, s1
	s_mul_i32 s3, s15, s43
	s_lshl_b64 s[0:1], s[0:1], 3
	s_mul_hi_u32 s4, s15, s42
	s_add_u32 s5, s24, s0
	s_addc_u32 s6, s25, s1
	s_lshl_b64 s[0:1], s[26:27], 3
	s_mul_i32 s2, s15, s42
	s_add_u32 s5, s5, s0
	s_addc_u32 s6, s6, s1
	s_add_i32 s3, s4, s3
	s_mul_i32 s4, s23, s15
	s_lshl_b64 s[0:1], s[2:3], 3
	v_add_nc_u32_e32 v42, v41, v39
	s_add_u32 s2, s36, s0
	s_addc_u32 s3, s37, s1
	s_lshl_b64 s[0:1], s[38:39], 3
	v_ashrrev_i32_e32 v9, 31, v8
	s_add_u32 s36, s2, s0
	s_addc_u32 s37, s3, s1
	s_cmpk_eq_i32 s8, 0x84
	v_cmp_gt_i32_e64 s1, s9, v0
	s_cselect_b32 s38, -1, 0
	s_ashr_i32 s0, s9, 31
	s_ashr_i32 s13, s10, 31
	v_sub_co_ci_u32_e32 v3, vcc_lo, s0, v1, vcc_lo
	v_add_co_u32 v6, vcc_lo, s5, v4
	s_lshl_b64 s[24:25], s[20:21], 8
	s_lshl_b64 s[26:27], s[28:29], 8
	s_mul_hi_u32 s5, s22, s15
	s_add_u32 s30, s10, -16
	s_addc_u32 s31, s13, -1
	s_add_i32 s5, s5, s4
	s_mul_i32 s4, s22, s15
	v_add_co_ci_u32_e32 v7, vcc_lo, s6, v5, vcc_lo
	s_lshl_b32 s3, s14, 5
	s_lshl_b64 s[4:5], s[4:5], 3
	s_lshl_b64 s[6:7], s[18:19], 3
	v_cmp_gt_i64_e32 vcc_lo, 1, v[2:3]
	v_cmp_gt_i64_e64 s0, 17, v[2:3]
	s_lshl_b32 s15, s45, 5
	v_cmp_gt_i32_e64 s2, s9, v8
	v_add_nc_u32_e32 v43, 0x2080, v11
	v_add_nc_u32_e32 v10, s3, v10
	;; [unrolled: 1-line block ×3, first 2 shown]
	s_add_u32 s3, s4, s6
	s_addc_u32 s4, s5, s7
	s_add_u32 s16, s16, s3
	s_addc_u32 s17, s17, s4
	s_lshl_b64 s[18:19], s[20:21], 3
	s_lshl_b64 s[22:23], s[28:29], 3
	s_branch .LBB95_4
.LBB95_3:                               ;   in Loop: Header=BB95_4 Depth=1
	s_or_b32 exec_lo, exec_lo, s4
	v_add_nc_u32_e32 v10, s15, v10
	v_add_nc_u32_e32 v12, s15, v12
	s_add_i32 s14, s45, s14
	s_delay_alu instid0(SALU_CYCLE_1)
	s_cmp_le_i32 s14, s44
	s_cbranch_scc0 .LBB95_63
.LBB95_4:                               ; =>This Loop Header: Depth=1
                                        ;     Child Loop BB95_7 Depth 2
	s_lshl_b32 s3, s14, 5
	v_ashrrev_i32_e32 v11, 31, v10
	v_dual_mov_b32 v51, v15 :: v_dual_add_nc_u32 v16, s3, v38
	v_ashrrev_i32_e32 v13, 31, v12
	v_mov_b32_e32 v50, v15
	v_mov_b32_e32 v48, v15
	s_delay_alu instid0(VALU_DEP_4)
	v_ashrrev_i32_e32 v17, 31, v16
	v_mov_b32_e32 v49, v15
	v_mov_b32_e32 v46, v15
	;; [unrolled: 1-line block ×5, first 2 shown]
	s_sub_i32 s39, s10, s3
	s_delay_alu instid0(SALU_CYCLE_1)
	s_cmp_lt_i32 s39, 1
	s_cbranch_scc1 .LBB95_55
; %bb.5:                                ;   in Loop: Header=BB95_4 Depth=1
	v_lshlrev_b64 v[0:1], 3, v[10:11]
	v_lshlrev_b64 v[20:21], 3, v[12:13]
	v_mad_u64_u32 v[26:27], null, s22, v12, 0x80
	v_mul_lo_u32 v32, s22, v13
	v_mul_lo_u32 v33, s23, v12
	v_add_co_u32 v0, s3, 0x80, v0
	s_delay_alu instid0(VALU_DEP_1) | instskip(SKIP_1) | instid1(VALU_DEP_1)
	v_add_co_ci_u32_e64 v1, s3, 0, v1, s3
	v_sub_co_u32 v18, s3, v12, v10
	v_sub_co_ci_u32_e64 v19, s3, v13, v11, s3
	v_add_co_u32 v30, s3, 0x80, v20
	s_delay_alu instid0(VALU_DEP_1) | instskip(SKIP_1) | instid1(VALU_DEP_3)
	v_add_co_ci_u32_e64 v28, s3, 0, v21, s3
	v_mul_lo_u32 v1, s20, v1
	v_mul_lo_u32 v35, s29, v30
	;; [unrolled: 1-line block ×3, first 2 shown]
	s_delay_alu instid0(VALU_DEP_4)
	v_mul_lo_u32 v34, s28, v28
	v_mad_u64_u32 v[28:29], null, s28, v30, 0x80
	v_mad_u64_u32 v[22:23], null, s20, v0, s[16:17]
	;; [unrolled: 1-line block ×3, first 2 shown]
	v_mul_lo_u32 v0, s18, v11
	v_mul_lo_u32 v3, s19, v10
	v_add_co_u32 v30, s3, v16, 16
	s_delay_alu instid0(VALU_DEP_1) | instskip(SKIP_2) | instid1(VALU_DEP_1)
	v_add_co_ci_u32_e64 v31, s3, 0, v17, s3
	v_add3_u32 v27, v33, v27, v32
	v_add_co_u32 v32, s5, v18, 16
	v_add_co_ci_u32_e64 v33, s5, 0, v19, s5
	v_add3_u32 v29, v35, v29, v34
	v_add_co_u32 v34, s5, v18, -16
	v_cmp_le_i64_e64 s4, s[12:13], v[30:31]
	v_dual_mov_b32 v44, 0 :: v_dual_mov_b32 v37, v7
	v_add3_u32 v23, v2, v23, v1
	v_add3_u32 v25, v3, v25, v0
	v_cmp_le_i32_e64 s3, s10, v16
	v_add_co_ci_u32_e64 v35, s5, -1, v19, s5
	v_dual_mov_b32 v36, v6 :: v_dual_mov_b32 v45, 0
	v_dual_mov_b32 v47, 0 :: v_dual_mov_b32 v46, 0
	;; [unrolled: 1-line block ×4, first 2 shown]
	s_mov_b64 s[34:35], 0
	s_branch .LBB95_7
.LBB95_6:                               ;   in Loop: Header=BB95_7 Depth=2
	s_or_b32 exec_lo, exec_lo, s5
	s_waitcnt lgkmcnt(0)
	s_waitcnt_vscnt null, 0x0
	s_barrier
	buffer_gl0_inv
	ds_load_2addr_b64 v[52:55], v41 offset1:32
	ds_load_b128 v[56:59], v39
	ds_load_2addr_b64 v[60:63], v43 offset1:32
	ds_load_b128 v[64:67], v39 offset:4096
	ds_load_b128 v[68:71], v39 offset:16
	;; [unrolled: 1-line block ×5, first 2 shown]
	v_add_co_u32 v22, s5, v22, s24
	s_delay_alu instid0(VALU_DEP_1) | instskip(SKIP_1) | instid1(VALU_DEP_1)
	v_add_co_ci_u32_e64 v23, s5, s25, v23, s5
	v_add_co_u32 v24, s5, v24, s24
	v_add_co_ci_u32_e64 v25, s5, s25, v25, s5
	v_add_co_u32 v36, s5, v36, s26
	s_delay_alu instid0(VALU_DEP_1)
	v_add_co_ci_u32_e64 v37, s5, s27, v37, s5
	s_add_u32 s34, s34, 32
	s_waitcnt lgkmcnt(6)
	v_mul_f32_e32 v80, v57, v53
	s_waitcnt lgkmcnt(5)
	v_mul_f32_e32 v82, v57, v61
	v_mul_f32_e32 v83, v56, v61
	s_waitcnt lgkmcnt(4)
	v_mul_f32_e32 v85, v65, v61
	v_mul_f32_e32 v61, v64, v61
	v_mul_f32_e32 v84, v65, v53
	s_addc_u32 s35, s35, 0
	s_cmp_ge_i32 s34, s39
	s_delay_alu instid0(VALU_DEP_2) | instskip(NEXT) | instid1(VALU_DEP_1)
	v_fmac_f32_e32 v61, v65, v60
	v_dual_add_f32 v44, v44, v61 :: v_dual_mul_f32 v61, v59, v63
	v_fma_f32 v80, v56, v52, -v80
	s_delay_alu instid0(VALU_DEP_1) | instskip(NEXT) | instid1(VALU_DEP_1)
	v_dual_mul_f32 v81, v56, v53 :: v_dual_add_f32 v50, v50, v80
	v_fmac_f32_e32 v81, v57, v52
	v_fmac_f32_e32 v83, v57, v60
	v_mul_f32_e32 v53, v64, v53
	v_fma_f32 v57, v64, v52, -v84
	s_delay_alu instid0(VALU_DEP_3) | instskip(SKIP_3) | instid1(VALU_DEP_2)
	v_add_f32_e32 v80, v49, v83
	v_mul_f32_e32 v83, v67, v55
	v_fma_f32 v56, v56, v60, -v82
	v_dual_fmac_f32 v53, v65, v52 :: v_dual_mul_f32 v82, v58, v63
	v_add_f32_e32 v56, v48, v56
	v_fma_f32 v52, v64, v60, -v85
	v_mul_f32_e32 v60, v58, v55
	s_delay_alu instid0(VALU_DEP_2) | instskip(NEXT) | instid1(VALU_DEP_2)
	v_dual_fmac_f32 v82, v59, v62 :: v_dual_add_f32 v65, v45, v52
	v_fmac_f32_e32 v60, v59, v54
	v_add_f32_e32 v64, v51, v81
	v_dual_add_f32 v57, v46, v57 :: v_dual_mul_f32 v46, v59, v55
	v_mul_f32_e32 v55, v66, v55
	v_fma_f32 v59, v66, v54, -v83
	s_delay_alu instid0(VALU_DEP_4) | instskip(NEXT) | instid1(VALU_DEP_4)
	v_add_f32_e32 v60, v64, v60
	v_fma_f32 v49, v58, v54, -v46
	v_fma_f32 v58, v58, v62, -v61
	v_add_f32_e32 v53, v47, v53
	ds_load_2addr_b64 v[45:48], v41 offset0:64 offset1:96
	v_fmac_f32_e32 v55, v67, v54
	v_dual_add_f32 v81, v50, v49 :: v_dual_add_f32 v54, v57, v59
	ds_load_2addr_b64 v[49:52], v43 offset0:64 offset1:96
	v_dual_add_f32 v56, v56, v58 :: v_dual_add_f32 v53, v53, v55
	v_mul_f32_e32 v58, v67, v63
	s_delay_alu instid0(VALU_DEP_1) | instskip(NEXT) | instid1(VALU_DEP_1)
	v_fma_f32 v58, v66, v62, -v58
	v_dual_mul_f32 v57, v66, v63 :: v_dual_add_f32 v58, v65, v58
	s_waitcnt lgkmcnt(1)
	v_dual_mul_f32 v55, v68, v46 :: v_dual_mul_f32 v64, v79, v48
	s_delay_alu instid0(VALU_DEP_1) | instskip(NEXT) | instid1(VALU_DEP_1)
	v_fmac_f32_e32 v55, v69, v45
	v_add_f32_e32 v63, v60, v55
	v_mul_f32_e32 v55, v77, v46
	s_delay_alu instid0(VALU_DEP_1) | instskip(SKIP_3) | instid1(VALU_DEP_3)
	v_fma_f32 v55, v76, v45, -v55
	v_fmac_f32_e32 v57, v67, v62
	s_waitcnt lgkmcnt(0)
	v_mul_f32_e32 v67, v70, v52
	v_dual_add_f32 v66, v54, v55 :: v_dual_mul_f32 v59, v69, v46
	s_delay_alu instid0(VALU_DEP_3) | instskip(SKIP_4) | instid1(VALU_DEP_4)
	v_add_f32_e32 v44, v44, v57
	v_mul_f32_e32 v57, v68, v50
	v_mul_f32_e32 v46, v76, v46
	v_add_f32_e32 v61, v80, v82
	v_fma_f32 v59, v68, v45, -v59
	v_dual_mul_f32 v54, v71, v48 :: v_dual_fmac_f32 v57, v69, v49
	s_delay_alu instid0(VALU_DEP_4) | instskip(NEXT) | instid1(VALU_DEP_3)
	v_dual_fmac_f32 v46, v77, v45 :: v_dual_mul_f32 v45, v76, v50
	v_add_f32_e32 v59, v81, v59
	v_fmac_f32_e32 v67, v71, v51
	s_delay_alu instid0(VALU_DEP_4)
	v_add_f32_e32 v65, v61, v57
	v_fma_f32 v57, v70, v47, -v54
	v_mul_f32_e32 v62, v69, v50
	v_fmac_f32_e32 v45, v77, v49
	v_add_f32_e32 v46, v53, v46
	v_fma_f32 v69, v78, v47, -v64
	s_delay_alu instid0(VALU_DEP_3) | instskip(SKIP_2) | instid1(VALU_DEP_1)
	v_add_f32_e32 v44, v44, v45
	v_add_f32_e32 v45, v59, v57
	v_fma_f32 v62, v68, v49, -v62
	v_add_f32_e32 v62, v56, v62
	v_mul_f32_e32 v56, v77, v50
	s_delay_alu instid0(VALU_DEP_1)
	v_fma_f32 v50, v76, v49, -v56
	ds_load_2addr_b64 v[53:56], v41 offset0:128 offset1:160
	v_dual_add_f32 v49, v58, v50 :: v_dual_mul_f32 v58, v71, v52
	v_mul_f32_e32 v50, v70, v48
	v_dual_mul_f32 v48, v78, v48 :: v_dual_add_f32 v65, v65, v67
	v_mul_f32_e32 v67, v79, v52
	s_delay_alu instid0(VALU_DEP_4)
	v_fma_f32 v61, v70, v51, -v58
	ds_load_2addr_b64 v[57:60], v43 offset0:128 offset1:160
	v_fmac_f32_e32 v50, v71, v47
	v_dual_fmac_f32 v48, v79, v47 :: v_dual_mul_f32 v47, v78, v52
	v_add_f32_e32 v68, v62, v61
	v_add_f32_e32 v52, v66, v69
	s_delay_alu instid0(VALU_DEP_4)
	v_add_f32_e32 v50, v63, v50
	ds_load_b128 v[61:64], v39 offset:4128
	v_add_f32_e32 v48, v46, v48
	s_waitcnt lgkmcnt(2)
	v_mul_f32_e32 v66, v73, v54
	v_fma_f32 v67, v78, v51, -v67
	s_delay_alu instid0(VALU_DEP_2) | instskip(SKIP_1) | instid1(VALU_DEP_2)
	v_fma_f32 v46, v72, v53, -v66
	s_waitcnt lgkmcnt(1)
	v_dual_add_f32 v49, v49, v67 :: v_dual_mul_f32 v70, v72, v58
	v_dual_mul_f32 v66, v73, v58 :: v_dual_fmac_f32 v47, v79, v51
	s_delay_alu instid0(VALU_DEP_2) | instskip(NEXT) | instid1(VALU_DEP_2)
	v_dual_mul_f32 v51, v72, v54 :: v_dual_fmac_f32 v70, v73, v57
	v_fma_f32 v66, v72, v57, -v66
	s_delay_alu instid0(VALU_DEP_3) | instskip(NEXT) | instid1(VALU_DEP_3)
	v_add_f32_e32 v67, v44, v47
	v_fmac_f32_e32 v51, v73, v53
	v_add_f32_e32 v69, v45, v46
	ds_load_b128 v[44:47], v39 offset:4144
	s_waitcnt lgkmcnt(1)
	v_mul_f32_e32 v71, v62, v54
	v_add_f32_e32 v72, v50, v51
	v_mul_f32_e32 v50, v61, v54
	v_add_f32_e32 v54, v68, v66
	s_delay_alu instid0(VALU_DEP_4) | instskip(NEXT) | instid1(VALU_DEP_3)
	v_fma_f32 v51, v61, v53, -v71
	v_dual_mul_f32 v73, v64, v56 :: v_dual_fmac_f32 v50, v62, v53
	v_mul_f32_e32 v53, v61, v58
	v_add_f32_e32 v70, v65, v70
	s_delay_alu instid0(VALU_DEP_2) | instskip(SKIP_2) | instid1(VALU_DEP_3)
	v_dual_add_f32 v52, v52, v51 :: v_dual_fmac_f32 v53, v62, v57
	v_mul_f32_e32 v66, v62, v58
	v_mul_f32_e32 v58, v75, v56
	v_add_f32_e32 v53, v67, v53
	s_delay_alu instid0(VALU_DEP_3)
	v_fma_f32 v51, v61, v57, -v66
	v_add_f32_e32 v61, v48, v50
	v_mul_f32_e32 v57, v74, v56
	v_fma_f32 v58, v74, v55, -v58
	v_mul_f32_e32 v56, v63, v56
	v_add_f32_e32 v62, v49, v51
	ds_load_2addr_b64 v[48:51], v41 offset0:192 offset1:224
	v_dual_fmac_f32 v57, v75, v55 :: v_dual_add_f32 v58, v69, v58
	v_dual_mul_f32 v71, v75, v60 :: v_dual_fmac_f32 v56, v64, v55
	ds_load_2addr_b64 v[65:68], v43 offset0:192 offset1:224
	v_add_f32_e32 v57, v72, v57
	v_mul_f32_e32 v69, v74, v60
	v_fma_f32 v71, v74, v59, -v71
	v_add_f32_e32 v56, v61, v56
	s_delay_alu instid0(VALU_DEP_2) | instskip(SKIP_3) | instid1(VALU_DEP_3)
	v_add_f32_e32 v54, v54, v71
	v_fma_f32 v72, v63, v55, -v73
	v_fmac_f32_e32 v69, v75, v59
	v_mul_f32_e32 v55, v63, v60
	v_add_f32_e32 v52, v52, v72
	v_add_nc_u32_e32 v72, 0x800, v41
	s_delay_alu instid0(VALU_DEP_4) | instskip(SKIP_4) | instid1(VALU_DEP_2)
	v_add_f32_e32 v69, v70, v69
	s_waitcnt lgkmcnt(1)
	v_mul_f32_e32 v61, v0, v49
	s_waitcnt lgkmcnt(0)
	v_dual_fmac_f32 v55, v64, v59 :: v_dual_mul_f32 v74, v47, v68
	v_fmac_f32_e32 v61, v1, v48
	v_mul_f32_e32 v71, v64, v60
	s_delay_alu instid0(VALU_DEP_3) | instskip(NEXT) | instid1(VALU_DEP_3)
	v_add_f32_e32 v53, v53, v55
	v_dual_mul_f32 v55, v0, v66 :: v_dual_add_f32 v64, v57, v61
	s_delay_alu instid0(VALU_DEP_3) | instskip(SKIP_1) | instid1(VALU_DEP_3)
	v_fma_f32 v60, v63, v59, -v71
	v_mul_f32_e32 v63, v1, v49
	v_fmac_f32_e32 v55, v1, v65
	v_mul_f32_e32 v57, v45, v49
	v_mul_f32_e32 v61, v3, v68
	v_dual_add_f32 v59, v62, v60 :: v_dual_mul_f32 v62, v1, v66
	v_fma_f32 v60, v0, v48, -v63
	v_mul_f32_e32 v1, v44, v49
	s_delay_alu instid0(VALU_DEP_3) | instskip(NEXT) | instid1(VALU_DEP_3)
	v_fma_f32 v0, v0, v65, -v62
	v_dual_add_f32 v60, v58, v60 :: v_dual_mul_f32 v49, v45, v66
	s_delay_alu instid0(VALU_DEP_2) | instskip(SKIP_2) | instid1(VALU_DEP_1)
	v_add_f32_e32 v0, v54, v0
	v_fma_f32 v54, v44, v48, -v57
	v_dual_mul_f32 v57, v44, v66 :: v_dual_mul_f32 v66, v2, v51
	v_dual_fmac_f32 v57, v45, v65 :: v_dual_fmac_f32 v66, v3, v50
	s_delay_alu instid0(VALU_DEP_1) | instskip(SKIP_1) | instid1(VALU_DEP_1)
	v_add_f32_e32 v64, v64, v66
	v_mul_f32_e32 v66, v46, v51
	v_dual_fmac_f32 v66, v47, v50 :: v_dual_fmac_f32 v1, v45, v48
	v_dual_add_f32 v48, v69, v55 :: v_dual_mul_f32 v69, v2, v68
	v_mul_f32_e32 v68, v46, v68
	s_delay_alu instid0(VALU_DEP_1) | instskip(SKIP_1) | instid1(VALU_DEP_1)
	v_dual_fmac_f32 v68, v47, v67 :: v_dual_add_f32 v45, v56, v1
	v_mul_f32_e32 v1, v3, v51
	v_fma_f32 v1, v2, v50, -v1
	s_delay_alu instid0(VALU_DEP_1) | instskip(SKIP_3) | instid1(VALU_DEP_3)
	v_add_f32_e32 v70, v60, v1
	v_fma_f32 v44, v44, v65, -v49
	v_fma_f32 v1, v2, v67, -v61
	v_dual_mul_f32 v2, v47, v51 :: v_dual_add_f32 v49, v52, v54
	v_add_f32_e32 v44, v59, v44
	s_delay_alu instid0(VALU_DEP_2)
	v_fma_f32 v51, v46, v50, -v2
	v_fma_f32 v46, v46, v67, -v74
	v_add_f32_e32 v65, v53, v57
	ds_load_2addr_b64 v[52:55], v72 offset1:32
	ds_load_b128 v[56:59], v39 offset:64
	v_dual_add_f32 v74, v44, v46 :: v_dual_add_nc_u32 v73, 0x800, v43
	v_add_f32_e32 v68, v65, v68
	v_add_f32_e32 v66, v45, v66
	ds_load_2addr_b64 v[60:63], v73 offset1:32
	v_fmac_f32_e32 v69, v3, v67
	v_add_f32_e32 v71, v0, v1
	ds_load_b128 v[0:3], v39 offset:4160
	s_waitcnt lgkmcnt(2)
	v_mul_f32_e32 v76, v57, v53
	v_add_f32_e32 v75, v49, v51
	v_mul_f32_e32 v67, v56, v53
	s_delay_alu instid0(VALU_DEP_3) | instskip(SKIP_2) | instid1(VALU_DEP_2)
	v_fma_f32 v45, v56, v52, -v76
	s_waitcnt lgkmcnt(1)
	v_mul_f32_e32 v44, v57, v61
	v_dual_fmac_f32 v67, v57, v52 :: v_dual_add_f32 v70, v70, v45
	v_mul_f32_e32 v65, v56, v61
	s_delay_alu instid0(VALU_DEP_3)
	v_fma_f32 v56, v56, v60, -v44
	v_add_f32_e32 v69, v48, v69
	ds_load_b128 v[48:51], v39 offset:80
	s_waitcnt lgkmcnt(1)
	v_mul_f32_e32 v76, v1, v53
	v_mul_f32_e32 v53, v0, v53
	v_fmac_f32_e32 v65, v57, v60
	ds_load_b128 v[44:47], v39 offset:4176
	v_fma_f32 v57, v0, v52, -v76
	v_dual_fmac_f32 v53, v1, v52 :: v_dual_mul_f32 v52, v0, v61
	s_delay_alu instid0(VALU_DEP_1) | instskip(SKIP_2) | instid1(VALU_DEP_3)
	v_fmac_f32_e32 v52, v1, v60
	v_dual_add_f32 v56, v71, v56 :: v_dual_add_f32 v77, v64, v67
	v_dual_mul_f32 v64, v1, v61 :: v_dual_mul_f32 v61, v59, v55
	v_dual_add_f32 v57, v75, v57 :: v_dual_add_f32 v52, v68, v52
	s_delay_alu instid0(VALU_DEP_2) | instskip(NEXT) | instid1(VALU_DEP_3)
	v_fma_f32 v0, v0, v60, -v64
	v_fma_f32 v60, v58, v54, -v61
	s_delay_alu instid0(VALU_DEP_2) | instskip(SKIP_1) | instid1(VALU_DEP_3)
	v_add_f32_e32 v0, v74, v0
	v_mul_f32_e32 v74, v58, v63
	v_add_f32_e32 v60, v70, v60
	s_delay_alu instid0(VALU_DEP_2)
	v_dual_mul_f32 v1, v58, v55 :: v_dual_fmac_f32 v74, v59, v62
	v_add_f32_e32 v76, v69, v65
	ds_load_2addr_b64 v[68:71], v73 offset0:64 offset1:96
	v_mul_f32_e32 v61, v59, v63
	v_mul_f32_e32 v75, v3, v55
	v_fmac_f32_e32 v1, v59, v54
	s_delay_alu instid0(VALU_DEP_3) | instskip(NEXT) | instid1(VALU_DEP_3)
	v_fma_f32 v58, v58, v62, -v61
	v_fma_f32 v59, v2, v54, -v75
	v_add_f32_e32 v61, v76, v74
	s_delay_alu instid0(VALU_DEP_3)
	v_dual_mul_f32 v55, v2, v55 :: v_dual_add_f32 v56, v56, v58
	v_add_f32_e32 v53, v66, v53
	ds_load_2addr_b64 v[64:67], v72 offset0:64 offset1:96
	v_mul_f32_e32 v58, v3, v63
	v_dual_fmac_f32 v55, v3, v54 :: v_dual_add_f32 v54, v57, v59
	v_mul_f32_e32 v57, v2, v63
	s_delay_alu instid0(VALU_DEP_3) | instskip(SKIP_2) | instid1(VALU_DEP_3)
	v_fma_f32 v2, v2, v62, -v58
	s_waitcnt lgkmcnt(1)
	v_mul_f32_e32 v63, v50, v71
	v_fmac_f32_e32 v57, v3, v62
	s_delay_alu instid0(VALU_DEP_3) | instskip(SKIP_1) | instid1(VALU_DEP_3)
	v_dual_mul_f32 v3, v49, v69 :: v_dual_add_f32 v0, v0, v2
	s_waitcnt lgkmcnt(0)
	v_dual_fmac_f32 v63, v51, v70 :: v_dual_mul_f32 v58, v49, v65
	v_mul_f32_e32 v62, v50, v67
	v_add_f32_e32 v53, v53, v55
	s_delay_alu instid0(VALU_DEP_3) | instskip(NEXT) | instid1(VALU_DEP_3)
	v_fma_f32 v2, v48, v64, -v58
	v_fmac_f32_e32 v62, v51, v66
	v_mul_f32_e32 v58, v48, v69
	v_add_f32_e32 v1, v77, v1
	s_delay_alu instid0(VALU_DEP_4) | instskip(SKIP_1) | instid1(VALU_DEP_4)
	v_add_f32_e32 v59, v60, v2
	v_fma_f32 v2, v48, v68, -v3
	v_dual_mul_f32 v3, v44, v65 :: v_dual_fmac_f32 v58, v49, v68
	s_delay_alu instid0(VALU_DEP_1) | instskip(SKIP_1) | instid1(VALU_DEP_1)
	v_fmac_f32_e32 v3, v45, v64
	v_mul_f32_e32 v55, v48, v65
	v_fmac_f32_e32 v55, v49, v64
	v_dual_add_f32 v49, v56, v2 :: v_dual_mul_f32 v2, v45, v69
	v_mul_f32_e32 v56, v44, v69
	s_delay_alu instid0(VALU_DEP_2) | instskip(NEXT) | instid1(VALU_DEP_2)
	v_fma_f32 v2, v44, v68, -v2
	v_fmac_f32_e32 v56, v45, v68
	v_mul_f32_e32 v68, v47, v67
	v_add_f32_e32 v48, v1, v55
	v_add_f32_e32 v60, v61, v58
	v_dual_mul_f32 v1, v45, v65 :: v_dual_mul_f32 v58, v51, v71
	v_add_f32_e32 v45, v0, v2
	s_delay_alu instid0(VALU_DEP_4)
	v_add_f32_e32 v69, v48, v62
	v_fma_f32 v62, v46, v66, -v68
	v_add_f32_e32 v68, v60, v63
	v_fma_f32 v1, v44, v64, -v1
	v_mul_f32_e32 v44, v51, v67
	v_mul_f32_e32 v67, v46, v67
	v_add_f32_e32 v64, v53, v3
	s_delay_alu instid0(VALU_DEP_3) | instskip(NEXT) | instid1(VALU_DEP_3)
	v_fma_f32 v44, v50, v66, -v44
	v_fmac_f32_e32 v67, v47, v66
	v_dual_mul_f32 v66, v47, v71 :: v_dual_add_f32 v57, v52, v57
	s_delay_alu instid0(VALU_DEP_3) | instskip(SKIP_1) | instid1(VALU_DEP_3)
	v_dual_mul_f32 v71, v46, v71 :: v_dual_add_f32 v44, v59, v44
	v_fma_f32 v50, v50, v70, -v58
	v_fma_f32 v46, v46, v70, -v66
	s_delay_alu instid0(VALU_DEP_4) | instskip(NEXT) | instid1(VALU_DEP_4)
	v_add_f32_e32 v65, v57, v56
	v_fmac_f32_e32 v71, v47, v70
	v_add_f32_e32 v61, v54, v1
	ds_load_2addr_b64 v[0:3], v72 offset0:128 offset1:160
	ds_load_b128 v[52:55], v39 offset:96
	ds_load_2addr_b64 v[56:59], v73 offset0:128 offset1:160
	v_add_f32_e32 v64, v64, v67
	s_waitcnt lgkmcnt(1)
	v_mul_f32_e32 v76, v53, v1
	v_add_f32_e32 v74, v49, v50
	ds_load_b128 v[48:51], v39 offset:4192
	v_mul_f32_e32 v66, v52, v1
	v_add_f32_e32 v70, v65, v71
	v_fma_f32 v47, v52, v0, -v76
	s_delay_alu instid0(VALU_DEP_1)
	v_dual_fmac_f32 v66, v53, v0 :: v_dual_add_f32 v71, v44, v47
	v_add_f32_e32 v67, v45, v46
	s_waitcnt lgkmcnt(1)
	v_mul_f32_e32 v45, v53, v57
	v_add_f32_e32 v75, v61, v62
	ds_load_b128 v[60:63], v39 offset:112
	v_mul_f32_e32 v65, v52, v57
	v_fma_f32 v52, v52, v56, -v45
	ds_load_b128 v[44:47], v39 offset:4208
	s_waitcnt lgkmcnt(2)
	v_mul_f32_e32 v76, v49, v1
	v_dual_mul_f32 v1, v48, v1 :: v_dual_add_f32 v52, v74, v52
	v_fmac_f32_e32 v65, v53, v56
	s_delay_alu instid0(VALU_DEP_3) | instskip(NEXT) | instid1(VALU_DEP_3)
	v_fma_f32 v53, v48, v0, -v76
	v_dual_fmac_f32 v1, v49, v0 :: v_dual_mul_f32 v0, v48, v57
	s_delay_alu instid0(VALU_DEP_3) | instskip(NEXT) | instid1(VALU_DEP_2)
	v_add_f32_e32 v74, v68, v65
	v_dual_add_f32 v1, v64, v1 :: v_dual_fmac_f32 v0, v49, v56
	s_delay_alu instid0(VALU_DEP_1) | instskip(SKIP_2) | instid1(VALU_DEP_2)
	v_dual_add_f32 v0, v70, v0 :: v_dual_add_f32 v77, v69, v66
	v_dual_mul_f32 v66, v49, v57 :: v_dual_mul_f32 v57, v55, v3
	v_mul_f32_e32 v49, v54, v3
	v_fma_f32 v48, v48, v56, -v66
	s_delay_alu instid0(VALU_DEP_3) | instskip(SKIP_1) | instid1(VALU_DEP_2)
	v_fma_f32 v56, v54, v2, -v57
	v_mul_f32_e32 v57, v55, v59
	v_add_f32_e32 v56, v71, v56
	s_delay_alu instid0(VALU_DEP_4)
	v_add_f32_e32 v48, v67, v48
	ds_load_2addr_b64 v[64:67], v72 offset0:192 offset1:224
	v_mul_f32_e32 v72, v54, v59
	ds_load_2addr_b64 v[68:71], v73 offset0:192 offset1:224
	v_mul_f32_e32 v73, v51, v3
	v_fma_f32 v54, v54, v58, -v57
	v_add_f32_e32 v53, v75, v53
	v_fmac_f32_e32 v72, v55, v58
	v_fmac_f32_e32 v49, v55, v2
	s_delay_alu instid0(VALU_DEP_4) | instskip(NEXT) | instid1(VALU_DEP_3)
	v_dual_mul_f32 v3, v50, v3 :: v_dual_add_f32 v52, v52, v54
	v_dual_mul_f32 v54, v51, v59 :: v_dual_add_f32 v57, v74, v72
	v_add_nc_u32_e32 v72, 0x1000, v41
	v_fma_f32 v55, v50, v2, -v73
	s_delay_alu instid0(VALU_DEP_1) | instskip(SKIP_3) | instid1(VALU_DEP_2)
	v_dual_fmac_f32 v3, v51, v2 :: v_dual_add_f32 v2, v53, v55
	v_mul_f32_e32 v53, v50, v59
	v_fma_f32 v50, v50, v58, -v54
	s_waitcnt lgkmcnt(1)
	v_dual_mul_f32 v54, v61, v65 :: v_dual_fmac_f32 v53, v51, v58
	s_delay_alu instid0(VALU_DEP_2) | instskip(NEXT) | instid1(VALU_DEP_2)
	v_add_f32_e32 v48, v48, v50
	v_fma_f32 v50, v60, v64, -v54
	s_waitcnt lgkmcnt(0)
	v_mul_f32_e32 v51, v61, v69
	v_add_f32_e32 v0, v0, v53
	v_mul_f32_e32 v53, v60, v69
	v_add_f32_e32 v54, v56, v50
	s_delay_alu instid0(VALU_DEP_4) | instskip(SKIP_1) | instid1(VALU_DEP_2)
	v_fma_f32 v50, v60, v68, -v51
	v_mul_f32_e32 v51, v44, v69
	v_dual_add_f32 v58, v52, v50 :: v_dual_add_f32 v1, v1, v3
	v_mul_f32_e32 v3, v60, v65
	v_mul_f32_e32 v50, v45, v69
	v_add_f32_e32 v49, v77, v49
	v_fmac_f32_e32 v51, v45, v68
	s_delay_alu instid0(VALU_DEP_4) | instskip(NEXT) | instid1(VALU_DEP_1)
	v_fmac_f32_e32 v3, v61, v64
	v_dual_add_f32 v56, v49, v3 :: v_dual_mul_f32 v49, v44, v65
	v_mul_f32_e32 v3, v45, v65
	s_delay_alu instid0(VALU_DEP_2) | instskip(NEXT) | instid1(VALU_DEP_2)
	v_fmac_f32_e32 v49, v45, v64
	v_fma_f32 v3, v44, v64, -v3
	v_fma_f32 v44, v44, v68, -v50
	s_delay_alu instid0(VALU_DEP_3) | instskip(SKIP_1) | instid1(VALU_DEP_4)
	v_dual_add_f32 v64, v0, v51 :: v_dual_add_f32 v45, v1, v49
	v_mul_f32_e32 v1, v63, v67
	v_add_f32_e32 v60, v2, v3
	s_delay_alu instid0(VALU_DEP_4) | instskip(NEXT) | instid1(VALU_DEP_3)
	v_add_f32_e32 v44, v48, v44
	v_fma_f32 v52, v62, v66, -v1
	ds_load_2addr_b64 v[0:3], v72 offset1:32
	ds_load_b128 v[48:51], v39 offset:128
	v_fmac_f32_e32 v53, v61, v68
	v_add_nc_u32_e32 v73, 0x1000, v43
	v_mul_f32_e32 v61, v62, v71
	v_add_f32_e32 v65, v54, v52
	v_mul_f32_e32 v59, v62, v67
	v_add_f32_e32 v57, v57, v53
	v_mul_f32_e32 v53, v63, v71
	v_mul_f32_e32 v68, v47, v67
	v_fmac_f32_e32 v61, v63, v70
	v_fmac_f32_e32 v59, v63, v66
	s_delay_alu instid0(VALU_DEP_4)
	v_fma_f32 v62, v62, v70, -v53
	ds_load_2addr_b64 v[52:55], v73 offset1:32
	v_dual_add_f32 v69, v56, v59 :: v_dual_add_f32 v74, v58, v62
	v_fma_f32 v62, v46, v66, -v68
	v_add_f32_e32 v68, v57, v61
	ds_load_b128 v[56:59], v39 offset:4224
	s_waitcnt lgkmcnt(2)
	v_dual_mul_f32 v76, v49, v1 :: v_dual_add_f32 v75, v60, v62
	ds_load_b128 v[60:63], v39 offset:144
	v_mul_f32_e32 v67, v46, v67
	s_delay_alu instid0(VALU_DEP_1) | instskip(SKIP_2) | instid1(VALU_DEP_2)
	v_fmac_f32_e32 v67, v47, v66
	v_mul_f32_e32 v66, v47, v71
	v_mul_f32_e32 v71, v46, v71
	v_fma_f32 v46, v46, v70, -v66
	s_delay_alu instid0(VALU_DEP_2) | instskip(SKIP_2) | instid1(VALU_DEP_4)
	v_dual_add_f32 v66, v45, v67 :: v_dual_fmac_f32 v71, v47, v70
	v_fma_f32 v45, v48, v0, -v76
	v_mul_f32_e32 v67, v48, v1
	v_add_f32_e32 v70, v44, v46
	s_waitcnt lgkmcnt(2)
	v_dual_mul_f32 v44, v49, v53 :: v_dual_add_f32 v71, v64, v71
	v_add_f32_e32 v76, v65, v45
	v_mul_f32_e32 v64, v48, v53
	s_waitcnt lgkmcnt(1)
	v_mul_f32_e32 v65, v57, v1
	v_fma_f32 v48, v48, v52, -v44
	ds_load_b128 v[44:47], v39 offset:4240
	v_mul_f32_e32 v1, v56, v1
	v_fmac_f32_e32 v67, v49, v0
	v_fmac_f32_e32 v64, v49, v52
	v_fma_f32 v49, v56, v0, -v65
	v_mul_f32_e32 v65, v57, v53
	v_dual_fmac_f32 v1, v57, v0 :: v_dual_mul_f32 v0, v56, v53
	s_delay_alu instid0(VALU_DEP_3) | instskip(NEXT) | instid1(VALU_DEP_3)
	v_dual_add_f32 v48, v74, v48 :: v_dual_add_f32 v49, v75, v49
	v_fma_f32 v53, v56, v52, -v65
	v_mul_f32_e32 v56, v51, v3
	s_delay_alu instid0(VALU_DEP_4) | instskip(SKIP_2) | instid1(VALU_DEP_4)
	v_dual_fmac_f32 v0, v57, v52 :: v_dual_mul_f32 v57, v51, v55
	v_mul_f32_e32 v52, v50, v3
	v_mul_f32_e32 v75, v50, v55
	v_fma_f32 v56, v50, v2, -v56
	v_add_f32_e32 v53, v70, v53
	v_fma_f32 v50, v50, v54, -v57
	v_add_f32_e32 v74, v68, v64
	v_add_f32_e32 v0, v71, v0
	v_fmac_f32_e32 v52, v51, v2
	v_add_f32_e32 v56, v76, v56
	v_add_f32_e32 v48, v48, v50
	v_mul_f32_e32 v50, v59, v55
	v_mul_f32_e32 v76, v59, v3
	v_fmac_f32_e32 v75, v51, v54
	v_mul_f32_e32 v3, v58, v3
	s_delay_alu instid0(VALU_DEP_4) | instskip(NEXT) | instid1(VALU_DEP_4)
	v_fma_f32 v50, v58, v54, -v50
	v_fma_f32 v51, v58, v2, -v76
	s_delay_alu instid0(VALU_DEP_3) | instskip(NEXT) | instid1(VALU_DEP_3)
	v_fmac_f32_e32 v3, v59, v2
	v_add_f32_e32 v50, v53, v50
	v_add_f32_e32 v77, v69, v67
	ds_load_2addr_b64 v[68:71], v73 offset0:64 offset1:96
	v_add_f32_e32 v1, v66, v1
	ds_load_2addr_b64 v[64:67], v72 offset0:64 offset1:96
	v_add_f32_e32 v2, v49, v51
	v_dual_mul_f32 v49, v58, v55 :: v_dual_add_f32 v52, v77, v52
	v_add_f32_e32 v1, v1, v3
	s_delay_alu instid0(VALU_DEP_2) | instskip(NEXT) | instid1(VALU_DEP_1)
	v_fmac_f32_e32 v49, v59, v54
	v_add_f32_e32 v55, v0, v49
	s_waitcnt lgkmcnt(1)
	v_mul_f32_e32 v53, v61, v69
	v_mul_f32_e32 v54, v60, v69
	s_waitcnt lgkmcnt(0)
	v_mul_f32_e32 v3, v60, v65
	v_mul_f32_e32 v51, v61, v65
	;; [unrolled: 1-line block ×3, first 2 shown]
	v_fma_f32 v0, v60, v68, -v53
	v_fmac_f32_e32 v54, v61, v68
	v_fmac_f32_e32 v3, v61, v64
	v_fma_f32 v51, v60, v64, -v51
	v_fmac_f32_e32 v49, v45, v64
	v_dual_add_f32 v59, v48, v0 :: v_dual_mul_f32 v0, v45, v69
	s_delay_alu instid0(VALU_DEP_4) | instskip(SKIP_2) | instid1(VALU_DEP_4)
	v_dual_add_f32 v58, v52, v3 :: v_dual_mul_f32 v3, v45, v65
	v_mul_f32_e32 v52, v44, v69
	v_add_f32_e32 v56, v56, v51
	v_fma_f32 v0, v44, v68, -v0
	v_mul_f32_e32 v61, v62, v67
	v_fma_f32 v3, v44, v64, -v3
	v_add_f32_e32 v64, v1, v49
	v_fmac_f32_e32 v52, v45, v68
	v_dual_add_f32 v45, v50, v0 :: v_dual_mul_f32 v44, v63, v67
	s_delay_alu instid0(VALU_DEP_4)
	v_add_f32_e32 v60, v2, v3
	ds_load_2addr_b64 v[0:3], v72 offset0:128 offset1:160
	ds_load_b128 v[48:51], v39 offset:160
	v_mul_f32_e32 v53, v63, v71
	v_fmac_f32_e32 v61, v63, v66
	v_fma_f32 v44, v62, v66, -v44
	v_dual_mul_f32 v68, v62, v71 :: v_dual_add_f32 v65, v55, v52
	s_delay_alu instid0(VALU_DEP_2) | instskip(SKIP_2) | instid1(VALU_DEP_4)
	v_dual_add_f32 v69, v58, v61 :: v_dual_add_f32 v44, v56, v44
	v_fma_f32 v56, v62, v70, -v53
	v_mul_f32_e32 v62, v47, v67
	v_dual_mul_f32 v67, v46, v67 :: v_dual_fmac_f32 v68, v63, v70
	s_delay_alu instid0(VALU_DEP_2) | instskip(NEXT) | instid1(VALU_DEP_2)
	v_fma_f32 v61, v46, v66, -v62
	v_fmac_f32_e32 v67, v47, v66
	v_mul_f32_e32 v66, v47, v71
	s_waitcnt lgkmcnt(0)
	v_dual_mul_f32 v71, v46, v71 :: v_dual_mul_f32 v76, v49, v1
	s_delay_alu instid0(VALU_DEP_3) | instskip(SKIP_1) | instid1(VALU_DEP_3)
	v_add_f32_e32 v64, v64, v67
	v_add_f32_e32 v57, v74, v75
	v_fmac_f32_e32 v71, v47, v70
	v_fma_f32 v46, v46, v70, -v66
	v_fma_f32 v47, v48, v0, -v76
	v_add_f32_e32 v74, v59, v56
	v_mul_f32_e32 v66, v48, v1
	v_add_f32_e32 v70, v65, v71
	v_add_f32_e32 v67, v45, v46
	;; [unrolled: 1-line block ×4, first 2 shown]
	ds_load_2addr_b64 v[52:55], v73 offset0:128 offset1:160
	v_fmac_f32_e32 v66, v49, v0
	v_add_f32_e32 v68, v57, v68
	ds_load_b128 v[56:59], v39 offset:4256
	v_add_f32_e32 v77, v69, v66
	s_waitcnt lgkmcnt(1)
	v_mul_f32_e32 v45, v49, v53
	v_mul_f32_e32 v65, v48, v53
	s_delay_alu instid0(VALU_DEP_2)
	v_fma_f32 v48, v48, v52, -v45
	ds_load_b128 v[44:47], v39 offset:4272
	v_add_f32_e32 v75, v60, v61
	ds_load_b128 v[60:63], v39 offset:176
	s_waitcnt lgkmcnt(2)
	v_mul_f32_e32 v76, v57, v1
	v_mul_f32_e32 v1, v56, v1
	;; [unrolled: 1-line block ×3, first 2 shown]
	v_fmac_f32_e32 v65, v49, v52
	v_add_f32_e32 v48, v74, v48
	v_fma_f32 v49, v56, v0, -v76
	v_dual_fmac_f32 v1, v57, v0 :: v_dual_mul_f32 v0, v56, v53
	v_fma_f32 v53, v56, v52, -v66
	v_mul_f32_e32 v56, v51, v3
	v_add_f32_e32 v74, v68, v65
	s_delay_alu instid0(VALU_DEP_4) | instskip(NEXT) | instid1(VALU_DEP_4)
	v_dual_add_f32 v1, v64, v1 :: v_dual_fmac_f32 v0, v57, v52
	v_add_f32_e32 v53, v67, v53
	s_delay_alu instid0(VALU_DEP_4)
	v_fma_f32 v56, v50, v2, -v56
	ds_load_2addr_b64 v[64:67], v72 offset0:192 offset1:224
	v_dual_mul_f32 v57, v51, v55 :: v_dual_add_f32 v0, v70, v0
	v_mul_f32_e32 v52, v50, v3
	v_add_f32_e32 v56, v71, v56
	ds_load_2addr_b64 v[68:71], v73 offset0:192 offset1:224
	v_mul_f32_e32 v72, v50, v55
	v_mul_f32_e32 v73, v59, v3
	v_fma_f32 v50, v50, v54, -v57
	v_mul_f32_e32 v3, v58, v3
	v_add_f32_e32 v49, v75, v49
	v_fmac_f32_e32 v52, v51, v2
	v_fmac_f32_e32 v72, v51, v54
	v_fma_f32 v51, v58, v2, -v73
	v_add_f32_e32 v48, v48, v50
	v_mul_f32_e32 v50, v59, v55
	v_fmac_f32_e32 v3, v59, v2
	s_delay_alu instid0(VALU_DEP_4) | instskip(SKIP_1) | instid1(VALU_DEP_4)
	v_dual_add_f32 v57, v74, v72 :: v_dual_add_f32 v2, v49, v51
	v_mul_f32_e32 v49, v58, v55
	v_fma_f32 v50, v58, v54, -v50
	s_waitcnt lgkmcnt(1)
	v_mul_f32_e32 v51, v61, v65
	v_add_f32_e32 v1, v1, v3
	v_mul_f32_e32 v3, v60, v65
	v_add_nc_u32_e32 v72, 0x1800, v41
	v_add_f32_e32 v52, v77, v52
	v_add_f32_e32 v50, v53, v50
	v_fma_f32 v51, v60, v64, -v51
	s_waitcnt lgkmcnt(0)
	v_mul_f32_e32 v53, v61, v69
	v_fmac_f32_e32 v3, v61, v64
	v_fmac_f32_e32 v49, v59, v54
	v_add_nc_u32_e32 v73, 0x1800, v43
	v_add_f32_e32 v54, v56, v51
	v_fma_f32 v51, v60, v68, -v53
	v_add_f32_e32 v56, v52, v3
	v_mul_f32_e32 v52, v44, v65
	v_add_f32_e32 v0, v0, v49
	v_mul_f32_e32 v49, v60, v69
	v_dual_mul_f32 v3, v45, v65 :: v_dual_add_f32 v58, v48, v51
	v_mul_f32_e32 v48, v45, v69
	v_dual_mul_f32 v51, v44, v69 :: v_dual_fmac_f32 v52, v45, v64
	s_delay_alu instid0(VALU_DEP_4) | instskip(NEXT) | instid1(VALU_DEP_4)
	v_fmac_f32_e32 v49, v61, v68
	v_fma_f32 v3, v44, v64, -v3
	s_delay_alu instid0(VALU_DEP_4) | instskip(NEXT) | instid1(VALU_DEP_4)
	v_fma_f32 v44, v44, v68, -v48
	v_fmac_f32_e32 v51, v45, v68
	v_add_f32_e32 v45, v1, v52
	v_mul_f32_e32 v1, v63, v67
	v_dual_add_f32 v57, v57, v49 :: v_dual_add_f32 v60, v2, v3
	v_add_f32_e32 v44, v50, v44
	v_add_f32_e32 v64, v0, v51
	s_delay_alu instid0(VALU_DEP_4)
	v_fma_f32 v52, v62, v66, -v1
	v_mul_f32_e32 v53, v63, v71
	ds_load_2addr_b64 v[0:3], v72 offset1:32
	ds_load_b128 v[48:51], v39 offset:192
	v_mul_f32_e32 v59, v62, v67
	v_mul_f32_e32 v61, v62, v71
	v_add_f32_e32 v65, v54, v52
	v_fma_f32 v62, v62, v70, -v53
	ds_load_2addr_b64 v[52:55], v73 offset1:32
	v_mul_f32_e32 v68, v47, v67
	v_mul_f32_e32 v67, v46, v67
	v_fmac_f32_e32 v59, v63, v66
	v_add_f32_e32 v74, v58, v62
	v_fmac_f32_e32 v61, v63, v70
	v_fma_f32 v62, v46, v66, -v68
	v_fmac_f32_e32 v67, v47, v66
	v_mul_f32_e32 v66, v47, v71
	s_delay_alu instid0(VALU_DEP_4) | instskip(NEXT) | instid1(VALU_DEP_4)
	v_dual_mul_f32 v71, v46, v71 :: v_dual_add_f32 v68, v57, v61
	v_add_f32_e32 v75, v60, v62
	ds_load_b128 v[60:63], v39 offset:208
	v_fma_f32 v46, v46, v70, -v66
	v_add_f32_e32 v66, v45, v67
	s_waitcnt lgkmcnt(2)
	v_dual_mul_f32 v76, v49, v1 :: v_dual_fmac_f32 v71, v47, v70
	v_mul_f32_e32 v67, v48, v1
	v_add_f32_e32 v70, v44, v46
	s_delay_alu instid0(VALU_DEP_3) | instskip(SKIP_3) | instid1(VALU_DEP_3)
	v_fma_f32 v45, v48, v0, -v76
	s_waitcnt lgkmcnt(1)
	v_dual_mul_f32 v44, v49, v53 :: v_dual_add_f32 v71, v64, v71
	v_mul_f32_e32 v64, v48, v53
	v_add_f32_e32 v76, v65, v45
	s_delay_alu instid0(VALU_DEP_3)
	v_fma_f32 v48, v48, v52, -v44
	ds_load_b128 v[44:47], v39 offset:4304
	v_add_f32_e32 v69, v56, v59
	ds_load_b128 v[56:59], v39 offset:4288
	v_fmac_f32_e32 v67, v49, v0
	v_fmac_f32_e32 v64, v49, v52
	s_delay_alu instid0(VALU_DEP_2) | instskip(SKIP_1) | instid1(VALU_DEP_2)
	v_dual_add_f32 v48, v74, v48 :: v_dual_add_f32 v77, v69, v67
	s_waitcnt lgkmcnt(0)
	v_dual_add_f32 v74, v68, v64 :: v_dual_mul_f32 v65, v57, v1
	v_mul_f32_e32 v1, v56, v1
	s_delay_alu instid0(VALU_DEP_2) | instskip(SKIP_1) | instid1(VALU_DEP_3)
	v_fma_f32 v49, v56, v0, -v65
	v_mul_f32_e32 v65, v57, v53
	v_dual_fmac_f32 v1, v57, v0 :: v_dual_mul_f32 v0, v56, v53
	s_delay_alu instid0(VALU_DEP_3) | instskip(NEXT) | instid1(VALU_DEP_3)
	v_add_f32_e32 v49, v75, v49
	v_fma_f32 v53, v56, v52, -v65
	v_mul_f32_e32 v56, v51, v3
	s_delay_alu instid0(VALU_DEP_4)
	v_dual_fmac_f32 v0, v57, v52 :: v_dual_add_f32 v1, v66, v1
	ds_load_2addr_b64 v[64:67], v72 offset0:64 offset1:96
	v_add_f32_e32 v53, v70, v53
	v_fma_f32 v56, v50, v2, -v56
	v_add_f32_e32 v0, v71, v0
	v_mul_f32_e32 v57, v51, v55
	ds_load_2addr_b64 v[68:71], v73 offset0:64 offset1:96
	v_mul_f32_e32 v52, v50, v3
	v_dual_add_f32 v56, v76, v56 :: v_dual_mul_f32 v75, v50, v55
	v_mul_f32_e32 v76, v59, v3
	v_fma_f32 v50, v50, v54, -v57
	s_delay_alu instid0(VALU_DEP_4) | instskip(NEXT) | instid1(VALU_DEP_4)
	v_dual_fmac_f32 v52, v51, v2 :: v_dual_mul_f32 v3, v58, v3
	v_fmac_f32_e32 v75, v51, v54
	s_delay_alu instid0(VALU_DEP_4) | instskip(NEXT) | instid1(VALU_DEP_4)
	v_fma_f32 v51, v58, v2, -v76
	v_add_f32_e32 v48, v48, v50
	v_mul_f32_e32 v50, v59, v55
	v_dual_fmac_f32 v3, v59, v2 :: v_dual_add_f32 v52, v77, v52
	s_delay_alu instid0(VALU_DEP_4) | instskip(SKIP_1) | instid1(VALU_DEP_4)
	v_add_f32_e32 v2, v49, v51
	v_mul_f32_e32 v49, v58, v55
	v_fma_f32 v50, v58, v54, -v50
	s_delay_alu instid0(VALU_DEP_4)
	v_add_f32_e32 v1, v1, v3
	s_waitcnt lgkmcnt(1)
	v_mul_f32_e32 v3, v60, v65
	v_mul_f32_e32 v51, v61, v65
	v_fmac_f32_e32 v49, v59, v54
	v_add_f32_e32 v50, v53, v50
	s_waitcnt lgkmcnt(0)
	v_mul_f32_e32 v53, v61, v69
	v_fmac_f32_e32 v3, v61, v64
	v_fma_f32 v51, v60, v64, -v51
	v_add_f32_e32 v55, v0, v49
	v_mul_f32_e32 v54, v60, v69
	v_fma_f32 v0, v60, v68, -v53
	v_dual_add_f32 v58, v52, v3 :: v_dual_mul_f32 v3, v45, v65
	v_mul_f32_e32 v49, v44, v65
	v_mul_f32_e32 v52, v44, v69
	s_delay_alu instid0(VALU_DEP_4) | instskip(NEXT) | instid1(VALU_DEP_4)
	v_dual_add_f32 v59, v48, v0 :: v_dual_mul_f32 v0, v45, v69
	v_fma_f32 v3, v44, v64, -v3
	v_add_f32_e32 v56, v56, v51
	v_dual_fmac_f32 v54, v61, v68 :: v_dual_mul_f32 v61, v62, v67
	s_delay_alu instid0(VALU_DEP_4) | instskip(SKIP_4) | instid1(VALU_DEP_4)
	v_fma_f32 v0, v44, v68, -v0
	v_mul_f32_e32 v44, v63, v67
	v_mul_f32_e32 v53, v63, v71
	;; [unrolled: 1-line block ×3, first 2 shown]
	v_dual_fmac_f32 v61, v63, v66 :: v_dual_fmac_f32 v52, v45, v68
	v_fma_f32 v44, v62, v66, -v44
	v_dual_fmac_f32 v49, v45, v64 :: v_dual_add_f32 v60, v2, v3
	s_delay_alu instid0(VALU_DEP_3) | instskip(NEXT) | instid1(VALU_DEP_3)
	v_dual_add_f32 v69, v58, v61 :: v_dual_add_f32 v68, v55, v52
	v_add_f32_e32 v44, v56, v44
	v_fma_f32 v56, v62, v70, -v53
	v_mul_f32_e32 v62, v47, v67
	v_dual_mul_f32 v67, v46, v67 :: v_dual_add_f32 v64, v1, v49
	v_add_f32_e32 v45, v50, v0
	ds_load_2addr_b64 v[0:3], v72 offset0:128 offset1:160
	ds_load_b128 v[48:51], v39 offset:224
	v_fma_f32 v61, v46, v66, -v62
	v_fmac_f32_e32 v67, v47, v66
	v_mul_f32_e32 v66, v47, v71
	v_mul_f32_e32 v71, v46, v71
	s_delay_alu instid0(VALU_DEP_3) | instskip(NEXT) | instid1(VALU_DEP_3)
	v_dual_fmac_f32 v65, v63, v70 :: v_dual_add_f32 v64, v64, v67
	v_fma_f32 v46, v46, v70, -v66
	s_delay_alu instid0(VALU_DEP_3) | instskip(NEXT) | instid1(VALU_DEP_1)
	v_fmac_f32_e32 v71, v47, v70
	v_dual_add_f32 v67, v45, v46 :: v_dual_add_f32 v68, v68, v71
	v_dual_add_f32 v57, v74, v75 :: v_dual_add_f32 v74, v59, v56
	s_delay_alu instid0(VALU_DEP_1) | instskip(SKIP_4) | instid1(VALU_DEP_2)
	v_add_f32_e32 v57, v57, v54
	ds_load_2addr_b64 v[52:55], v73 offset0:128 offset1:160
	s_waitcnt lgkmcnt(1)
	v_mul_f32_e32 v76, v49, v1
	v_mul_f32_e32 v66, v48, v1
	v_fma_f32 v47, v48, v0, -v76
	s_delay_alu instid0(VALU_DEP_2) | instskip(NEXT) | instid1(VALU_DEP_2)
	v_fmac_f32_e32 v66, v49, v0
	v_add_f32_e32 v70, v44, v47
	s_delay_alu instid0(VALU_DEP_2) | instskip(SKIP_3) | instid1(VALU_DEP_2)
	v_add_f32_e32 v76, v69, v66
	s_waitcnt lgkmcnt(0)
	v_mul_f32_e32 v45, v49, v53
	v_mul_f32_e32 v71, v48, v53
	v_fma_f32 v48, v48, v52, -v45
	ds_load_b128 v[44:47], v39 offset:4336
	v_add_f32_e32 v65, v57, v65
	ds_load_b128 v[56:59], v39 offset:4320
	v_add_f32_e32 v75, v60, v61
	ds_load_b128 v[60:63], v39 offset:240
	v_fmac_f32_e32 v71, v49, v52
	v_add_f32_e32 v48, v74, v48
	s_delay_alu instid0(VALU_DEP_2) | instskip(SKIP_4) | instid1(VALU_DEP_3)
	v_add_f32_e32 v74, v65, v71
	s_waitcnt lgkmcnt(1)
	v_mul_f32_e32 v66, v57, v1
	v_mul_f32_e32 v1, v56, v1
	;; [unrolled: 1-line block ×3, first 2 shown]
	v_fma_f32 v66, v56, v0, -v66
	s_delay_alu instid0(VALU_DEP_3) | instskip(NEXT) | instid1(VALU_DEP_3)
	v_dual_fmac_f32 v1, v57, v0 :: v_dual_mul_f32 v0, v56, v53
	v_fma_f32 v49, v56, v52, -v49
	v_mul_f32_e32 v56, v51, v3
	s_delay_alu instid0(VALU_DEP_4) | instskip(NEXT) | instid1(VALU_DEP_4)
	v_add_f32_e32 v53, v75, v66
	v_dual_add_f32 v1, v64, v1 :: v_dual_fmac_f32 v0, v57, v52
	s_delay_alu instid0(VALU_DEP_4) | instskip(NEXT) | instid1(VALU_DEP_4)
	v_add_f32_e32 v49, v67, v49
	v_fma_f32 v56, v50, v2, -v56
	ds_load_2addr_b64 v[64:67], v72 offset0:192 offset1:224
	v_dual_mul_f32 v57, v51, v55 :: v_dual_add_f32 v0, v68, v0
	v_mul_f32_e32 v52, v50, v3
	v_add_f32_e32 v56, v70, v56
	ds_load_2addr_b64 v[68:71], v73 offset0:192 offset1:224
	v_mul_f32_e32 v72, v50, v55
	v_fma_f32 v50, v50, v54, -v57
	v_mul_f32_e32 v57, v59, v3
	v_dual_fmac_f32 v52, v51, v2 :: v_dual_mul_f32 v3, v58, v3
	s_delay_alu instid0(VALU_DEP_4) | instskip(NEXT) | instid1(VALU_DEP_4)
	v_fmac_f32_e32 v72, v51, v54
	v_add_f32_e32 v48, v48, v50
	s_delay_alu instid0(VALU_DEP_4) | instskip(SKIP_3) | instid1(VALU_DEP_4)
	v_fma_f32 v50, v58, v2, -v57
	v_mul_f32_e32 v51, v59, v55
	v_fmac_f32_e32 v3, v59, v2
	v_dual_mul_f32 v55, v58, v55 :: v_dual_add_f32 v52, v76, v52
	v_add_f32_e32 v2, v53, v50
	s_delay_alu instid0(VALU_DEP_4)
	v_fma_f32 v50, v58, v54, -v51
	s_waitcnt lgkmcnt(1)
	v_mul_f32_e32 v51, v61, v65
	v_fmac_f32_e32 v55, v59, v54
	v_add_f32_e32 v1, v1, v3
	v_mul_f32_e32 v3, v60, v65
	v_add_f32_e32 v49, v49, v50
	v_fma_f32 v50, v60, v64, -v51
	s_waitcnt lgkmcnt(0)
	v_mul_f32_e32 v51, v61, v69
	v_mul_f32_e32 v54, v45, v65
	v_dual_fmac_f32 v3, v61, v64 :: v_dual_add_f32 v0, v0, v55
	v_mul_f32_e32 v55, v62, v67
	s_delay_alu instid0(VALU_DEP_4) | instskip(NEXT) | instid1(VALU_DEP_4)
	v_fma_f32 v51, v60, v68, -v51
	v_fma_f32 v54, v44, v64, -v54
	s_delay_alu instid0(VALU_DEP_4)
	v_add_f32_e32 v3, v52, v3
	v_mul_f32_e32 v52, v44, v65
	v_mul_f32_e32 v53, v60, v69
	v_dual_add_f32 v48, v48, v51 :: v_dual_mul_f32 v51, v45, v69
	v_add_f32_e32 v2, v2, v54
	v_mul_f32_e32 v54, v44, v69
	v_add_f32_e32 v50, v56, v50
	v_fmac_f32_e32 v52, v45, v64
	v_fma_f32 v44, v44, v68, -v51
	s_delay_alu instid0(VALU_DEP_4) | instskip(SKIP_2) | instid1(VALU_DEP_4)
	v_dual_mul_f32 v51, v63, v67 :: v_dual_fmac_f32 v54, v45, v68
	v_fmac_f32_e32 v55, v63, v66
	v_add_f32_e32 v57, v74, v72
	v_add_f32_e32 v44, v49, v44
	s_delay_alu instid0(VALU_DEP_4)
	v_fma_f32 v45, v62, v66, -v51
	v_mul_f32_e32 v49, v63, v71
	v_fmac_f32_e32 v53, v61, v68
	v_dual_add_f32 v1, v1, v52 :: v_dual_mul_f32 v52, v62, v71
	v_add_f32_e32 v0, v0, v54
	v_dual_add_f32 v50, v50, v45 :: v_dual_add_f32 v51, v3, v55
	v_fma_f32 v3, v62, v70, -v49
	v_mul_f32_e32 v45, v47, v67
	v_mul_f32_e32 v54, v46, v67
	;; [unrolled: 1-line block ×4, first 2 shown]
	v_dual_add_f32 v53, v57, v53 :: v_dual_fmac_f32 v52, v63, v70
	s_delay_alu instid0(VALU_DEP_4)
	v_fmac_f32_e32 v54, v47, v66
	v_add_f32_e32 v48, v48, v3
	v_fma_f32 v3, v46, v66, -v45
	v_fma_f32 v45, v46, v70, -v49
	v_fmac_f32_e32 v55, v47, v70
	v_add_f32_e32 v49, v53, v52
	s_delay_alu instid0(VALU_DEP_4) | instskip(NEXT) | instid1(VALU_DEP_4)
	v_dual_add_f32 v47, v1, v54 :: v_dual_add_f32 v46, v2, v3
	v_add_f32_e32 v45, v44, v45
	s_delay_alu instid0(VALU_DEP_4)
	v_add_f32_e32 v44, v0, v55
	s_barrier
	buffer_gl0_inv
	s_cbranch_scc1 .LBB95_55
.LBB95_7:                               ;   Parent Loop BB95_4 Depth=1
                                        ; =>  This Inner Loop Header: Depth=2
	v_add_co_u32 v0, s5, v10, s34
	s_delay_alu instid0(VALU_DEP_1) | instskip(SKIP_1) | instid1(VALU_DEP_2)
	v_add_co_ci_u32_e64 v1, s5, s35, v11, s5
	v_cmp_eq_u64_e64 s7, s[34:35], v[18:19]
	v_cmp_lt_i64_e64 s5, v[0:1], v[16:17]
	v_cmp_le_i64_e64 s6, s[12:13], v[0:1]
	s_delay_alu instid0(VALU_DEP_3) | instskip(SKIP_1) | instid1(VALU_DEP_3)
	s_and_b32 s43, s38, s7
	v_add_co_u32 v2, s7, v24, v20
	s_or_b32 s8, s3, s5
	v_add_co_ci_u32_e64 v3, s7, v25, v21, s7
	s_delay_alu instid0(VALU_DEP_3) | instskip(NEXT) | instid1(SALU_CYCLE_1)
	s_or_b32 s8, s6, s8
	s_or_b32 s7, s8, s43
	s_delay_alu instid0(SALU_CYCLE_1) | instskip(NEXT) | instid1(SALU_CYCLE_1)
	s_xor_b32 s7, s7, -1
	s_and_saveexec_b32 s8, s7
	s_delay_alu instid0(SALU_CYCLE_1)
	s_xor_b32 s7, exec_lo, s8
	s_cbranch_execz .LBB95_9
; %bb.8:                                ;   in Loop: Header=BB95_7 Depth=2
	global_load_b64 v[52:53], v[2:3], off
	s_waitcnt vmcnt(0)
	v_xor_b32_e32 v53, 0x80000000, v53
	ds_store_b64 v40, v[52:53]
.LBB95_9:                               ;   in Loop: Header=BB95_7 Depth=2
	s_or_saveexec_b32 s7, s7
	s_xor_b32 s42, s43, -1
	s_xor_b32 exec_lo, exec_lo, s7
	s_cbranch_execz .LBB95_15
; %bb.10:                               ;   in Loop: Header=BB95_7 Depth=2
	s_and_saveexec_b32 s8, s42
	s_delay_alu instid0(SALU_CYCLE_1)
	s_xor_b32 s8, exec_lo, s8
	s_cbranch_execz .LBB95_12
; %bb.11:                               ;   in Loop: Header=BB95_7 Depth=2
	v_mov_b32_e32 v52, v15
	v_mov_b32_e32 v53, v15
	ds_store_b64 v40, v[52:53]
.LBB95_12:                              ;   in Loop: Header=BB95_7 Depth=2
	s_and_not1_saveexec_b32 s8, s8
	s_cbranch_execz .LBB95_14
; %bb.13:                               ;   in Loop: Header=BB95_7 Depth=2
	ds_store_b64 v40, v[14:15]
.LBB95_14:                              ;   in Loop: Header=BB95_7 Depth=2
	s_or_b32 exec_lo, exec_lo, s8
.LBB95_15:                              ;   in Loop: Header=BB95_7 Depth=2
	s_delay_alu instid0(SALU_CYCLE_1) | instskip(SKIP_1) | instid1(VALU_DEP_1)
	s_or_b32 exec_lo, exec_lo, s7
	v_add_co_u32 v52, s7, v0, 16
	v_add_co_ci_u32_e64 v53, s7, 0, v1, s7
	v_cmp_eq_u64_e64 s9, s[34:35], v[34:35]
	s_delay_alu instid0(VALU_DEP_2) | instskip(SKIP_1) | instid1(VALU_DEP_3)
	v_cmp_lt_i64_e64 s8, v[52:53], v[16:17]
	v_cmp_le_i64_e64 s7, s[12:13], v[52:53]
	s_and_b32 s9, s38, s9
	s_delay_alu instid0(VALU_DEP_2)
	s_or_b32 s8, s3, s8
	s_delay_alu instid0(VALU_DEP_1) | instid1(SALU_CYCLE_1)
	s_or_b32 s8, s7, s8
	s_delay_alu instid0(SALU_CYCLE_1) | instskip(NEXT) | instid1(SALU_CYCLE_1)
	s_or_b32 s8, s8, s9
	s_xor_b32 s8, s8, -1
	s_delay_alu instid0(SALU_CYCLE_1) | instskip(NEXT) | instid1(SALU_CYCLE_1)
	s_and_saveexec_b32 s46, s8
	s_xor_b32 s46, exec_lo, s46
	s_cbranch_execz .LBB95_17
; %bb.16:                               ;   in Loop: Header=BB95_7 Depth=2
	v_add_co_u32 v52, s8, v22, v20
	s_delay_alu instid0(VALU_DEP_1)
	v_add_co_ci_u32_e64 v53, s8, v23, v21, s8
	global_load_b64 v[52:53], v[52:53], off
	s_waitcnt vmcnt(0)
	v_xor_b32_e32 v53, 0x80000000, v53
	ds_store_b64 v40, v[52:53] offset:128
.LBB95_17:                              ;   in Loop: Header=BB95_7 Depth=2
	s_and_not1_saveexec_b32 s8, s46
	s_cbranch_execz .LBB95_23
; %bb.18:                               ;   in Loop: Header=BB95_7 Depth=2
	s_xor_b32 s9, s9, -1
	s_delay_alu instid0(SALU_CYCLE_1) | instskip(NEXT) | instid1(SALU_CYCLE_1)
	s_and_saveexec_b32 s46, s9
	s_xor_b32 s9, exec_lo, s46
	s_cbranch_execz .LBB95_20
; %bb.19:                               ;   in Loop: Header=BB95_7 Depth=2
	v_mov_b32_e32 v52, v15
	v_mov_b32_e32 v53, v15
	ds_store_b64 v40, v[52:53] offset:128
.LBB95_20:                              ;   in Loop: Header=BB95_7 Depth=2
	s_and_not1_saveexec_b32 s9, s9
	s_cbranch_execz .LBB95_22
; %bb.21:                               ;   in Loop: Header=BB95_7 Depth=2
	ds_store_b64 v40, v[14:15] offset:128
.LBB95_22:                              ;   in Loop: Header=BB95_7 Depth=2
	s_or_b32 exec_lo, exec_lo, s9
.LBB95_23:                              ;   in Loop: Header=BB95_7 Depth=2
	s_delay_alu instid0(SALU_CYCLE_1) | instskip(SKIP_2) | instid1(VALU_DEP_2)
	s_or_b32 exec_lo, exec_lo, s8
	v_cmp_eq_u64_e64 s8, s[34:35], v[32:33]
	v_cmp_lt_i64_e64 s9, v[0:1], v[30:31]
	s_and_b32 s8, s38, s8
	s_delay_alu instid0(VALU_DEP_1) | instskip(NEXT) | instid1(SALU_CYCLE_1)
	s_or_b32 s9, s4, s9
	s_or_b32 s9, s9, s8
	s_delay_alu instid0(SALU_CYCLE_1) | instskip(NEXT) | instid1(SALU_CYCLE_1)
	s_or_b32 s6, s6, s9
	s_xor_b32 s6, s6, -1
	s_delay_alu instid0(SALU_CYCLE_1) | instskip(NEXT) | instid1(SALU_CYCLE_1)
	s_and_saveexec_b32 s9, s6
	s_xor_b32 s6, exec_lo, s9
	s_cbranch_execz .LBB95_25
; %bb.24:                               ;   in Loop: Header=BB95_7 Depth=2
	global_load_b64 v[0:1], v[2:3], off offset:128
	s_waitcnt vmcnt(0)
	v_xor_b32_e32 v1, 0x80000000, v1
	ds_store_b64 v40, v[0:1] offset:4096
.LBB95_25:                              ;   in Loop: Header=BB95_7 Depth=2
	s_and_not1_saveexec_b32 s6, s6
	s_cbranch_execz .LBB95_31
; %bb.26:                               ;   in Loop: Header=BB95_7 Depth=2
	s_xor_b32 s8, s8, -1
	s_delay_alu instid0(SALU_CYCLE_1) | instskip(NEXT) | instid1(SALU_CYCLE_1)
	s_and_saveexec_b32 s9, s8
	s_xor_b32 s8, exec_lo, s9
	s_cbranch_execz .LBB95_28
; %bb.27:                               ;   in Loop: Header=BB95_7 Depth=2
	v_mov_b32_e32 v0, v15
	v_mov_b32_e32 v1, v15
	ds_store_b64 v40, v[0:1] offset:4096
.LBB95_28:                              ;   in Loop: Header=BB95_7 Depth=2
	s_and_not1_saveexec_b32 s8, s8
	s_cbranch_execz .LBB95_30
; %bb.29:                               ;   in Loop: Header=BB95_7 Depth=2
	ds_store_b64 v40, v[14:15] offset:4096
.LBB95_30:                              ;   in Loop: Header=BB95_7 Depth=2
	s_or_b32 exec_lo, exec_lo, s8
.LBB95_31:                              ;   in Loop: Header=BB95_7 Depth=2
	s_delay_alu instid0(SALU_CYCLE_1) | instskip(SKIP_1) | instid1(SALU_CYCLE_1)
	s_or_b32 exec_lo, exec_lo, s6
	s_or_b32 s5, s4, s5
	s_or_b32 s5, s7, s5
	s_delay_alu instid0(SALU_CYCLE_1) | instskip(NEXT) | instid1(SALU_CYCLE_1)
	s_or_b32 s5, s5, s43
	s_xor_b32 s5, s5, -1
	s_delay_alu instid0(SALU_CYCLE_1) | instskip(NEXT) | instid1(SALU_CYCLE_1)
	s_and_saveexec_b32 s6, s5
	s_xor_b32 s6, exec_lo, s6
	s_cbranch_execz .LBB95_33
; %bb.32:                               ;   in Loop: Header=BB95_7 Depth=2
	v_add_co_u32 v0, s5, v22, v20
	s_delay_alu instid0(VALU_DEP_1)
	v_add_co_ci_u32_e64 v1, s5, v23, v21, s5
	global_load_b64 v[0:1], v[0:1], off offset:128
	s_waitcnt vmcnt(0)
	v_xor_b32_e32 v1, 0x80000000, v1
	ds_store_b64 v40, v[0:1] offset:4224
.LBB95_33:                              ;   in Loop: Header=BB95_7 Depth=2
	s_and_not1_saveexec_b32 s5, s6
	s_cbranch_execz .LBB95_39
; %bb.34:                               ;   in Loop: Header=BB95_7 Depth=2
	s_and_saveexec_b32 s6, s42
	s_delay_alu instid0(SALU_CYCLE_1)
	s_xor_b32 s6, exec_lo, s6
	s_cbranch_execz .LBB95_36
; %bb.35:                               ;   in Loop: Header=BB95_7 Depth=2
	v_mov_b32_e32 v0, v15
	v_mov_b32_e32 v1, v15
	ds_store_b64 v40, v[0:1] offset:4224
.LBB95_36:                              ;   in Loop: Header=BB95_7 Depth=2
	s_and_not1_saveexec_b32 s6, s6
	s_cbranch_execz .LBB95_38
; %bb.37:                               ;   in Loop: Header=BB95_7 Depth=2
	ds_store_b64 v40, v[14:15] offset:4224
.LBB95_38:                              ;   in Loop: Header=BB95_7 Depth=2
	s_or_b32 exec_lo, exec_lo, s6
.LBB95_39:                              ;   in Loop: Header=BB95_7 Depth=2
	s_delay_alu instid0(SALU_CYCLE_1) | instskip(SKIP_1) | instid1(VALU_DEP_1)
	s_or_b32 exec_lo, exec_lo, s5
	v_add_co_u32 v0, s5, v12, s34
	v_add_co_ci_u32_e64 v1, s5, s35, v13, s5
	v_add_co_u32 v2, s6, v36, v26
	s_delay_alu instid0(VALU_DEP_1) | instskip(NEXT) | instid1(VALU_DEP_3)
	v_add_co_ci_u32_e64 v3, s6, v37, v27, s6
	v_cmp_le_i64_e64 s5, s[12:13], v[0:1]
	s_delay_alu instid0(VALU_DEP_1) | instskip(NEXT) | instid1(SALU_CYCLE_1)
	s_or_b32 s6, s5, vcc_lo
	s_xor_b32 s6, s6, -1
	s_delay_alu instid0(SALU_CYCLE_1) | instskip(NEXT) | instid1(SALU_CYCLE_1)
	s_and_saveexec_b32 s7, s6
	s_xor_b32 s6, exec_lo, s7
	s_cbranch_execz .LBB95_41
; %bb.40:                               ;   in Loop: Header=BB95_7 Depth=2
	global_load_b64 v[52:53], v[2:3], off offset:-128
	s_waitcnt vmcnt(0)
	ds_store_b64 v42, v[52:53]
.LBB95_41:                              ;   in Loop: Header=BB95_7 Depth=2
	s_and_not1_saveexec_b32 s6, s6
	s_cbranch_execz .LBB95_43
; %bb.42:                               ;   in Loop: Header=BB95_7 Depth=2
	v_mov_b32_e32 v52, v15
	v_mov_b32_e32 v53, v15
	ds_store_b64 v42, v[52:53]
.LBB95_43:                              ;   in Loop: Header=BB95_7 Depth=2
	s_or_b32 exec_lo, exec_lo, s6
	s_or_b32 s5, s5, s0
	s_delay_alu instid0(SALU_CYCLE_1) | instskip(NEXT) | instid1(SALU_CYCLE_1)
	s_xor_b32 s5, s5, -1
	s_and_saveexec_b32 s6, s5
	s_delay_alu instid0(SALU_CYCLE_1)
	s_xor_b32 s5, exec_lo, s6
	s_cbranch_execz .LBB95_45
; %bb.44:                               ;   in Loop: Header=BB95_7 Depth=2
	global_load_b64 v[2:3], v[2:3], off
	s_waitcnt vmcnt(0)
	ds_store_b64 v42, v[2:3] offset:128
.LBB95_45:                              ;   in Loop: Header=BB95_7 Depth=2
	s_and_not1_saveexec_b32 s5, s5
	s_cbranch_execz .LBB95_47
; %bb.46:                               ;   in Loop: Header=BB95_7 Depth=2
	v_mov_b32_e32 v2, v15
	v_mov_b32_e32 v3, v15
	ds_store_b64 v42, v[2:3] offset:128
.LBB95_47:                              ;   in Loop: Header=BB95_7 Depth=2
	s_or_b32 exec_lo, exec_lo, s5
	v_cmp_le_i64_e64 s5, s[30:31], v[0:1]
	s_delay_alu instid0(VALU_DEP_1) | instskip(NEXT) | instid1(SALU_CYCLE_1)
	s_or_b32 s6, s5, vcc_lo
	s_xor_b32 s6, s6, -1
	s_delay_alu instid0(SALU_CYCLE_1) | instskip(NEXT) | instid1(SALU_CYCLE_1)
	s_and_saveexec_b32 s7, s6
	s_xor_b32 s7, exec_lo, s7
	s_cbranch_execz .LBB95_49
; %bb.48:                               ;   in Loop: Header=BB95_7 Depth=2
	v_add_co_u32 v0, s6, v36, v28
	s_delay_alu instid0(VALU_DEP_1)
	v_add_co_ci_u32_e64 v1, s6, v37, v29, s6
	global_load_b64 v[0:1], v[0:1], off offset:-128
	s_waitcnt vmcnt(0)
	ds_store_b64 v42, v[0:1] offset:4096
.LBB95_49:                              ;   in Loop: Header=BB95_7 Depth=2
	s_and_not1_saveexec_b32 s6, s7
	s_cbranch_execz .LBB95_51
; %bb.50:                               ;   in Loop: Header=BB95_7 Depth=2
	v_mov_b32_e32 v0, v15
	v_mov_b32_e32 v1, v15
	ds_store_b64 v42, v[0:1] offset:4096
.LBB95_51:                              ;   in Loop: Header=BB95_7 Depth=2
	s_or_b32 exec_lo, exec_lo, s6
	s_or_b32 s5, s5, s0
	s_delay_alu instid0(SALU_CYCLE_1) | instskip(NEXT) | instid1(SALU_CYCLE_1)
	s_xor_b32 s5, s5, -1
	s_and_saveexec_b32 s6, s5
	s_delay_alu instid0(SALU_CYCLE_1)
	s_xor_b32 s6, exec_lo, s6
	s_cbranch_execz .LBB95_53
; %bb.52:                               ;   in Loop: Header=BB95_7 Depth=2
	v_add_co_u32 v0, s5, v36, v28
	s_delay_alu instid0(VALU_DEP_1)
	v_add_co_ci_u32_e64 v1, s5, v37, v29, s5
	global_load_b64 v[0:1], v[0:1], off
	s_waitcnt vmcnt(0)
	ds_store_b64 v42, v[0:1] offset:4224
.LBB95_53:                              ;   in Loop: Header=BB95_7 Depth=2
	s_and_not1_saveexec_b32 s5, s6
	s_cbranch_execz .LBB95_6
; %bb.54:                               ;   in Loop: Header=BB95_7 Depth=2
	v_mov_b32_e32 v0, v15
	v_mov_b32_e32 v1, v15
	ds_store_b64 v42, v[0:1] offset:4224
	s_branch .LBB95_6
.LBB95_55:                              ;   in Loop: Header=BB95_4 Depth=1
	v_mul_lo_u32 v2, v17, s40
	v_mul_lo_u32 v3, v16, s41
	v_mad_u64_u32 v[0:1], null, v16, s40, 0
	v_cmp_gt_i32_e64 s3, s10, v16
	s_delay_alu instid0(VALU_DEP_2) | instskip(NEXT) | instid1(VALU_DEP_1)
	v_add3_u32 v1, v1, v3, v2
	v_lshlrev_b64 v[0:1], 3, v[0:1]
	s_delay_alu instid0(VALU_DEP_1) | instskip(NEXT) | instid1(VALU_DEP_1)
	v_add_co_u32 v0, s4, s36, v0
	v_add_co_ci_u32_e64 v1, s4, s37, v1, s4
	s_and_b32 s4, s1, s3
	s_delay_alu instid0(SALU_CYCLE_1)
	s_and_saveexec_b32 s5, s4
	s_cbranch_execz .LBB95_57
; %bb.56:                               ;   in Loop: Header=BB95_4 Depth=1
	v_add_co_u32 v2, s4, v0, v4
	s_delay_alu instid0(VALU_DEP_1) | instskip(SKIP_4) | instid1(VALU_DEP_1)
	v_add_co_ci_u32_e64 v3, s4, v1, v5, s4
	v_mul_f32_e32 v13, s11, v51
	global_load_b64 v[17:18], v[2:3], off
	v_fmac_f32_e32 v13, s33, v50
	s_waitcnt vmcnt(0)
	v_dual_mul_f32 v11, s33, v51 :: v_dual_add_f32 v18, v18, v13
	s_delay_alu instid0(VALU_DEP_1) | instskip(NEXT) | instid1(VALU_DEP_1)
	v_fma_f32 v11, v50, s11, -v11
	v_add_f32_e32 v17, v17, v11
	global_store_b64 v[2:3], v[17:18], off
.LBB95_57:                              ;   in Loop: Header=BB95_4 Depth=1
	s_or_b32 exec_lo, exec_lo, s5
	s_and_b32 s3, s2, s3
	s_delay_alu instid0(SALU_CYCLE_1)
	s_and_saveexec_b32 s4, s3
	s_cbranch_execz .LBB95_59
; %bb.58:                               ;   in Loop: Header=BB95_4 Depth=1
	v_lshlrev_b64 v[2:3], 3, v[8:9]
	v_mul_f32_e32 v11, s33, v49
	s_delay_alu instid0(VALU_DEP_1) | instskip(NEXT) | instid1(VALU_DEP_3)
	v_fma_f32 v11, v48, s11, -v11
	v_add_co_u32 v0, s3, v0, v2
	s_delay_alu instid0(VALU_DEP_1) | instskip(SKIP_3) | instid1(VALU_DEP_1)
	v_add_co_ci_u32_e64 v1, s3, v1, v3, s3
	global_load_b64 v[2:3], v[0:1], off
	s_waitcnt vmcnt(0)
	v_dual_mul_f32 v13, s11, v49 :: v_dual_add_f32 v2, v2, v11
	v_fmac_f32_e32 v13, s33, v48
	s_delay_alu instid0(VALU_DEP_1)
	v_add_f32_e32 v3, v3, v13
	global_store_b64 v[0:1], v[2:3], off
.LBB95_59:                              ;   in Loop: Header=BB95_4 Depth=1
	s_or_b32 exec_lo, exec_lo, s4
	v_add_nc_u32_e32 v2, 16, v16
	s_delay_alu instid0(VALU_DEP_1) | instskip(SKIP_3) | instid1(VALU_DEP_4)
	v_ashrrev_i32_e32 v3, 31, v2
	v_mul_lo_u32 v11, v2, s41
	v_mad_u64_u32 v[0:1], null, v2, s40, 0
	v_cmp_gt_i32_e64 s3, s10, v2
	v_mul_lo_u32 v3, v3, s40
	s_delay_alu instid0(VALU_DEP_1) | instskip(NEXT) | instid1(VALU_DEP_1)
	v_add3_u32 v1, v1, v11, v3
	v_lshlrev_b64 v[0:1], 3, v[0:1]
	s_delay_alu instid0(VALU_DEP_1) | instskip(NEXT) | instid1(VALU_DEP_1)
	v_add_co_u32 v0, s4, s36, v0
	v_add_co_ci_u32_e64 v1, s4, s37, v1, s4
	s_and_b32 s4, s1, s3
	s_delay_alu instid0(SALU_CYCLE_1)
	s_and_saveexec_b32 s5, s4
	s_cbranch_execz .LBB95_61
; %bb.60:                               ;   in Loop: Header=BB95_4 Depth=1
	v_add_co_u32 v2, s4, v0, v4
	s_delay_alu instid0(VALU_DEP_1)
	v_add_co_ci_u32_e64 v3, s4, v1, v5, s4
	v_mul_f32_e32 v11, s33, v47
	v_mul_f32_e32 v13, s11, v47
	global_load_b64 v[16:17], v[2:3], off
	v_fma_f32 v11, v46, s11, -v11
	s_waitcnt vmcnt(0)
	s_delay_alu instid0(VALU_DEP_1) | instskip(NEXT) | instid1(VALU_DEP_1)
	v_dual_fmac_f32 v13, s33, v46 :: v_dual_add_f32 v16, v16, v11
	v_add_f32_e32 v17, v17, v13
	global_store_b64 v[2:3], v[16:17], off
.LBB95_61:                              ;   in Loop: Header=BB95_4 Depth=1
	s_or_b32 exec_lo, exec_lo, s5
	s_and_b32 s3, s2, s3
	s_delay_alu instid0(SALU_CYCLE_1)
	s_and_saveexec_b32 s4, s3
	s_cbranch_execz .LBB95_3
; %bb.62:                               ;   in Loop: Header=BB95_4 Depth=1
	v_lshlrev_b64 v[2:3], 3, v[8:9]
	v_mul_f32_e32 v11, s33, v44
	s_delay_alu instid0(VALU_DEP_1) | instskip(NEXT) | instid1(VALU_DEP_3)
	v_fma_f32 v11, v45, s11, -v11
	v_add_co_u32 v0, s3, v0, v2
	s_delay_alu instid0(VALU_DEP_1) | instskip(SKIP_3) | instid1(VALU_DEP_1)
	v_add_co_ci_u32_e64 v1, s3, v1, v3, s3
	global_load_b64 v[2:3], v[0:1], off
	s_waitcnt vmcnt(0)
	v_dual_mul_f32 v13, s11, v44 :: v_dual_add_f32 v2, v2, v11
	v_fmac_f32_e32 v13, s33, v45
	s_delay_alu instid0(VALU_DEP_1)
	v_add_f32_e32 v3, v3, v13
	global_store_b64 v[0:1], v[2:3], off
	s_branch .LBB95_3
.LBB95_63:
	s_nop 0
	s_sendmsg sendmsg(MSG_DEALLOC_VGPRS)
	s_endpgm
	.section	.rodata,"a",@progbits
	.p2align	6, 0x0
	.amdhsa_kernel _ZL30rocblas_trmm_outofplace_kernelI19rocblas_complex_numIfELi32ELi2ELb0ELb1ELb1ELb1ES1_KS1_S1_Ev17rocblas_diagonal_iiT6_lPT7_lllS6_lllPT8_llli
		.amdhsa_group_segment_fixed_size 16384
		.amdhsa_private_segment_fixed_size 0
		.amdhsa_kernarg_size 392
		.amdhsa_user_sgpr_count 13
		.amdhsa_user_sgpr_dispatch_ptr 0
		.amdhsa_user_sgpr_queue_ptr 0
		.amdhsa_user_sgpr_kernarg_segment_ptr 1
		.amdhsa_user_sgpr_dispatch_id 0
		.amdhsa_user_sgpr_private_segment_size 0
		.amdhsa_wavefront_size32 1
		.amdhsa_uses_dynamic_stack 0
		.amdhsa_enable_private_segment 0
		.amdhsa_system_sgpr_workgroup_id_x 1
		.amdhsa_system_sgpr_workgroup_id_y 1
		.amdhsa_system_sgpr_workgroup_id_z 1
		.amdhsa_system_sgpr_workgroup_info 0
		.amdhsa_system_vgpr_workitem_id 1
		.amdhsa_next_free_vgpr 86
		.amdhsa_next_free_sgpr 47
		.amdhsa_reserve_vcc 1
		.amdhsa_float_round_mode_32 0
		.amdhsa_float_round_mode_16_64 0
		.amdhsa_float_denorm_mode_32 3
		.amdhsa_float_denorm_mode_16_64 3
		.amdhsa_dx10_clamp 1
		.amdhsa_ieee_mode 1
		.amdhsa_fp16_overflow 0
		.amdhsa_workgroup_processor_mode 1
		.amdhsa_memory_ordered 1
		.amdhsa_forward_progress 0
		.amdhsa_shared_vgpr_count 0
		.amdhsa_exception_fp_ieee_invalid_op 0
		.amdhsa_exception_fp_denorm_src 0
		.amdhsa_exception_fp_ieee_div_zero 0
		.amdhsa_exception_fp_ieee_overflow 0
		.amdhsa_exception_fp_ieee_underflow 0
		.amdhsa_exception_fp_ieee_inexact 0
		.amdhsa_exception_int_div_zero 0
	.end_amdhsa_kernel
	.section	.text._ZL30rocblas_trmm_outofplace_kernelI19rocblas_complex_numIfELi32ELi2ELb0ELb1ELb1ELb1ES1_KS1_S1_Ev17rocblas_diagonal_iiT6_lPT7_lllS6_lllPT8_llli,"axG",@progbits,_ZL30rocblas_trmm_outofplace_kernelI19rocblas_complex_numIfELi32ELi2ELb0ELb1ELb1ELb1ES1_KS1_S1_Ev17rocblas_diagonal_iiT6_lPT7_lllS6_lllPT8_llli,comdat
.Lfunc_end95:
	.size	_ZL30rocblas_trmm_outofplace_kernelI19rocblas_complex_numIfELi32ELi2ELb0ELb1ELb1ELb1ES1_KS1_S1_Ev17rocblas_diagonal_iiT6_lPT7_lllS6_lllPT8_llli, .Lfunc_end95-_ZL30rocblas_trmm_outofplace_kernelI19rocblas_complex_numIfELi32ELi2ELb0ELb1ELb1ELb1ES1_KS1_S1_Ev17rocblas_diagonal_iiT6_lPT7_lllS6_lllPT8_llli
                                        ; -- End function
	.section	.AMDGPU.csdata,"",@progbits
; Kernel info:
; codeLenInByte = 7448
; NumSgprs: 49
; NumVgprs: 86
; ScratchSize: 0
; MemoryBound: 0
; FloatMode: 240
; IeeeMode: 1
; LDSByteSize: 16384 bytes/workgroup (compile time only)
; SGPRBlocks: 6
; VGPRBlocks: 10
; NumSGPRsForWavesPerEU: 49
; NumVGPRsForWavesPerEU: 86
; Occupancy: 16
; WaveLimiterHint : 0
; COMPUTE_PGM_RSRC2:SCRATCH_EN: 0
; COMPUTE_PGM_RSRC2:USER_SGPR: 13
; COMPUTE_PGM_RSRC2:TRAP_HANDLER: 0
; COMPUTE_PGM_RSRC2:TGID_X_EN: 1
; COMPUTE_PGM_RSRC2:TGID_Y_EN: 1
; COMPUTE_PGM_RSRC2:TGID_Z_EN: 1
; COMPUTE_PGM_RSRC2:TIDIG_COMP_CNT: 1
	.section	.text._ZL23rocblas_trmm_lNx_kernelILi16E19rocblas_complex_numIfEPKS1_S2_S1_Ev13rocblas_fill_17rocblas_diagonal_iiT1_lPT2_llS8_llPT3_lli,"axG",@progbits,_ZL23rocblas_trmm_lNx_kernelILi16E19rocblas_complex_numIfEPKS1_S2_S1_Ev13rocblas_fill_17rocblas_diagonal_iiT1_lPT2_llS8_llPT3_lli,comdat
	.globl	_ZL23rocblas_trmm_lNx_kernelILi16E19rocblas_complex_numIfEPKS1_S2_S1_Ev13rocblas_fill_17rocblas_diagonal_iiT1_lPT2_llS8_llPT3_lli ; -- Begin function _ZL23rocblas_trmm_lNx_kernelILi16E19rocblas_complex_numIfEPKS1_S2_S1_Ev13rocblas_fill_17rocblas_diagonal_iiT1_lPT2_llS8_llPT3_lli
	.p2align	8
	.type	_ZL23rocblas_trmm_lNx_kernelILi16E19rocblas_complex_numIfEPKS1_S2_S1_Ev13rocblas_fill_17rocblas_diagonal_iiT1_lPT2_llS8_llPT3_lli,@function
_ZL23rocblas_trmm_lNx_kernelILi16E19rocblas_complex_numIfEPKS1_S2_S1_Ev13rocblas_fill_17rocblas_diagonal_iiT1_lPT2_llS8_llPT3_lli: ; @_ZL23rocblas_trmm_lNx_kernelILi16E19rocblas_complex_numIfEPKS1_S2_S1_Ev13rocblas_fill_17rocblas_diagonal_iiT1_lPT2_llS8_llPT3_lli
; %bb.0:
	s_load_b512 s[16:31], s[0:1], 0x10
	s_mov_b32 s10, 0
	s_waitcnt lgkmcnt(0)
	s_mul_i32 s3, s15, s19
	s_mul_hi_u32 s4, s15, s18
	s_mul_i32 s2, s15, s18
	s_add_i32 s3, s4, s3
	s_delay_alu instid0(SALU_CYCLE_1) | instskip(NEXT) | instid1(SALU_CYCLE_1)
	s_lshl_b64 s[2:3], s[2:3], 3
	s_add_u32 s2, s16, s2
	s_addc_u32 s3, s17, s3
	s_load_b64 s[8:9], s[2:3], 0x0
	s_waitcnt lgkmcnt(0)
	v_cmp_neq_f32_e64 s2, s8, 0
	v_cmp_neq_f32_e64 s3, s9, 0
	s_delay_alu instid0(VALU_DEP_1) | instskip(NEXT) | instid1(SALU_CYCLE_1)
	s_or_b32 s2, s2, s3
	s_and_not1_b32 vcc_lo, exec_lo, s2
	s_cbranch_vccnz .LBB96_15
; %bb.1:
	s_load_b128 s[4:7], s[0:1], 0x0
	v_bfe_u32 v1, v0, 10, 10
	s_mov_b32 s11, s10
	v_dual_mov_b32 v5, s10 :: v_dual_and_b32 v4, 0x3ff, v0
	v_mov_b32_e32 v6, s11
	s_delay_alu instid0(VALU_DEP_3) | instskip(NEXT) | instid1(VALU_DEP_3)
	v_lshlrev_b32_e32 v2, 4, v1
	v_lshlrev_b32_e32 v0, 3, v4
	s_delay_alu instid0(VALU_DEP_2) | instskip(SKIP_4) | instid1(VALU_DEP_2)
	v_add_lshl_u32 v3, v2, v4, 3
	ds_store_2addr_stride64_b64 v3, v[5:6], v[5:6] offset1:4
	s_waitcnt lgkmcnt(0)
	v_cmp_gt_i32_e64 s2, s6, v1
	v_cmp_gt_i32_e32 vcc_lo, s6, v4
	s_and_b32 s2, s2, vcc_lo
	s_delay_alu instid0(SALU_CYCLE_1)
	s_and_saveexec_b32 s3, s2
	s_cbranch_execz .LBB96_3
; %bb.2:
	v_mad_u64_u32 v[5:6], null, v1, s22, 0
	s_mul_i32 s2, s15, s25
	s_mul_hi_u32 s6, s15, s24
	s_mul_i32 s10, s15, s24
	s_add_i32 s11, s6, s2
	s_delay_alu instid0(SALU_CYCLE_1) | instskip(NEXT) | instid1(VALU_DEP_1)
	s_lshl_b64 s[10:11], s[10:11], 3
	v_mad_u64_u32 v[7:8], null, v1, s23, v[6:7]
	s_add_u32 s2, s20, s10
	s_addc_u32 s6, s21, s11
	s_delay_alu instid0(VALU_DEP_1) | instskip(NEXT) | instid1(VALU_DEP_1)
	v_mov_b32_e32 v6, v7
	v_lshlrev_b64 v[5:6], 3, v[5:6]
	s_delay_alu instid0(VALU_DEP_1) | instskip(NEXT) | instid1(VALU_DEP_1)
	v_add_co_u32 v5, s2, s2, v5
	v_add_co_ci_u32_e64 v6, s2, s6, v6, s2
	s_delay_alu instid0(VALU_DEP_2) | instskip(NEXT) | instid1(VALU_DEP_1)
	v_add_co_u32 v5, s2, v5, v0
	v_add_co_ci_u32_e64 v6, s2, 0, v6, s2
	global_load_b64 v[5:6], v[5:6], off
	s_waitcnt vmcnt(0)
	ds_store_b64 v3, v[5:6]
.LBB96_3:
	s_or_b32 exec_lo, exec_lo, s3
	s_add_i32 s2, s7, -1
	s_delay_alu instid0(SALU_CYCLE_1) | instskip(NEXT) | instid1(SALU_CYCLE_1)
	s_ashr_i32 s3, s2, 31
	s_lshr_b32 s3, s3, 28
	s_delay_alu instid0(SALU_CYCLE_1) | instskip(NEXT) | instid1(SALU_CYCLE_1)
	s_add_i32 s2, s2, s3
	s_and_b32 s3, s2, -16
	s_ashr_i32 s2, s2, 4
	s_sub_i32 s3, s7, s3
	s_cmp_ge_i32 s14, s2
	s_cselect_b32 s2, s3, 16
	s_lshl_b32 s6, s14, 4
	v_cmp_gt_i32_e64 s2, s2, v1
	s_ashr_i32 s7, s6, 31
	s_delay_alu instid0(VALU_DEP_1) | instskip(NEXT) | instid1(SALU_CYCLE_1)
	s_and_b32 s2, vcc_lo, s2
	s_and_saveexec_b32 s3, s2
	s_cbranch_execz .LBB96_5
; %bb.4:
	v_mad_u64_u32 v[5:6], null, v1, s28, 0
	s_mul_i32 s11, s15, s31
	s_mul_hi_u32 s12, s15, s30
	s_mul_i32 s10, s15, s30
	s_add_i32 s11, s12, s11
	s_mul_i32 s13, s6, s29
	s_lshl_b64 s[10:11], s[10:11], 3
	s_delay_alu instid0(VALU_DEP_1)
	v_mad_u64_u32 v[7:8], null, v1, s29, v[6:7]
	s_mul_hi_u32 s12, s6, s28
	s_add_u32 s16, s26, s10
	s_mul_i32 s14, s7, s28
	s_addc_u32 s17, s27, s11
	s_add_i32 s11, s12, s13
	s_mul_i32 s10, s6, s28
	s_delay_alu instid0(VALU_DEP_1) | instskip(SKIP_1) | instid1(SALU_CYCLE_1)
	v_dual_mov_b32 v6, v7 :: v_dual_add_nc_u32 v7, 0x800, v3
	s_add_i32 s11, s11, s14
	s_lshl_b64 s[10:11], s[10:11], 3
	s_delay_alu instid0(VALU_DEP_1) | instskip(SKIP_2) | instid1(VALU_DEP_1)
	v_lshlrev_b64 v[5:6], 3, v[5:6]
	s_add_u32 s10, s16, s10
	s_addc_u32 s11, s17, s11
	v_add_co_u32 v5, vcc_lo, s10, v5
	s_delay_alu instid0(VALU_DEP_2) | instskip(NEXT) | instid1(VALU_DEP_2)
	v_add_co_ci_u32_e32 v6, vcc_lo, s11, v6, vcc_lo
	v_add_co_u32 v5, vcc_lo, v5, v0
	s_delay_alu instid0(VALU_DEP_2)
	v_add_co_ci_u32_e32 v6, vcc_lo, 0, v6, vcc_lo
	global_load_b64 v[5:6], v[5:6], off
	s_waitcnt vmcnt(0)
	ds_store_b64 v7, v[5:6]
.LBB96_5:
	s_or_b32 exec_lo, exec_lo, s3
	v_cmp_eq_u32_e32 vcc_lo, v1, v4
	s_cmpk_eq_i32 s5, 0x84
	s_cselect_b32 s3, -1, 0
	s_delay_alu instid0(SALU_CYCLE_1) | instskip(NEXT) | instid1(SALU_CYCLE_1)
	s_and_b32 s5, vcc_lo, s3
	s_and_saveexec_b32 s3, s5
	s_cbranch_execz .LBB96_7
; %bb.6:
	v_dual_mov_b32 v5, 1.0 :: v_dual_mov_b32 v6, 0
	ds_store_b64 v3, v[5:6]
.LBB96_7:
	s_or_b32 exec_lo, exec_lo, s3
	s_cmpk_lg_i32 s4, 0x79
	s_cbranch_scc0 .LBB96_9
; %bb.8:
	v_cmp_lt_u32_e32 vcc_lo, v4, v1
	s_and_b32 s3, vcc_lo, exec_lo
	s_cbranch_execz .LBB96_10
	s_branch .LBB96_11
.LBB96_9:
	s_mov_b32 s3, 0
.LBB96_10:
	v_cmp_gt_u32_e32 vcc_lo, v4, v1
	s_and_not1_b32 s3, s3, exec_lo
	s_and_b32 s4, vcc_lo, exec_lo
	s_delay_alu instid0(SALU_CYCLE_1)
	s_or_b32 s3, s3, s4
.LBB96_11:
	s_delay_alu instid0(SALU_CYCLE_1)
	s_and_saveexec_b32 s4, s3
	s_cbranch_execz .LBB96_13
; %bb.12:
	v_mov_b32_e32 v4, 0
	s_delay_alu instid0(VALU_DEP_1)
	v_mov_b32_e32 v5, v4
	ds_store_b64 v3, v[4:5]
.LBB96_13:
	s_or_b32 exec_lo, exec_lo, s4
	s_waitcnt lgkmcnt(0)
	s_barrier
	buffer_gl0_inv
	s_and_saveexec_b32 s3, s2
	s_cbranch_execz .LBB96_15
; %bb.14:
	v_lshlrev_b32_e32 v62, 3, v2
	s_clause 0x1
	s_load_b64 s[4:5], s[0:1], 0x60
	s_load_b128 s[0:3], s[0:1], 0x50
	ds_load_2addr_b64 v[2:5], v0 offset1:16
	ds_load_b128 v[6:9], v62 offset:2048
	ds_load_2addr_b64 v[10:13], v0 offset0:32 offset1:48
	ds_load_b128 v[14:17], v62 offset:2064
	ds_load_2addr_b64 v[18:21], v0 offset0:64 offset1:80
	;; [unrolled: 2-line block ×3, first 2 shown]
	ds_load_2addr_b64 v[30:33], v0 offset0:128 offset1:144
	ds_load_b128 v[34:37], v62 offset:2096
	ds_load_2addr_b64 v[38:41], v0 offset0:160 offset1:176
	ds_load_b128 v[42:45], v62 offset:2112
	ds_load_2addr_b64 v[46:49], v0 offset0:192 offset1:208
	ds_load_2addr_b64 v[50:53], v0 offset0:224 offset1:240
	ds_load_b128 v[54:57], v62 offset:2128
	s_waitcnt lgkmcnt(0)
	v_dual_mul_f32 v67, v8, v5 :: v_dual_mul_f32 v66, v6, v3
	v_dual_mul_f32 v69, v16, v13 :: v_dual_mul_f32 v68, v14, v11
	v_mul_f32_e32 v71, v24, v21
	s_delay_alu instid0(VALU_DEP_3) | instskip(SKIP_2) | instid1(VALU_DEP_3)
	v_dual_fmac_f32 v67, v9, v4 :: v_dual_fmac_f32 v66, v7, v2
	v_dual_mul_f32 v70, v22, v19 :: v_dual_mul_f32 v73, v36, v29
	v_dual_mul_f32 v74, v42, v31 :: v_dual_mul_f32 v5, v9, v5
	v_dual_add_f32 v66, 0, v66 :: v_dual_mul_f32 v3, v7, v3
	v_fmac_f32_e32 v68, v15, v10
	v_dual_mul_f32 v76, v54, v39 :: v_dual_fmac_f32 v69, v17, v12
	s_delay_alu instid0(VALU_DEP_3) | instskip(NEXT) | instid1(VALU_DEP_4)
	v_add_f32_e32 v7, v66, v67
	v_fma_f32 v2, v6, v2, -v3
	v_mul_f32_e32 v66, v56, v41
	v_mul_f32_e32 v6, v15, v11
	v_fma_f32 v4, v8, v4, -v5
	v_mul_f32_e32 v5, v17, v13
	v_dual_add_f32 v3, v7, v68 :: v_dual_add_f32 v2, 0, v2
	v_dual_fmac_f32 v70, v23, v18 :: v_dual_fmac_f32 v71, v25, v20
	v_fma_f32 v6, v14, v10, -v6
	s_delay_alu instid0(VALU_DEP_3)
	v_dual_add_f32 v3, v3, v69 :: v_dual_add_f32 v2, v2, v4
	ds_load_b128 v[58:61], v62 offset:2144
	ds_load_b128 v[62:65], v62 offset:2160
	v_dual_mul_f32 v72, v34, v27 :: v_dual_mul_f32 v75, v44, v33
	v_add_f32_e32 v3, v3, v70
	v_dual_mul_f32 v4, v23, v19 :: v_dual_fmac_f32 v73, v37, v28
	v_fma_f32 v5, v16, v12, -v5
	s_delay_alu instid0(VALU_DEP_3) | instskip(SKIP_3) | instid1(VALU_DEP_4)
	v_dual_add_f32 v2, v2, v6 :: v_dual_add_f32 v3, v3, v71
	v_dual_fmac_f32 v72, v35, v26 :: v_dual_fmac_f32 v75, v45, v32
	v_mul_f32_e32 v6, v25, v21
	v_fma_f32 v4, v22, v18, -v4
	v_dual_add_f32 v2, v2, v5 :: v_dual_mul_f32 v5, v35, v27
	s_delay_alu instid0(VALU_DEP_4) | instskip(NEXT) | instid1(VALU_DEP_4)
	v_add_f32_e32 v3, v3, v72
	v_fma_f32 v6, v24, v20, -v6
	v_fmac_f32_e32 v74, v43, v30
	s_delay_alu instid0(VALU_DEP_4)
	v_add_f32_e32 v2, v2, v4
	v_fma_f32 v5, v34, v26, -v5
	v_add_f32_e32 v3, v3, v73
	s_waitcnt lgkmcnt(1)
	v_dual_mul_f32 v7, v60, v49 :: v_dual_fmac_f32 v76, v55, v38
	v_add_f32_e32 v2, v2, v6
	v_mul_f32_e32 v6, v43, v31
	v_fmac_f32_e32 v66, v57, v40
	s_delay_alu instid0(VALU_DEP_4)
	v_fmac_f32_e32 v7, v61, v48
	s_mul_i32 s5, s15, s5
	v_add_f32_e32 v2, v2, v5
	v_mul_f32_e32 v5, v45, v33
	v_dual_mul_f32 v4, v37, v29 :: v_dual_add_f32 v3, v3, v74
	v_fma_f32 v6, v42, v30, -v6
	s_mul_hi_u32 s10, s15, s4
	s_delay_alu instid0(VALU_DEP_3) | instskip(NEXT) | instid1(VALU_DEP_3)
	v_fma_f32 v5, v44, v32, -v5
	v_fma_f32 v4, v36, v28, -v4
	s_waitcnt lgkmcnt(0)
	v_dual_add_f32 v3, v3, v75 :: v_dual_mul_f32 v10, v65, v53
	s_mul_i32 s4, s15, s4
	s_add_i32 s5, s10, s5
	s_mul_i32 s7, s7, s2
	s_delay_alu instid0(VALU_DEP_1) | instskip(SKIP_3) | instid1(VALU_DEP_3)
	v_add_f32_e32 v3, v3, v76
	v_add_f32_e32 v2, v2, v4
	v_mul_f32_e32 v4, v58, v47
	s_lshl_b64 s[4:5], s[4:5], 3
	v_add_f32_e32 v3, v3, v66
	s_add_u32 s4, s0, s4
	s_delay_alu instid0(VALU_DEP_2) | instskip(SKIP_4) | instid1(VALU_DEP_2)
	v_fmac_f32_e32 v4, v59, v46
	v_add_f32_e32 v2, v2, v6
	v_mul_f32_e32 v6, v55, v39
	s_addc_u32 s5, s1, s5
	s_mul_i32 s0, s6, s3
	v_dual_add_f32 v3, v3, v4 :: v_dual_add_f32 v2, v2, v5
	s_delay_alu instid0(VALU_DEP_2) | instskip(SKIP_2) | instid1(SALU_CYCLE_1)
	v_fma_f32 v5, v54, v38, -v6
	v_mul_f32_e32 v6, v57, v41
	s_mul_hi_u32 s1, s6, s2
	s_add_i32 s0, s1, s0
	s_delay_alu instid0(VALU_DEP_1) | instskip(SKIP_4) | instid1(SALU_CYCLE_1)
	v_fma_f32 v4, v56, v40, -v6
	v_add_f32_e32 v6, v3, v7
	v_mul_f32_e32 v7, v62, v51
	s_add_i32 s1, s0, s7
	s_mul_i32 s0, s6, s2
	s_lshl_b64 s[0:1], s[0:1], 3
	s_delay_alu instid0(VALU_DEP_1) | instskip(SKIP_2) | instid1(VALU_DEP_1)
	v_fmac_f32_e32 v7, v63, v50
	s_add_u32 s0, s4, s0
	s_addc_u32 s1, s5, s1
	v_dual_add_f32 v6, v6, v7 :: v_dual_mul_f32 v7, v64, v53
	s_delay_alu instid0(VALU_DEP_1) | instskip(SKIP_1) | instid1(VALU_DEP_2)
	v_dual_fmac_f32 v7, v65, v52 :: v_dual_add_f32 v2, v2, v5
	v_mul_f32_e32 v5, v59, v47
	v_add_f32_e32 v6, v6, v7
	s_delay_alu instid0(VALU_DEP_3) | instskip(NEXT) | instid1(VALU_DEP_3)
	v_add_f32_e32 v4, v2, v4
	v_fma_f32 v5, v58, v46, -v5
	v_mul_f32_e32 v8, v61, v49
	v_mad_u64_u32 v[2:3], null, v1, s2, 0
	s_delay_alu instid0(VALU_DEP_3) | instskip(NEXT) | instid1(VALU_DEP_3)
	v_add_f32_e32 v4, v4, v5
	v_fma_f32 v5, v60, v48, -v8
	s_delay_alu instid0(VALU_DEP_1) | instskip(NEXT) | instid1(VALU_DEP_4)
	v_dual_mul_f32 v8, v63, v51 :: v_dual_add_f32 v9, v4, v5
	v_mad_u64_u32 v[4:5], null, v1, s3, v[3:4]
	s_delay_alu instid0(VALU_DEP_2) | instskip(SKIP_1) | instid1(VALU_DEP_2)
	v_fma_f32 v8, v62, v50, -v8
	v_fma_f32 v5, v64, v52, -v10
	v_add_f32_e32 v1, v9, v8
	s_delay_alu instid0(VALU_DEP_4) | instskip(NEXT) | instid1(VALU_DEP_2)
	v_dual_mov_b32 v3, v4 :: v_dual_mul_f32 v4, s8, v6
	v_add_f32_e32 v5, v1, v5
	s_delay_alu instid0(VALU_DEP_2) | instskip(NEXT) | instid1(VALU_DEP_2)
	v_lshlrev_b64 v[1:2], 3, v[2:3]
	v_dual_mul_f32 v3, s9, v6 :: v_dual_fmac_f32 v4, s9, v5
	s_delay_alu instid0(VALU_DEP_2) | instskip(NEXT) | instid1(VALU_DEP_3)
	v_add_co_u32 v1, vcc_lo, s0, v1
	v_add_co_ci_u32_e32 v2, vcc_lo, s1, v2, vcc_lo
	s_delay_alu instid0(VALU_DEP_3) | instskip(NEXT) | instid1(VALU_DEP_3)
	v_fma_f32 v3, s8, v5, -v3
	v_add_co_u32 v0, vcc_lo, v1, v0
	s_delay_alu instid0(VALU_DEP_3)
	v_add_co_ci_u32_e32 v1, vcc_lo, 0, v2, vcc_lo
	global_store_b64 v[0:1], v[3:4], off
.LBB96_15:
	s_nop 0
	s_sendmsg sendmsg(MSG_DEALLOC_VGPRS)
	s_endpgm
	.section	.rodata,"a",@progbits
	.p2align	6, 0x0
	.amdhsa_kernel _ZL23rocblas_trmm_lNx_kernelILi16E19rocblas_complex_numIfEPKS1_S2_S1_Ev13rocblas_fill_17rocblas_diagonal_iiT1_lPT2_llS8_llPT3_lli
		.amdhsa_group_segment_fixed_size 4096
		.amdhsa_private_segment_fixed_size 0
		.amdhsa_kernarg_size 108
		.amdhsa_user_sgpr_count 14
		.amdhsa_user_sgpr_dispatch_ptr 0
		.amdhsa_user_sgpr_queue_ptr 0
		.amdhsa_user_sgpr_kernarg_segment_ptr 1
		.amdhsa_user_sgpr_dispatch_id 0
		.amdhsa_user_sgpr_private_segment_size 0
		.amdhsa_wavefront_size32 1
		.amdhsa_uses_dynamic_stack 0
		.amdhsa_enable_private_segment 0
		.amdhsa_system_sgpr_workgroup_id_x 1
		.amdhsa_system_sgpr_workgroup_id_y 0
		.amdhsa_system_sgpr_workgroup_id_z 1
		.amdhsa_system_sgpr_workgroup_info 0
		.amdhsa_system_vgpr_workitem_id 1
		.amdhsa_next_free_vgpr 77
		.amdhsa_next_free_sgpr 32
		.amdhsa_reserve_vcc 1
		.amdhsa_float_round_mode_32 0
		.amdhsa_float_round_mode_16_64 0
		.amdhsa_float_denorm_mode_32 3
		.amdhsa_float_denorm_mode_16_64 3
		.amdhsa_dx10_clamp 1
		.amdhsa_ieee_mode 1
		.amdhsa_fp16_overflow 0
		.amdhsa_workgroup_processor_mode 1
		.amdhsa_memory_ordered 1
		.amdhsa_forward_progress 0
		.amdhsa_shared_vgpr_count 0
		.amdhsa_exception_fp_ieee_invalid_op 0
		.amdhsa_exception_fp_denorm_src 0
		.amdhsa_exception_fp_ieee_div_zero 0
		.amdhsa_exception_fp_ieee_overflow 0
		.amdhsa_exception_fp_ieee_underflow 0
		.amdhsa_exception_fp_ieee_inexact 0
		.amdhsa_exception_int_div_zero 0
	.end_amdhsa_kernel
	.section	.text._ZL23rocblas_trmm_lNx_kernelILi16E19rocblas_complex_numIfEPKS1_S2_S1_Ev13rocblas_fill_17rocblas_diagonal_iiT1_lPT2_llS8_llPT3_lli,"axG",@progbits,_ZL23rocblas_trmm_lNx_kernelILi16E19rocblas_complex_numIfEPKS1_S2_S1_Ev13rocblas_fill_17rocblas_diagonal_iiT1_lPT2_llS8_llPT3_lli,comdat
.Lfunc_end96:
	.size	_ZL23rocblas_trmm_lNx_kernelILi16E19rocblas_complex_numIfEPKS1_S2_S1_Ev13rocblas_fill_17rocblas_diagonal_iiT1_lPT2_llS8_llPT3_lli, .Lfunc_end96-_ZL23rocblas_trmm_lNx_kernelILi16E19rocblas_complex_numIfEPKS1_S2_S1_Ev13rocblas_fill_17rocblas_diagonal_iiT1_lPT2_llS8_llPT3_lli
                                        ; -- End function
	.section	.AMDGPU.csdata,"",@progbits
; Kernel info:
; codeLenInByte = 1580
; NumSgprs: 34
; NumVgprs: 77
; ScratchSize: 0
; MemoryBound: 0
; FloatMode: 240
; IeeeMode: 1
; LDSByteSize: 4096 bytes/workgroup (compile time only)
; SGPRBlocks: 4
; VGPRBlocks: 9
; NumSGPRsForWavesPerEU: 34
; NumVGPRsForWavesPerEU: 77
; Occupancy: 16
; WaveLimiterHint : 0
; COMPUTE_PGM_RSRC2:SCRATCH_EN: 0
; COMPUTE_PGM_RSRC2:USER_SGPR: 14
; COMPUTE_PGM_RSRC2:TRAP_HANDLER: 0
; COMPUTE_PGM_RSRC2:TGID_X_EN: 1
; COMPUTE_PGM_RSRC2:TGID_Y_EN: 0
; COMPUTE_PGM_RSRC2:TGID_Z_EN: 1
; COMPUTE_PGM_RSRC2:TIDIG_COMP_CNT: 1
	.section	.text._ZL23rocblas_trmm_lNx_kernelILi16E19rocblas_complex_numIfES1_KS1_S1_Ev13rocblas_fill_17rocblas_diagonal_iiT1_lPT2_llS7_llPT3_lli,"axG",@progbits,_ZL23rocblas_trmm_lNx_kernelILi16E19rocblas_complex_numIfES1_KS1_S1_Ev13rocblas_fill_17rocblas_diagonal_iiT1_lPT2_llS7_llPT3_lli,comdat
	.globl	_ZL23rocblas_trmm_lNx_kernelILi16E19rocblas_complex_numIfES1_KS1_S1_Ev13rocblas_fill_17rocblas_diagonal_iiT1_lPT2_llS7_llPT3_lli ; -- Begin function _ZL23rocblas_trmm_lNx_kernelILi16E19rocblas_complex_numIfES1_KS1_S1_Ev13rocblas_fill_17rocblas_diagonal_iiT1_lPT2_llS7_llPT3_lli
	.p2align	8
	.type	_ZL23rocblas_trmm_lNx_kernelILi16E19rocblas_complex_numIfES1_KS1_S1_Ev13rocblas_fill_17rocblas_diagonal_iiT1_lPT2_llS7_llPT3_lli,@function
_ZL23rocblas_trmm_lNx_kernelILi16E19rocblas_complex_numIfES1_KS1_S1_Ev13rocblas_fill_17rocblas_diagonal_iiT1_lPT2_llS7_llPT3_lli: ; @_ZL23rocblas_trmm_lNx_kernelILi16E19rocblas_complex_numIfES1_KS1_S1_Ev13rocblas_fill_17rocblas_diagonal_iiT1_lPT2_llS7_llPT3_lli
; %bb.0:
	s_load_b64 s[8:9], s[0:1], 0x10
	s_mov_b32 s10, 0
	s_waitcnt lgkmcnt(0)
	v_cmp_neq_f32_e64 s2, s8, 0
	v_cmp_neq_f32_e64 s3, s9, 0
	s_delay_alu instid0(VALU_DEP_1) | instskip(NEXT) | instid1(SALU_CYCLE_1)
	s_or_b32 s2, s2, s3
	s_and_not1_b32 vcc_lo, exec_lo, s2
	s_cbranch_vccnz .LBB97_15
; %bb.1:
	s_clause 0x1
	s_load_b128 s[4:7], s[0:1], 0x0
	s_load_b512 s[16:31], s[0:1], 0x20
	v_bfe_u32 v1, v0, 10, 10
	s_mov_b32 s11, s10
	v_dual_mov_b32 v5, s10 :: v_dual_and_b32 v4, 0x3ff, v0
	v_mov_b32_e32 v6, s11
	s_delay_alu instid0(VALU_DEP_3) | instskip(NEXT) | instid1(VALU_DEP_3)
	v_lshlrev_b32_e32 v2, 4, v1
	v_lshlrev_b32_e32 v0, 3, v4
	s_delay_alu instid0(VALU_DEP_2) | instskip(SKIP_4) | instid1(VALU_DEP_2)
	v_add_lshl_u32 v3, v2, v4, 3
	ds_store_2addr_stride64_b64 v3, v[5:6], v[5:6] offset1:4
	s_waitcnt lgkmcnt(0)
	v_cmp_gt_i32_e64 s2, s6, v1
	v_cmp_gt_i32_e32 vcc_lo, s6, v4
	s_and_b32 s2, s2, vcc_lo
	s_delay_alu instid0(SALU_CYCLE_1)
	s_and_saveexec_b32 s3, s2
	s_cbranch_execz .LBB97_3
; %bb.2:
	v_mad_u64_u32 v[5:6], null, v1, s18, 0
	s_mul_i32 s2, s15, s21
	s_mul_hi_u32 s6, s15, s20
	s_mul_i32 s10, s15, s20
	s_add_i32 s11, s6, s2
	s_delay_alu instid0(SALU_CYCLE_1) | instskip(NEXT) | instid1(VALU_DEP_1)
	s_lshl_b64 s[10:11], s[10:11], 3
	v_mad_u64_u32 v[7:8], null, v1, s19, v[6:7]
	s_add_u32 s2, s16, s10
	s_addc_u32 s6, s17, s11
	s_delay_alu instid0(VALU_DEP_1) | instskip(NEXT) | instid1(VALU_DEP_1)
	v_mov_b32_e32 v6, v7
	v_lshlrev_b64 v[5:6], 3, v[5:6]
	s_delay_alu instid0(VALU_DEP_1) | instskip(NEXT) | instid1(VALU_DEP_1)
	v_add_co_u32 v5, s2, s2, v5
	v_add_co_ci_u32_e64 v6, s2, s6, v6, s2
	s_delay_alu instid0(VALU_DEP_2) | instskip(NEXT) | instid1(VALU_DEP_1)
	v_add_co_u32 v5, s2, v5, v0
	v_add_co_ci_u32_e64 v6, s2, 0, v6, s2
	global_load_b64 v[5:6], v[5:6], off
	s_waitcnt vmcnt(0)
	ds_store_b64 v3, v[5:6]
.LBB97_3:
	s_or_b32 exec_lo, exec_lo, s3
	s_add_i32 s2, s7, -1
	s_delay_alu instid0(SALU_CYCLE_1) | instskip(NEXT) | instid1(SALU_CYCLE_1)
	s_ashr_i32 s3, s2, 31
	s_lshr_b32 s3, s3, 28
	s_delay_alu instid0(SALU_CYCLE_1) | instskip(NEXT) | instid1(SALU_CYCLE_1)
	s_add_i32 s2, s2, s3
	s_and_b32 s3, s2, -16
	s_ashr_i32 s2, s2, 4
	s_sub_i32 s3, s7, s3
	s_cmp_ge_i32 s14, s2
	s_cselect_b32 s2, s3, 16
	s_lshl_b32 s3, s14, 4
	v_cmp_gt_i32_e64 s2, s2, v1
	s_ashr_i32 s6, s3, 31
	s_delay_alu instid0(VALU_DEP_1) | instskip(NEXT) | instid1(SALU_CYCLE_1)
	s_and_b32 s2, vcc_lo, s2
	s_and_saveexec_b32 s7, s2
	s_cbranch_execz .LBB97_5
; %bb.4:
	v_mad_u64_u32 v[5:6], null, v1, s24, 0
	s_mul_i32 s11, s15, s27
	s_mul_hi_u32 s12, s15, s26
	s_mul_i32 s10, s15, s26
	s_add_i32 s11, s12, s11
	s_mul_i32 s13, s3, s25
	s_lshl_b64 s[10:11], s[10:11], 3
	s_delay_alu instid0(VALU_DEP_1)
	v_mad_u64_u32 v[7:8], null, v1, s25, v[6:7]
	s_mul_hi_u32 s12, s3, s24
	s_add_u32 s16, s22, s10
	s_mul_i32 s14, s6, s24
	s_addc_u32 s17, s23, s11
	s_add_i32 s11, s12, s13
	s_mul_i32 s10, s3, s24
	s_delay_alu instid0(VALU_DEP_1) | instskip(SKIP_1) | instid1(SALU_CYCLE_1)
	v_dual_mov_b32 v6, v7 :: v_dual_add_nc_u32 v7, 0x800, v3
	s_add_i32 s11, s11, s14
	s_lshl_b64 s[10:11], s[10:11], 3
	s_delay_alu instid0(VALU_DEP_1) | instskip(SKIP_2) | instid1(VALU_DEP_1)
	v_lshlrev_b64 v[5:6], 3, v[5:6]
	s_add_u32 s10, s16, s10
	s_addc_u32 s11, s17, s11
	v_add_co_u32 v5, vcc_lo, s10, v5
	s_delay_alu instid0(VALU_DEP_2) | instskip(NEXT) | instid1(VALU_DEP_2)
	v_add_co_ci_u32_e32 v6, vcc_lo, s11, v6, vcc_lo
	v_add_co_u32 v5, vcc_lo, v5, v0
	s_delay_alu instid0(VALU_DEP_2)
	v_add_co_ci_u32_e32 v6, vcc_lo, 0, v6, vcc_lo
	global_load_b64 v[5:6], v[5:6], off
	s_waitcnt vmcnt(0)
	ds_store_b64 v7, v[5:6]
.LBB97_5:
	s_or_b32 exec_lo, exec_lo, s7
	v_cmp_eq_u32_e32 vcc_lo, v1, v4
	s_cmpk_eq_i32 s5, 0x84
	s_cselect_b32 s5, -1, 0
	s_delay_alu instid0(SALU_CYCLE_1) | instskip(NEXT) | instid1(SALU_CYCLE_1)
	s_and_b32 s7, vcc_lo, s5
	s_and_saveexec_b32 s5, s7
	s_cbranch_execz .LBB97_7
; %bb.6:
	v_dual_mov_b32 v5, 1.0 :: v_dual_mov_b32 v6, 0
	ds_store_b64 v3, v[5:6]
.LBB97_7:
	s_or_b32 exec_lo, exec_lo, s5
	s_cmpk_lg_i32 s4, 0x79
	s_cbranch_scc0 .LBB97_9
; %bb.8:
	v_cmp_lt_u32_e32 vcc_lo, v4, v1
	s_and_b32 s4, vcc_lo, exec_lo
	s_cbranch_execz .LBB97_10
	s_branch .LBB97_11
.LBB97_9:
	s_mov_b32 s4, 0
.LBB97_10:
	v_cmp_gt_u32_e32 vcc_lo, v4, v1
	s_and_not1_b32 s4, s4, exec_lo
	s_and_b32 s5, vcc_lo, exec_lo
	s_delay_alu instid0(SALU_CYCLE_1)
	s_or_b32 s4, s4, s5
.LBB97_11:
	s_delay_alu instid0(SALU_CYCLE_1)
	s_and_saveexec_b32 s5, s4
	s_cbranch_execz .LBB97_13
; %bb.12:
	v_mov_b32_e32 v4, 0
	s_delay_alu instid0(VALU_DEP_1)
	v_mov_b32_e32 v5, v4
	ds_store_b64 v3, v[4:5]
.LBB97_13:
	s_or_b32 exec_lo, exec_lo, s5
	s_waitcnt lgkmcnt(0)
	s_barrier
	buffer_gl0_inv
	s_and_saveexec_b32 s4, s2
	s_cbranch_execz .LBB97_15
; %bb.14:
	v_lshlrev_b32_e32 v62, 3, v2
	s_load_b64 s[0:1], s[0:1], 0x60
	s_mul_i32 s6, s6, s30
	ds_load_2addr_b64 v[2:5], v0 offset1:16
	ds_load_b128 v[6:9], v62 offset:2048
	ds_load_2addr_b64 v[10:13], v0 offset0:32 offset1:48
	ds_load_b128 v[14:17], v62 offset:2064
	ds_load_2addr_b64 v[18:21], v0 offset0:64 offset1:80
	;; [unrolled: 2-line block ×4, first 2 shown]
	ds_load_2addr_b64 v[38:41], v0 offset0:160 offset1:176
	ds_load_b128 v[42:45], v62 offset:2112
	ds_load_2addr_b64 v[46:49], v0 offset0:192 offset1:208
	ds_load_2addr_b64 v[50:53], v0 offset0:224 offset1:240
	ds_load_b128 v[54:57], v62 offset:2128
	s_waitcnt lgkmcnt(0)
	v_dual_mul_f32 v67, v8, v5 :: v_dual_mul_f32 v66, v6, v3
	v_mul_f32_e32 v69, v16, v13
	ds_load_b128 v[58:61], v62 offset:2144
	ds_load_b128 v[62:65], v62 offset:2160
	v_dual_mul_f32 v68, v14, v11 :: v_dual_mul_f32 v71, v24, v21
	v_dual_fmac_f32 v66, v7, v2 :: v_dual_fmac_f32 v67, v9, v4
	v_dual_mul_f32 v70, v22, v19 :: v_dual_mul_f32 v73, v32, v29
	s_delay_alu instid0(VALU_DEP_2) | instskip(SKIP_2) | instid1(VALU_DEP_3)
	v_dual_mul_f32 v3, v7, v3 :: v_dual_add_f32 v66, 0, v66
	v_dual_mul_f32 v76, v54, v39 :: v_dual_mul_f32 v5, v9, v5
	v_fmac_f32_e32 v68, v15, v10
	v_fma_f32 v2, v6, v2, -v3
	s_delay_alu instid0(VALU_DEP_4)
	v_add_f32_e32 v7, v66, v67
	v_mul_f32_e32 v6, v15, v11
	v_fma_f32 v4, v8, v4, -v5
	v_mul_f32_e32 v5, v17, v13
	v_fmac_f32_e32 v69, v17, v12
	v_dual_add_f32 v3, v7, v68 :: v_dual_add_f32 v2, 0, v2
	s_waitcnt lgkmcnt(1)
	v_mul_f32_e32 v66, v58, v47
	v_dual_fmac_f32 v70, v23, v18 :: v_dual_fmac_f32 v71, v25, v20
	s_delay_alu instid0(VALU_DEP_3) | instskip(SKIP_2) | instid1(VALU_DEP_3)
	v_dual_add_f32 v3, v3, v69 :: v_dual_add_f32 v2, v2, v4
	v_fma_f32 v6, v14, v10, -v6
	v_dual_mul_f32 v72, v30, v27 :: v_dual_mul_f32 v75, v44, v37
	v_add_f32_e32 v3, v3, v70
	v_dual_mul_f32 v4, v23, v19 :: v_dual_fmac_f32 v73, v33, v28
	v_fma_f32 v5, v16, v12, -v5
	v_add_f32_e32 v2, v2, v6
	v_dual_fmac_f32 v72, v31, v26 :: v_dual_fmac_f32 v75, v45, v36
	v_dual_mul_f32 v6, v25, v21 :: v_dual_add_f32 v3, v3, v71
	v_fma_f32 v4, v22, v18, -v4
	s_delay_alu instid0(VALU_DEP_4) | instskip(SKIP_1) | instid1(VALU_DEP_4)
	v_add_f32_e32 v2, v2, v5
	v_dual_mul_f32 v74, v42, v35 :: v_dual_mul_f32 v77, v56, v41
	v_add_f32_e32 v3, v3, v72
	s_delay_alu instid0(VALU_DEP_3) | instskip(SKIP_1) | instid1(VALU_DEP_4)
	v_dual_mul_f32 v5, v31, v27 :: v_dual_add_f32 v2, v2, v4
	v_fma_f32 v6, v24, v20, -v6
	v_fmac_f32_e32 v74, v43, v34
	s_delay_alu instid0(VALU_DEP_4) | instskip(NEXT) | instid1(VALU_DEP_4)
	v_add_f32_e32 v3, v3, v73
	v_fma_f32 v5, v30, v26, -v5
	s_delay_alu instid0(VALU_DEP_4)
	v_dual_fmac_f32 v77, v57, v40 :: v_dual_add_f32 v2, v2, v6
	v_mul_f32_e32 v6, v43, v35
	v_fmac_f32_e32 v76, v55, v38
	s_waitcnt lgkmcnt(0)
	v_dual_fmac_f32 v66, v59, v46 :: v_dual_mul_f32 v7, v62, v51
	v_add_f32_e32 v2, v2, v5
	v_mul_f32_e32 v5, v45, v37
	v_dual_mul_f32 v4, v33, v29 :: v_dual_add_f32 v3, v3, v74
	v_fma_f32 v6, v42, v34, -v6
	v_mul_f32_e32 v8, v61, v49
	s_delay_alu instid0(VALU_DEP_4) | instskip(NEXT) | instid1(VALU_DEP_4)
	v_fma_f32 v5, v44, v36, -v5
	v_fma_f32 v4, v32, v28, -v4
	v_add_f32_e32 v3, v3, v75
	s_mul_i32 s1, s15, s1
	s_mul_hi_u32 s2, s15, s0
	v_mul_f32_e32 v10, v65, v53
	v_add_f32_e32 v2, v2, v4
	v_mul_f32_e32 v4, v55, v39
	s_mul_i32 s0, s15, s0
	s_add_i32 s1, s2, s1
	v_fmac_f32_e32 v7, v63, v50
	v_add_f32_e32 v2, v2, v6
	v_mul_f32_e32 v6, v60, v49
	s_lshl_b64 s[0:1], s[0:1], 3
	s_delay_alu instid0(SALU_CYCLE_1) | instskip(NEXT) | instid1(VALU_DEP_2)
	s_add_u32 s2, s28, s0
	v_add_f32_e32 v2, v2, v5
	v_mul_f32_e32 v5, v57, v41
	v_add_f32_e32 v3, v3, v76
	v_fmac_f32_e32 v6, v61, v48
	s_addc_u32 s4, s29, s1
	s_mul_i32 s0, s3, s31
	s_mul_hi_u32 s1, s3, s30
	v_add_f32_e32 v3, v3, v77
	s_add_i32 s0, s1, s0
	s_delay_alu instid0(SALU_CYCLE_1) | instskip(SKIP_1) | instid1(VALU_DEP_1)
	s_add_i32 s1, s0, s6
	s_mul_i32 s0, s3, s30
	v_add_f32_e32 v3, v3, v66
	s_lshl_b64 s[0:1], s[0:1], 3
	s_delay_alu instid0(SALU_CYCLE_1) | instskip(SKIP_1) | instid1(VALU_DEP_1)
	s_add_u32 s0, s2, s0
	s_addc_u32 s1, s4, s1
	v_add_f32_e32 v6, v3, v6
	s_delay_alu instid0(VALU_DEP_1) | instskip(SKIP_1) | instid1(VALU_DEP_2)
	v_dual_add_f32 v6, v6, v7 :: v_dual_mul_f32 v7, v64, v53
	v_fma_f32 v4, v54, v38, -v4
	v_fmac_f32_e32 v7, v65, v52
	s_delay_alu instid0(VALU_DEP_2) | instskip(SKIP_2) | instid1(VALU_DEP_4)
	v_add_f32_e32 v2, v2, v4
	v_fma_f32 v4, v56, v40, -v5
	v_mul_f32_e32 v5, v59, v47
	v_add_f32_e32 v6, v6, v7
	s_delay_alu instid0(VALU_DEP_3) | instskip(NEXT) | instid1(VALU_DEP_3)
	v_add_f32_e32 v4, v2, v4
	v_fma_f32 v5, v58, v46, -v5
	v_mad_u64_u32 v[2:3], null, v1, s30, 0
	s_delay_alu instid0(VALU_DEP_2) | instskip(SKIP_1) | instid1(VALU_DEP_1)
	v_add_f32_e32 v4, v4, v5
	v_fma_f32 v5, v60, v48, -v8
	v_dual_mul_f32 v8, v63, v51 :: v_dual_add_f32 v9, v4, v5
	s_delay_alu instid0(VALU_DEP_4) | instskip(NEXT) | instid1(VALU_DEP_2)
	v_mad_u64_u32 v[4:5], null, v1, s31, v[3:4]
	v_fma_f32 v8, v62, v50, -v8
	v_fma_f32 v5, v64, v52, -v10
	s_delay_alu instid0(VALU_DEP_2) | instskip(NEXT) | instid1(VALU_DEP_4)
	v_add_f32_e32 v1, v9, v8
	v_dual_mov_b32 v3, v4 :: v_dual_mul_f32 v4, s8, v6
	s_delay_alu instid0(VALU_DEP_2) | instskip(NEXT) | instid1(VALU_DEP_2)
	v_add_f32_e32 v5, v1, v5
	v_lshlrev_b64 v[1:2], 3, v[2:3]
	s_delay_alu instid0(VALU_DEP_2) | instskip(NEXT) | instid1(VALU_DEP_2)
	v_dual_mul_f32 v3, s9, v6 :: v_dual_fmac_f32 v4, s9, v5
	v_add_co_u32 v1, vcc_lo, s0, v1
	s_delay_alu instid0(VALU_DEP_3) | instskip(NEXT) | instid1(VALU_DEP_3)
	v_add_co_ci_u32_e32 v2, vcc_lo, s1, v2, vcc_lo
	v_fma_f32 v3, s8, v5, -v3
	s_delay_alu instid0(VALU_DEP_3) | instskip(NEXT) | instid1(VALU_DEP_3)
	v_add_co_u32 v0, vcc_lo, v1, v0
	v_add_co_ci_u32_e32 v1, vcc_lo, 0, v2, vcc_lo
	global_store_b64 v[0:1], v[3:4], off
.LBB97_15:
	s_nop 0
	s_sendmsg sendmsg(MSG_DEALLOC_VGPRS)
	s_endpgm
	.section	.rodata,"a",@progbits
	.p2align	6, 0x0
	.amdhsa_kernel _ZL23rocblas_trmm_lNx_kernelILi16E19rocblas_complex_numIfES1_KS1_S1_Ev13rocblas_fill_17rocblas_diagonal_iiT1_lPT2_llS7_llPT3_lli
		.amdhsa_group_segment_fixed_size 4096
		.amdhsa_private_segment_fixed_size 0
		.amdhsa_kernarg_size 108
		.amdhsa_user_sgpr_count 14
		.amdhsa_user_sgpr_dispatch_ptr 0
		.amdhsa_user_sgpr_queue_ptr 0
		.amdhsa_user_sgpr_kernarg_segment_ptr 1
		.amdhsa_user_sgpr_dispatch_id 0
		.amdhsa_user_sgpr_private_segment_size 0
		.amdhsa_wavefront_size32 1
		.amdhsa_uses_dynamic_stack 0
		.amdhsa_enable_private_segment 0
		.amdhsa_system_sgpr_workgroup_id_x 1
		.amdhsa_system_sgpr_workgroup_id_y 0
		.amdhsa_system_sgpr_workgroup_id_z 1
		.amdhsa_system_sgpr_workgroup_info 0
		.amdhsa_system_vgpr_workitem_id 1
		.amdhsa_next_free_vgpr 78
		.amdhsa_next_free_sgpr 32
		.amdhsa_reserve_vcc 1
		.amdhsa_float_round_mode_32 0
		.amdhsa_float_round_mode_16_64 0
		.amdhsa_float_denorm_mode_32 3
		.amdhsa_float_denorm_mode_16_64 3
		.amdhsa_dx10_clamp 1
		.amdhsa_ieee_mode 1
		.amdhsa_fp16_overflow 0
		.amdhsa_workgroup_processor_mode 1
		.amdhsa_memory_ordered 1
		.amdhsa_forward_progress 0
		.amdhsa_shared_vgpr_count 0
		.amdhsa_exception_fp_ieee_invalid_op 0
		.amdhsa_exception_fp_denorm_src 0
		.amdhsa_exception_fp_ieee_div_zero 0
		.amdhsa_exception_fp_ieee_overflow 0
		.amdhsa_exception_fp_ieee_underflow 0
		.amdhsa_exception_fp_ieee_inexact 0
		.amdhsa_exception_int_div_zero 0
	.end_amdhsa_kernel
	.section	.text._ZL23rocblas_trmm_lNx_kernelILi16E19rocblas_complex_numIfES1_KS1_S1_Ev13rocblas_fill_17rocblas_diagonal_iiT1_lPT2_llS7_llPT3_lli,"axG",@progbits,_ZL23rocblas_trmm_lNx_kernelILi16E19rocblas_complex_numIfES1_KS1_S1_Ev13rocblas_fill_17rocblas_diagonal_iiT1_lPT2_llS7_llPT3_lli,comdat
.Lfunc_end97:
	.size	_ZL23rocblas_trmm_lNx_kernelILi16E19rocblas_complex_numIfES1_KS1_S1_Ev13rocblas_fill_17rocblas_diagonal_iiT1_lPT2_llS7_llPT3_lli, .Lfunc_end97-_ZL23rocblas_trmm_lNx_kernelILi16E19rocblas_complex_numIfES1_KS1_S1_Ev13rocblas_fill_17rocblas_diagonal_iiT1_lPT2_llS7_llPT3_lli
                                        ; -- End function
	.section	.AMDGPU.csdata,"",@progbits
; Kernel info:
; codeLenInByte = 1528
; NumSgprs: 34
; NumVgprs: 78
; ScratchSize: 0
; MemoryBound: 0
; FloatMode: 240
; IeeeMode: 1
; LDSByteSize: 4096 bytes/workgroup (compile time only)
; SGPRBlocks: 4
; VGPRBlocks: 9
; NumSGPRsForWavesPerEU: 34
; NumVGPRsForWavesPerEU: 78
; Occupancy: 16
; WaveLimiterHint : 0
; COMPUTE_PGM_RSRC2:SCRATCH_EN: 0
; COMPUTE_PGM_RSRC2:USER_SGPR: 14
; COMPUTE_PGM_RSRC2:TRAP_HANDLER: 0
; COMPUTE_PGM_RSRC2:TGID_X_EN: 1
; COMPUTE_PGM_RSRC2:TGID_Y_EN: 0
; COMPUTE_PGM_RSRC2:TGID_Z_EN: 1
; COMPUTE_PGM_RSRC2:TIDIG_COMP_CNT: 1
	.section	.text._ZL23rocblas_trmm_lTx_kernelILi16ELb0E19rocblas_complex_numIfEPKS1_S2_S1_Ev13rocblas_fill_17rocblas_diagonal_iiT2_lPT3_llS8_llPT4_lli,"axG",@progbits,_ZL23rocblas_trmm_lTx_kernelILi16ELb0E19rocblas_complex_numIfEPKS1_S2_S1_Ev13rocblas_fill_17rocblas_diagonal_iiT2_lPT3_llS8_llPT4_lli,comdat
	.globl	_ZL23rocblas_trmm_lTx_kernelILi16ELb0E19rocblas_complex_numIfEPKS1_S2_S1_Ev13rocblas_fill_17rocblas_diagonal_iiT2_lPT3_llS8_llPT4_lli ; -- Begin function _ZL23rocblas_trmm_lTx_kernelILi16ELb0E19rocblas_complex_numIfEPKS1_S2_S1_Ev13rocblas_fill_17rocblas_diagonal_iiT2_lPT3_llS8_llPT4_lli
	.p2align	8
	.type	_ZL23rocblas_trmm_lTx_kernelILi16ELb0E19rocblas_complex_numIfEPKS1_S2_S1_Ev13rocblas_fill_17rocblas_diagonal_iiT2_lPT3_llS8_llPT4_lli,@function
_ZL23rocblas_trmm_lTx_kernelILi16ELb0E19rocblas_complex_numIfEPKS1_S2_S1_Ev13rocblas_fill_17rocblas_diagonal_iiT2_lPT3_llS8_llPT4_lli: ; @_ZL23rocblas_trmm_lTx_kernelILi16ELb0E19rocblas_complex_numIfEPKS1_S2_S1_Ev13rocblas_fill_17rocblas_diagonal_iiT2_lPT3_llS8_llPT4_lli
; %bb.0:
	s_load_b512 s[16:31], s[0:1], 0x10
	s_waitcnt lgkmcnt(0)
	s_mul_i32 s3, s15, s19
	s_mul_hi_u32 s4, s15, s18
	s_mul_i32 s2, s15, s18
	s_add_i32 s3, s4, s3
	s_delay_alu instid0(SALU_CYCLE_1) | instskip(NEXT) | instid1(SALU_CYCLE_1)
	s_lshl_b64 s[2:3], s[2:3], 3
	s_add_u32 s2, s16, s2
	s_addc_u32 s3, s17, s3
	s_load_b64 s[8:9], s[2:3], 0x0
	s_waitcnt lgkmcnt(0)
	v_cmp_neq_f32_e64 s2, s8, 0
	v_cmp_neq_f32_e64 s3, s9, 0
	s_delay_alu instid0(VALU_DEP_1) | instskip(NEXT) | instid1(SALU_CYCLE_1)
	s_or_b32 s2, s2, s3
	s_and_not1_b32 vcc_lo, exec_lo, s2
	s_mov_b32 s2, 0
	s_cbranch_vccnz .LBB98_15
; %bb.1:
	s_load_b128 s[4:7], s[0:1], 0x0
	v_bfe_u32 v1, v0, 10, 10
	s_mov_b32 s3, s2
	v_and_b32_e32 v4, 0x3ff, v0
	v_dual_mov_b32 v6, s3 :: v_dual_mov_b32 v5, s2
	s_delay_alu instid0(VALU_DEP_3) | instskip(NEXT) | instid1(VALU_DEP_3)
	v_lshlrev_b32_e32 v2, 4, v1
	v_lshlrev_b32_e32 v0, 3, v4
	s_delay_alu instid0(VALU_DEP_2)
	v_add_lshl_u32 v3, v2, v4, 3
	ds_store_2addr_stride64_b64 v3, v[5:6], v[5:6] offset1:4
	s_waitcnt lgkmcnt(0)
	s_barrier
	buffer_gl0_inv
	v_cmp_gt_i32_e64 s2, s6, v1
	v_cmp_gt_i32_e32 vcc_lo, s6, v4
	s_delay_alu instid0(VALU_DEP_2) | instskip(NEXT) | instid1(SALU_CYCLE_1)
	s_and_b32 s2, s2, vcc_lo
	s_and_saveexec_b32 s3, s2
	s_cbranch_execz .LBB98_3
; %bb.2:
	v_mad_u64_u32 v[5:6], null, v1, s22, 0
	s_mul_i32 s2, s15, s25
	s_mul_hi_u32 s6, s15, s24
	s_mul_i32 s10, s15, s24
	s_add_i32 s11, s6, s2
	s_delay_alu instid0(SALU_CYCLE_1) | instskip(NEXT) | instid1(VALU_DEP_1)
	s_lshl_b64 s[10:11], s[10:11], 3
	v_mad_u64_u32 v[7:8], null, v1, s23, v[6:7]
	s_add_u32 s2, s20, s10
	s_addc_u32 s6, s21, s11
	s_delay_alu instid0(VALU_DEP_1) | instskip(NEXT) | instid1(VALU_DEP_1)
	v_dual_mov_b32 v6, v7 :: v_dual_lshlrev_b32 v7, 4, v4
	v_lshlrev_b64 v[5:6], 3, v[5:6]
	s_delay_alu instid0(VALU_DEP_2) | instskip(NEXT) | instid1(VALU_DEP_2)
	v_add_lshl_u32 v7, v7, v1, 3
	v_add_co_u32 v5, s2, s2, v5
	s_delay_alu instid0(VALU_DEP_1) | instskip(NEXT) | instid1(VALU_DEP_2)
	v_add_co_ci_u32_e64 v6, s2, s6, v6, s2
	v_add_co_u32 v5, s2, v5, v0
	s_delay_alu instid0(VALU_DEP_1)
	v_add_co_ci_u32_e64 v6, s2, 0, v6, s2
	global_load_b64 v[5:6], v[5:6], off
	s_waitcnt vmcnt(0)
	ds_store_b64 v7, v[5:6]
.LBB98_3:
	s_or_b32 exec_lo, exec_lo, s3
	s_add_i32 s2, s7, -1
	s_delay_alu instid0(SALU_CYCLE_1) | instskip(NEXT) | instid1(SALU_CYCLE_1)
	s_ashr_i32 s3, s2, 31
	s_lshr_b32 s3, s3, 28
	s_delay_alu instid0(SALU_CYCLE_1) | instskip(NEXT) | instid1(SALU_CYCLE_1)
	s_add_i32 s2, s2, s3
	s_and_b32 s3, s2, -16
	s_ashr_i32 s2, s2, 4
	s_sub_i32 s3, s7, s3
	s_cmp_ge_i32 s14, s2
	s_cselect_b32 s2, s3, 16
	s_lshl_b32 s6, s14, 4
	v_cmp_gt_i32_e64 s2, s2, v1
	s_ashr_i32 s7, s6, 31
	s_delay_alu instid0(VALU_DEP_1) | instskip(NEXT) | instid1(SALU_CYCLE_1)
	s_and_b32 s2, vcc_lo, s2
	s_and_saveexec_b32 s3, s2
	s_cbranch_execz .LBB98_5
; %bb.4:
	v_mad_u64_u32 v[5:6], null, v1, s28, 0
	s_mul_i32 s11, s15, s31
	s_mul_hi_u32 s12, s15, s30
	s_mul_i32 s10, s15, s30
	s_add_i32 s11, s12, s11
	s_mul_i32 s13, s6, s29
	s_lshl_b64 s[10:11], s[10:11], 3
	s_delay_alu instid0(VALU_DEP_1)
	v_mad_u64_u32 v[7:8], null, v1, s29, v[6:7]
	s_mul_hi_u32 s12, s6, s28
	s_add_u32 s16, s26, s10
	s_mul_i32 s14, s7, s28
	s_addc_u32 s17, s27, s11
	s_add_i32 s11, s12, s13
	s_mul_i32 s10, s6, s28
	s_delay_alu instid0(VALU_DEP_1) | instskip(SKIP_1) | instid1(SALU_CYCLE_1)
	v_dual_mov_b32 v6, v7 :: v_dual_add_nc_u32 v7, 0x800, v3
	s_add_i32 s11, s11, s14
	s_lshl_b64 s[10:11], s[10:11], 3
	s_delay_alu instid0(VALU_DEP_1) | instskip(SKIP_2) | instid1(VALU_DEP_1)
	v_lshlrev_b64 v[5:6], 3, v[5:6]
	s_add_u32 s10, s16, s10
	s_addc_u32 s11, s17, s11
	v_add_co_u32 v5, vcc_lo, s10, v5
	s_delay_alu instid0(VALU_DEP_2) | instskip(NEXT) | instid1(VALU_DEP_2)
	v_add_co_ci_u32_e32 v6, vcc_lo, s11, v6, vcc_lo
	v_add_co_u32 v5, vcc_lo, v5, v0
	s_delay_alu instid0(VALU_DEP_2)
	v_add_co_ci_u32_e32 v6, vcc_lo, 0, v6, vcc_lo
	global_load_b64 v[5:6], v[5:6], off
	s_waitcnt vmcnt(0)
	ds_store_b64 v7, v[5:6]
.LBB98_5:
	s_or_b32 exec_lo, exec_lo, s3
	v_cmp_eq_u32_e32 vcc_lo, v1, v4
	s_cmpk_eq_i32 s5, 0x84
	s_cselect_b32 s3, -1, 0
	s_delay_alu instid0(SALU_CYCLE_1) | instskip(NEXT) | instid1(SALU_CYCLE_1)
	s_and_b32 s5, vcc_lo, s3
	s_and_saveexec_b32 s3, s5
	s_cbranch_execz .LBB98_7
; %bb.6:
	v_dual_mov_b32 v5, 1.0 :: v_dual_mov_b32 v6, 0
	ds_store_b64 v3, v[5:6]
.LBB98_7:
	s_or_b32 exec_lo, exec_lo, s3
	s_cmpk_lg_i32 s4, 0x7a
	s_waitcnt lgkmcnt(0)
	s_barrier
	buffer_gl0_inv
	s_cbranch_scc0 .LBB98_9
; %bb.8:
	v_cmp_lt_u32_e32 vcc_lo, v4, v1
	s_and_b32 s3, vcc_lo, exec_lo
	s_cbranch_execz .LBB98_10
	s_branch .LBB98_11
.LBB98_9:
	s_mov_b32 s3, 0
.LBB98_10:
	v_cmp_gt_u32_e32 vcc_lo, v4, v1
	s_and_not1_b32 s3, s3, exec_lo
	s_and_b32 s4, vcc_lo, exec_lo
	s_delay_alu instid0(SALU_CYCLE_1)
	s_or_b32 s3, s3, s4
.LBB98_11:
	s_delay_alu instid0(SALU_CYCLE_1)
	s_and_saveexec_b32 s4, s3
	s_cbranch_execz .LBB98_13
; %bb.12:
	v_mov_b32_e32 v4, 0
	s_delay_alu instid0(VALU_DEP_1)
	v_mov_b32_e32 v5, v4
	ds_store_b64 v3, v[4:5]
.LBB98_13:
	s_or_b32 exec_lo, exec_lo, s4
	s_waitcnt lgkmcnt(0)
	s_barrier
	buffer_gl0_inv
	s_and_saveexec_b32 s3, s2
	s_cbranch_execz .LBB98_15
; %bb.14:
	v_lshlrev_b32_e32 v62, 3, v2
	s_clause 0x1
	s_load_b64 s[4:5], s[0:1], 0x60
	s_load_b128 s[0:3], s[0:1], 0x50
	ds_load_2addr_b64 v[2:5], v0 offset1:16
	ds_load_b128 v[6:9], v62 offset:2048
	ds_load_2addr_b64 v[10:13], v0 offset0:32 offset1:48
	ds_load_b128 v[14:17], v62 offset:2064
	ds_load_2addr_b64 v[18:21], v0 offset0:64 offset1:80
	ds_load_b128 v[22:25], v62 offset:2080
	ds_load_2addr_b64 v[26:29], v0 offset0:96 offset1:112
	ds_load_2addr_b64 v[30:33], v0 offset0:128 offset1:144
	ds_load_b128 v[34:37], v62 offset:2096
	ds_load_2addr_b64 v[38:41], v0 offset0:160 offset1:176
	ds_load_b128 v[42:45], v62 offset:2112
	ds_load_2addr_b64 v[46:49], v0 offset0:192 offset1:208
	ds_load_2addr_b64 v[50:53], v0 offset0:224 offset1:240
	ds_load_b128 v[54:57], v62 offset:2128
	s_waitcnt lgkmcnt(0)
	v_dual_mul_f32 v67, v8, v5 :: v_dual_mul_f32 v66, v6, v3
	v_dual_mul_f32 v69, v16, v13 :: v_dual_mul_f32 v68, v14, v11
	v_mul_f32_e32 v71, v24, v21
	s_delay_alu instid0(VALU_DEP_3) | instskip(SKIP_2) | instid1(VALU_DEP_3)
	v_dual_fmac_f32 v67, v9, v4 :: v_dual_fmac_f32 v66, v7, v2
	v_dual_mul_f32 v70, v22, v19 :: v_dual_mul_f32 v73, v36, v29
	v_dual_mul_f32 v74, v42, v31 :: v_dual_mul_f32 v5, v9, v5
	v_dual_add_f32 v66, 0, v66 :: v_dual_mul_f32 v3, v7, v3
	v_fmac_f32_e32 v68, v15, v10
	v_dual_mul_f32 v76, v54, v39 :: v_dual_fmac_f32 v69, v17, v12
	s_delay_alu instid0(VALU_DEP_3) | instskip(NEXT) | instid1(VALU_DEP_4)
	v_add_f32_e32 v7, v66, v67
	v_fma_f32 v2, v6, v2, -v3
	v_mul_f32_e32 v66, v56, v41
	v_mul_f32_e32 v6, v15, v11
	v_fma_f32 v4, v8, v4, -v5
	v_mul_f32_e32 v5, v17, v13
	v_dual_add_f32 v3, v7, v68 :: v_dual_add_f32 v2, 0, v2
	v_dual_fmac_f32 v70, v23, v18 :: v_dual_fmac_f32 v71, v25, v20
	v_fma_f32 v6, v14, v10, -v6
	s_delay_alu instid0(VALU_DEP_3)
	v_dual_add_f32 v3, v3, v69 :: v_dual_add_f32 v2, v2, v4
	ds_load_b128 v[58:61], v62 offset:2144
	ds_load_b128 v[62:65], v62 offset:2160
	v_dual_mul_f32 v72, v34, v27 :: v_dual_mul_f32 v75, v44, v33
	v_add_f32_e32 v3, v3, v70
	v_dual_mul_f32 v4, v23, v19 :: v_dual_fmac_f32 v73, v37, v28
	v_fma_f32 v5, v16, v12, -v5
	s_delay_alu instid0(VALU_DEP_3) | instskip(SKIP_3) | instid1(VALU_DEP_4)
	v_dual_add_f32 v2, v2, v6 :: v_dual_add_f32 v3, v3, v71
	v_dual_fmac_f32 v72, v35, v26 :: v_dual_fmac_f32 v75, v45, v32
	v_mul_f32_e32 v6, v25, v21
	v_fma_f32 v4, v22, v18, -v4
	v_dual_add_f32 v2, v2, v5 :: v_dual_mul_f32 v5, v35, v27
	s_delay_alu instid0(VALU_DEP_4) | instskip(NEXT) | instid1(VALU_DEP_4)
	v_add_f32_e32 v3, v3, v72
	v_fma_f32 v6, v24, v20, -v6
	v_fmac_f32_e32 v74, v43, v30
	s_delay_alu instid0(VALU_DEP_4)
	v_add_f32_e32 v2, v2, v4
	v_fma_f32 v5, v34, v26, -v5
	v_add_f32_e32 v3, v3, v73
	s_waitcnt lgkmcnt(1)
	v_dual_mul_f32 v7, v60, v49 :: v_dual_fmac_f32 v76, v55, v38
	v_add_f32_e32 v2, v2, v6
	v_mul_f32_e32 v6, v43, v31
	v_fmac_f32_e32 v66, v57, v40
	s_delay_alu instid0(VALU_DEP_4)
	v_fmac_f32_e32 v7, v61, v48
	s_mul_i32 s5, s15, s5
	v_add_f32_e32 v2, v2, v5
	v_mul_f32_e32 v5, v45, v33
	v_dual_mul_f32 v4, v37, v29 :: v_dual_add_f32 v3, v3, v74
	v_fma_f32 v6, v42, v30, -v6
	s_mul_hi_u32 s10, s15, s4
	s_delay_alu instid0(VALU_DEP_3) | instskip(NEXT) | instid1(VALU_DEP_3)
	v_fma_f32 v5, v44, v32, -v5
	v_fma_f32 v4, v36, v28, -v4
	s_waitcnt lgkmcnt(0)
	v_dual_add_f32 v3, v3, v75 :: v_dual_mul_f32 v10, v65, v53
	s_mul_i32 s4, s15, s4
	s_add_i32 s5, s10, s5
	s_mul_i32 s7, s7, s2
	s_delay_alu instid0(VALU_DEP_1) | instskip(SKIP_3) | instid1(VALU_DEP_3)
	v_add_f32_e32 v3, v3, v76
	v_add_f32_e32 v2, v2, v4
	v_mul_f32_e32 v4, v58, v47
	s_lshl_b64 s[4:5], s[4:5], 3
	v_add_f32_e32 v3, v3, v66
	s_add_u32 s4, s0, s4
	s_delay_alu instid0(VALU_DEP_2) | instskip(SKIP_4) | instid1(VALU_DEP_2)
	v_fmac_f32_e32 v4, v59, v46
	v_add_f32_e32 v2, v2, v6
	v_mul_f32_e32 v6, v55, v39
	s_addc_u32 s5, s1, s5
	s_mul_i32 s0, s6, s3
	v_dual_add_f32 v3, v3, v4 :: v_dual_add_f32 v2, v2, v5
	s_delay_alu instid0(VALU_DEP_2) | instskip(SKIP_2) | instid1(SALU_CYCLE_1)
	v_fma_f32 v5, v54, v38, -v6
	v_mul_f32_e32 v6, v57, v41
	s_mul_hi_u32 s1, s6, s2
	s_add_i32 s0, s1, s0
	s_delay_alu instid0(VALU_DEP_1) | instskip(SKIP_4) | instid1(SALU_CYCLE_1)
	v_fma_f32 v4, v56, v40, -v6
	v_add_f32_e32 v6, v3, v7
	v_mul_f32_e32 v7, v62, v51
	s_add_i32 s1, s0, s7
	s_mul_i32 s0, s6, s2
	s_lshl_b64 s[0:1], s[0:1], 3
	s_delay_alu instid0(VALU_DEP_1) | instskip(SKIP_2) | instid1(VALU_DEP_1)
	v_fmac_f32_e32 v7, v63, v50
	s_add_u32 s0, s4, s0
	s_addc_u32 s1, s5, s1
	v_dual_add_f32 v6, v6, v7 :: v_dual_mul_f32 v7, v64, v53
	s_delay_alu instid0(VALU_DEP_1) | instskip(SKIP_1) | instid1(VALU_DEP_2)
	v_dual_fmac_f32 v7, v65, v52 :: v_dual_add_f32 v2, v2, v5
	v_mul_f32_e32 v5, v59, v47
	v_add_f32_e32 v6, v6, v7
	s_delay_alu instid0(VALU_DEP_3) | instskip(NEXT) | instid1(VALU_DEP_3)
	v_add_f32_e32 v4, v2, v4
	v_fma_f32 v5, v58, v46, -v5
	v_mul_f32_e32 v8, v61, v49
	v_mad_u64_u32 v[2:3], null, v1, s2, 0
	s_delay_alu instid0(VALU_DEP_3) | instskip(NEXT) | instid1(VALU_DEP_3)
	v_add_f32_e32 v4, v4, v5
	v_fma_f32 v5, v60, v48, -v8
	s_delay_alu instid0(VALU_DEP_1) | instskip(NEXT) | instid1(VALU_DEP_4)
	v_dual_mul_f32 v8, v63, v51 :: v_dual_add_f32 v9, v4, v5
	v_mad_u64_u32 v[4:5], null, v1, s3, v[3:4]
	s_delay_alu instid0(VALU_DEP_2) | instskip(SKIP_1) | instid1(VALU_DEP_2)
	v_fma_f32 v8, v62, v50, -v8
	v_fma_f32 v5, v64, v52, -v10
	v_add_f32_e32 v1, v9, v8
	s_delay_alu instid0(VALU_DEP_4) | instskip(NEXT) | instid1(VALU_DEP_2)
	v_dual_mov_b32 v3, v4 :: v_dual_mul_f32 v4, s8, v6
	v_add_f32_e32 v5, v1, v5
	s_delay_alu instid0(VALU_DEP_2) | instskip(NEXT) | instid1(VALU_DEP_2)
	v_lshlrev_b64 v[1:2], 3, v[2:3]
	v_dual_mul_f32 v3, s9, v6 :: v_dual_fmac_f32 v4, s9, v5
	s_delay_alu instid0(VALU_DEP_2) | instskip(NEXT) | instid1(VALU_DEP_3)
	v_add_co_u32 v1, vcc_lo, s0, v1
	v_add_co_ci_u32_e32 v2, vcc_lo, s1, v2, vcc_lo
	s_delay_alu instid0(VALU_DEP_3) | instskip(NEXT) | instid1(VALU_DEP_3)
	v_fma_f32 v3, s8, v5, -v3
	v_add_co_u32 v0, vcc_lo, v1, v0
	s_delay_alu instid0(VALU_DEP_3)
	v_add_co_ci_u32_e32 v1, vcc_lo, 0, v2, vcc_lo
	global_store_b64 v[0:1], v[3:4], off
.LBB98_15:
	s_nop 0
	s_sendmsg sendmsg(MSG_DEALLOC_VGPRS)
	s_endpgm
	.section	.rodata,"a",@progbits
	.p2align	6, 0x0
	.amdhsa_kernel _ZL23rocblas_trmm_lTx_kernelILi16ELb0E19rocblas_complex_numIfEPKS1_S2_S1_Ev13rocblas_fill_17rocblas_diagonal_iiT2_lPT3_llS8_llPT4_lli
		.amdhsa_group_segment_fixed_size 4096
		.amdhsa_private_segment_fixed_size 0
		.amdhsa_kernarg_size 108
		.amdhsa_user_sgpr_count 14
		.amdhsa_user_sgpr_dispatch_ptr 0
		.amdhsa_user_sgpr_queue_ptr 0
		.amdhsa_user_sgpr_kernarg_segment_ptr 1
		.amdhsa_user_sgpr_dispatch_id 0
		.amdhsa_user_sgpr_private_segment_size 0
		.amdhsa_wavefront_size32 1
		.amdhsa_uses_dynamic_stack 0
		.amdhsa_enable_private_segment 0
		.amdhsa_system_sgpr_workgroup_id_x 1
		.amdhsa_system_sgpr_workgroup_id_y 0
		.amdhsa_system_sgpr_workgroup_id_z 1
		.amdhsa_system_sgpr_workgroup_info 0
		.amdhsa_system_vgpr_workitem_id 1
		.amdhsa_next_free_vgpr 77
		.amdhsa_next_free_sgpr 32
		.amdhsa_reserve_vcc 1
		.amdhsa_float_round_mode_32 0
		.amdhsa_float_round_mode_16_64 0
		.amdhsa_float_denorm_mode_32 3
		.amdhsa_float_denorm_mode_16_64 3
		.amdhsa_dx10_clamp 1
		.amdhsa_ieee_mode 1
		.amdhsa_fp16_overflow 0
		.amdhsa_workgroup_processor_mode 1
		.amdhsa_memory_ordered 1
		.amdhsa_forward_progress 0
		.amdhsa_shared_vgpr_count 0
		.amdhsa_exception_fp_ieee_invalid_op 0
		.amdhsa_exception_fp_denorm_src 0
		.amdhsa_exception_fp_ieee_div_zero 0
		.amdhsa_exception_fp_ieee_overflow 0
		.amdhsa_exception_fp_ieee_underflow 0
		.amdhsa_exception_fp_ieee_inexact 0
		.amdhsa_exception_int_div_zero 0
	.end_amdhsa_kernel
	.section	.text._ZL23rocblas_trmm_lTx_kernelILi16ELb0E19rocblas_complex_numIfEPKS1_S2_S1_Ev13rocblas_fill_17rocblas_diagonal_iiT2_lPT3_llS8_llPT4_lli,"axG",@progbits,_ZL23rocblas_trmm_lTx_kernelILi16ELb0E19rocblas_complex_numIfEPKS1_S2_S1_Ev13rocblas_fill_17rocblas_diagonal_iiT2_lPT3_llS8_llPT4_lli,comdat
.Lfunc_end98:
	.size	_ZL23rocblas_trmm_lTx_kernelILi16ELb0E19rocblas_complex_numIfEPKS1_S2_S1_Ev13rocblas_fill_17rocblas_diagonal_iiT2_lPT3_llS8_llPT4_lli, .Lfunc_end98-_ZL23rocblas_trmm_lTx_kernelILi16ELb0E19rocblas_complex_numIfEPKS1_S2_S1_Ev13rocblas_fill_17rocblas_diagonal_iiT2_lPT3_llS8_llPT4_lli
                                        ; -- End function
	.section	.AMDGPU.csdata,"",@progbits
; Kernel info:
; codeLenInByte = 1624
; NumSgprs: 34
; NumVgprs: 77
; ScratchSize: 0
; MemoryBound: 0
; FloatMode: 240
; IeeeMode: 1
; LDSByteSize: 4096 bytes/workgroup (compile time only)
; SGPRBlocks: 4
; VGPRBlocks: 9
; NumSGPRsForWavesPerEU: 34
; NumVGPRsForWavesPerEU: 77
; Occupancy: 16
; WaveLimiterHint : 0
; COMPUTE_PGM_RSRC2:SCRATCH_EN: 0
; COMPUTE_PGM_RSRC2:USER_SGPR: 14
; COMPUTE_PGM_RSRC2:TRAP_HANDLER: 0
; COMPUTE_PGM_RSRC2:TGID_X_EN: 1
; COMPUTE_PGM_RSRC2:TGID_Y_EN: 0
; COMPUTE_PGM_RSRC2:TGID_Z_EN: 1
; COMPUTE_PGM_RSRC2:TIDIG_COMP_CNT: 1
	.section	.text._ZL23rocblas_trmm_lTx_kernelILi16ELb0E19rocblas_complex_numIfES1_KS1_S1_Ev13rocblas_fill_17rocblas_diagonal_iiT2_lPT3_llS7_llPT4_lli,"axG",@progbits,_ZL23rocblas_trmm_lTx_kernelILi16ELb0E19rocblas_complex_numIfES1_KS1_S1_Ev13rocblas_fill_17rocblas_diagonal_iiT2_lPT3_llS7_llPT4_lli,comdat
	.globl	_ZL23rocblas_trmm_lTx_kernelILi16ELb0E19rocblas_complex_numIfES1_KS1_S1_Ev13rocblas_fill_17rocblas_diagonal_iiT2_lPT3_llS7_llPT4_lli ; -- Begin function _ZL23rocblas_trmm_lTx_kernelILi16ELb0E19rocblas_complex_numIfES1_KS1_S1_Ev13rocblas_fill_17rocblas_diagonal_iiT2_lPT3_llS7_llPT4_lli
	.p2align	8
	.type	_ZL23rocblas_trmm_lTx_kernelILi16ELb0E19rocblas_complex_numIfES1_KS1_S1_Ev13rocblas_fill_17rocblas_diagonal_iiT2_lPT3_llS7_llPT4_lli,@function
_ZL23rocblas_trmm_lTx_kernelILi16ELb0E19rocblas_complex_numIfES1_KS1_S1_Ev13rocblas_fill_17rocblas_diagonal_iiT2_lPT3_llS7_llPT4_lli: ; @_ZL23rocblas_trmm_lTx_kernelILi16ELb0E19rocblas_complex_numIfES1_KS1_S1_Ev13rocblas_fill_17rocblas_diagonal_iiT2_lPT3_llS7_llPT4_lli
; %bb.0:
	s_load_b64 s[8:9], s[0:1], 0x10
	s_waitcnt lgkmcnt(0)
	v_cmp_neq_f32_e64 s2, s8, 0
	v_cmp_neq_f32_e64 s3, s9, 0
	s_delay_alu instid0(VALU_DEP_1) | instskip(NEXT) | instid1(SALU_CYCLE_1)
	s_or_b32 s2, s2, s3
	s_and_not1_b32 vcc_lo, exec_lo, s2
	s_mov_b32 s2, 0
	s_cbranch_vccnz .LBB99_15
; %bb.1:
	s_clause 0x1
	s_load_b128 s[4:7], s[0:1], 0x0
	s_load_b512 s[16:31], s[0:1], 0x20
	v_bfe_u32 v1, v0, 10, 10
	s_mov_b32 s3, s2
	v_and_b32_e32 v4, 0x3ff, v0
	v_dual_mov_b32 v6, s3 :: v_dual_mov_b32 v5, s2
	s_delay_alu instid0(VALU_DEP_3) | instskip(NEXT) | instid1(VALU_DEP_3)
	v_lshlrev_b32_e32 v2, 4, v1
	v_lshlrev_b32_e32 v0, 3, v4
	s_delay_alu instid0(VALU_DEP_2)
	v_add_lshl_u32 v3, v2, v4, 3
	ds_store_2addr_stride64_b64 v3, v[5:6], v[5:6] offset1:4
	s_waitcnt lgkmcnt(0)
	s_barrier
	v_cmp_gt_i32_e64 s2, s6, v1
	v_cmp_gt_i32_e32 vcc_lo, s6, v4
	buffer_gl0_inv
	s_and_b32 s2, s2, vcc_lo
	s_delay_alu instid0(SALU_CYCLE_1)
	s_and_saveexec_b32 s3, s2
	s_cbranch_execz .LBB99_3
; %bb.2:
	v_mad_u64_u32 v[5:6], null, v1, s18, 0
	s_mul_i32 s2, s15, s21
	s_mul_hi_u32 s6, s15, s20
	s_mul_i32 s10, s15, s20
	s_add_i32 s11, s6, s2
	s_delay_alu instid0(SALU_CYCLE_1) | instskip(NEXT) | instid1(VALU_DEP_1)
	s_lshl_b64 s[10:11], s[10:11], 3
	v_mad_u64_u32 v[7:8], null, v1, s19, v[6:7]
	s_add_u32 s2, s16, s10
	s_addc_u32 s6, s17, s11
	s_delay_alu instid0(VALU_DEP_1) | instskip(NEXT) | instid1(VALU_DEP_1)
	v_dual_mov_b32 v6, v7 :: v_dual_lshlrev_b32 v7, 4, v4
	v_lshlrev_b64 v[5:6], 3, v[5:6]
	s_delay_alu instid0(VALU_DEP_2) | instskip(NEXT) | instid1(VALU_DEP_2)
	v_add_lshl_u32 v7, v7, v1, 3
	v_add_co_u32 v5, s2, s2, v5
	s_delay_alu instid0(VALU_DEP_1) | instskip(NEXT) | instid1(VALU_DEP_2)
	v_add_co_ci_u32_e64 v6, s2, s6, v6, s2
	v_add_co_u32 v5, s2, v5, v0
	s_delay_alu instid0(VALU_DEP_1)
	v_add_co_ci_u32_e64 v6, s2, 0, v6, s2
	global_load_b64 v[5:6], v[5:6], off
	s_waitcnt vmcnt(0)
	ds_store_b64 v7, v[5:6]
.LBB99_3:
	s_or_b32 exec_lo, exec_lo, s3
	s_add_i32 s2, s7, -1
	s_delay_alu instid0(SALU_CYCLE_1) | instskip(NEXT) | instid1(SALU_CYCLE_1)
	s_ashr_i32 s3, s2, 31
	s_lshr_b32 s3, s3, 28
	s_delay_alu instid0(SALU_CYCLE_1) | instskip(NEXT) | instid1(SALU_CYCLE_1)
	s_add_i32 s2, s2, s3
	s_and_b32 s3, s2, -16
	s_ashr_i32 s2, s2, 4
	s_sub_i32 s3, s7, s3
	s_cmp_ge_i32 s14, s2
	s_cselect_b32 s2, s3, 16
	s_lshl_b32 s3, s14, 4
	v_cmp_gt_i32_e64 s2, s2, v1
	s_ashr_i32 s6, s3, 31
	s_delay_alu instid0(VALU_DEP_1) | instskip(NEXT) | instid1(SALU_CYCLE_1)
	s_and_b32 s2, vcc_lo, s2
	s_and_saveexec_b32 s7, s2
	s_cbranch_execz .LBB99_5
; %bb.4:
	v_mad_u64_u32 v[5:6], null, v1, s24, 0
	s_mul_i32 s11, s15, s27
	s_mul_hi_u32 s12, s15, s26
	s_mul_i32 s10, s15, s26
	s_add_i32 s11, s12, s11
	s_mul_i32 s13, s3, s25
	s_lshl_b64 s[10:11], s[10:11], 3
	s_delay_alu instid0(VALU_DEP_1)
	v_mad_u64_u32 v[7:8], null, v1, s25, v[6:7]
	s_mul_hi_u32 s12, s3, s24
	s_add_u32 s16, s22, s10
	s_mul_i32 s14, s6, s24
	s_addc_u32 s17, s23, s11
	s_add_i32 s11, s12, s13
	s_mul_i32 s10, s3, s24
	s_delay_alu instid0(VALU_DEP_1) | instskip(SKIP_1) | instid1(SALU_CYCLE_1)
	v_dual_mov_b32 v6, v7 :: v_dual_add_nc_u32 v7, 0x800, v3
	s_add_i32 s11, s11, s14
	s_lshl_b64 s[10:11], s[10:11], 3
	s_delay_alu instid0(VALU_DEP_1) | instskip(SKIP_2) | instid1(VALU_DEP_1)
	v_lshlrev_b64 v[5:6], 3, v[5:6]
	s_add_u32 s10, s16, s10
	s_addc_u32 s11, s17, s11
	v_add_co_u32 v5, vcc_lo, s10, v5
	s_delay_alu instid0(VALU_DEP_2) | instskip(NEXT) | instid1(VALU_DEP_2)
	v_add_co_ci_u32_e32 v6, vcc_lo, s11, v6, vcc_lo
	v_add_co_u32 v5, vcc_lo, v5, v0
	s_delay_alu instid0(VALU_DEP_2)
	v_add_co_ci_u32_e32 v6, vcc_lo, 0, v6, vcc_lo
	global_load_b64 v[5:6], v[5:6], off
	s_waitcnt vmcnt(0)
	ds_store_b64 v7, v[5:6]
.LBB99_5:
	s_or_b32 exec_lo, exec_lo, s7
	v_cmp_eq_u32_e32 vcc_lo, v1, v4
	s_cmpk_eq_i32 s5, 0x84
	s_cselect_b32 s5, -1, 0
	s_delay_alu instid0(SALU_CYCLE_1) | instskip(NEXT) | instid1(SALU_CYCLE_1)
	s_and_b32 s7, vcc_lo, s5
	s_and_saveexec_b32 s5, s7
	s_cbranch_execz .LBB99_7
; %bb.6:
	v_dual_mov_b32 v5, 1.0 :: v_dual_mov_b32 v6, 0
	ds_store_b64 v3, v[5:6]
.LBB99_7:
	s_or_b32 exec_lo, exec_lo, s5
	s_cmpk_lg_i32 s4, 0x7a
	s_waitcnt lgkmcnt(0)
	s_barrier
	buffer_gl0_inv
	s_cbranch_scc0 .LBB99_9
; %bb.8:
	v_cmp_lt_u32_e32 vcc_lo, v4, v1
	s_and_b32 s4, vcc_lo, exec_lo
	s_cbranch_execz .LBB99_10
	s_branch .LBB99_11
.LBB99_9:
	s_mov_b32 s4, 0
.LBB99_10:
	v_cmp_gt_u32_e32 vcc_lo, v4, v1
	s_and_not1_b32 s4, s4, exec_lo
	s_and_b32 s5, vcc_lo, exec_lo
	s_delay_alu instid0(SALU_CYCLE_1)
	s_or_b32 s4, s4, s5
.LBB99_11:
	s_delay_alu instid0(SALU_CYCLE_1)
	s_and_saveexec_b32 s5, s4
	s_cbranch_execz .LBB99_13
; %bb.12:
	v_mov_b32_e32 v4, 0
	s_delay_alu instid0(VALU_DEP_1)
	v_mov_b32_e32 v5, v4
	ds_store_b64 v3, v[4:5]
.LBB99_13:
	s_or_b32 exec_lo, exec_lo, s5
	s_waitcnt lgkmcnt(0)
	s_barrier
	buffer_gl0_inv
	s_and_saveexec_b32 s4, s2
	s_cbranch_execz .LBB99_15
; %bb.14:
	v_lshlrev_b32_e32 v62, 3, v2
	s_load_b64 s[0:1], s[0:1], 0x60
	s_mul_i32 s6, s6, s30
	ds_load_2addr_b64 v[2:5], v0 offset1:16
	ds_load_b128 v[6:9], v62 offset:2048
	ds_load_2addr_b64 v[10:13], v0 offset0:32 offset1:48
	ds_load_b128 v[14:17], v62 offset:2064
	ds_load_2addr_b64 v[18:21], v0 offset0:64 offset1:80
	;; [unrolled: 2-line block ×4, first 2 shown]
	ds_load_2addr_b64 v[38:41], v0 offset0:160 offset1:176
	ds_load_b128 v[42:45], v62 offset:2112
	ds_load_2addr_b64 v[46:49], v0 offset0:192 offset1:208
	ds_load_2addr_b64 v[50:53], v0 offset0:224 offset1:240
	ds_load_b128 v[54:57], v62 offset:2128
	s_waitcnt lgkmcnt(0)
	v_dual_mul_f32 v67, v8, v5 :: v_dual_mul_f32 v66, v6, v3
	v_mul_f32_e32 v69, v16, v13
	ds_load_b128 v[58:61], v62 offset:2144
	ds_load_b128 v[62:65], v62 offset:2160
	v_dual_mul_f32 v68, v14, v11 :: v_dual_mul_f32 v71, v24, v21
	v_dual_fmac_f32 v66, v7, v2 :: v_dual_fmac_f32 v67, v9, v4
	v_dual_mul_f32 v70, v22, v19 :: v_dual_mul_f32 v73, v32, v29
	s_delay_alu instid0(VALU_DEP_2) | instskip(SKIP_2) | instid1(VALU_DEP_3)
	v_dual_mul_f32 v3, v7, v3 :: v_dual_add_f32 v66, 0, v66
	v_dual_mul_f32 v76, v54, v39 :: v_dual_mul_f32 v5, v9, v5
	v_fmac_f32_e32 v68, v15, v10
	v_fma_f32 v2, v6, v2, -v3
	s_delay_alu instid0(VALU_DEP_4)
	v_add_f32_e32 v7, v66, v67
	v_mul_f32_e32 v6, v15, v11
	v_fma_f32 v4, v8, v4, -v5
	v_mul_f32_e32 v5, v17, v13
	v_fmac_f32_e32 v69, v17, v12
	v_dual_add_f32 v3, v7, v68 :: v_dual_add_f32 v2, 0, v2
	s_waitcnt lgkmcnt(1)
	v_mul_f32_e32 v66, v58, v47
	v_dual_fmac_f32 v70, v23, v18 :: v_dual_fmac_f32 v71, v25, v20
	s_delay_alu instid0(VALU_DEP_3) | instskip(SKIP_2) | instid1(VALU_DEP_3)
	v_dual_add_f32 v3, v3, v69 :: v_dual_add_f32 v2, v2, v4
	v_fma_f32 v6, v14, v10, -v6
	v_dual_mul_f32 v72, v30, v27 :: v_dual_mul_f32 v75, v44, v37
	v_add_f32_e32 v3, v3, v70
	v_dual_mul_f32 v4, v23, v19 :: v_dual_fmac_f32 v73, v33, v28
	v_fma_f32 v5, v16, v12, -v5
	v_add_f32_e32 v2, v2, v6
	v_dual_fmac_f32 v72, v31, v26 :: v_dual_fmac_f32 v75, v45, v36
	v_dual_mul_f32 v6, v25, v21 :: v_dual_add_f32 v3, v3, v71
	v_fma_f32 v4, v22, v18, -v4
	s_delay_alu instid0(VALU_DEP_4) | instskip(SKIP_1) | instid1(VALU_DEP_4)
	v_add_f32_e32 v2, v2, v5
	v_dual_mul_f32 v74, v42, v35 :: v_dual_mul_f32 v77, v56, v41
	v_add_f32_e32 v3, v3, v72
	s_delay_alu instid0(VALU_DEP_3) | instskip(SKIP_1) | instid1(VALU_DEP_4)
	v_dual_mul_f32 v5, v31, v27 :: v_dual_add_f32 v2, v2, v4
	v_fma_f32 v6, v24, v20, -v6
	v_fmac_f32_e32 v74, v43, v34
	s_delay_alu instid0(VALU_DEP_4) | instskip(NEXT) | instid1(VALU_DEP_4)
	v_add_f32_e32 v3, v3, v73
	v_fma_f32 v5, v30, v26, -v5
	s_delay_alu instid0(VALU_DEP_4)
	v_dual_fmac_f32 v77, v57, v40 :: v_dual_add_f32 v2, v2, v6
	v_mul_f32_e32 v6, v43, v35
	v_fmac_f32_e32 v76, v55, v38
	s_waitcnt lgkmcnt(0)
	v_dual_fmac_f32 v66, v59, v46 :: v_dual_mul_f32 v7, v62, v51
	v_add_f32_e32 v2, v2, v5
	v_mul_f32_e32 v5, v45, v37
	v_dual_mul_f32 v4, v33, v29 :: v_dual_add_f32 v3, v3, v74
	v_fma_f32 v6, v42, v34, -v6
	v_mul_f32_e32 v8, v61, v49
	s_delay_alu instid0(VALU_DEP_4) | instskip(NEXT) | instid1(VALU_DEP_4)
	v_fma_f32 v5, v44, v36, -v5
	v_fma_f32 v4, v32, v28, -v4
	v_add_f32_e32 v3, v3, v75
	s_mul_i32 s1, s15, s1
	s_mul_hi_u32 s2, s15, s0
	v_mul_f32_e32 v10, v65, v53
	v_add_f32_e32 v2, v2, v4
	v_mul_f32_e32 v4, v55, v39
	s_mul_i32 s0, s15, s0
	s_add_i32 s1, s2, s1
	v_fmac_f32_e32 v7, v63, v50
	v_add_f32_e32 v2, v2, v6
	v_mul_f32_e32 v6, v60, v49
	s_lshl_b64 s[0:1], s[0:1], 3
	s_delay_alu instid0(SALU_CYCLE_1) | instskip(NEXT) | instid1(VALU_DEP_2)
	s_add_u32 s2, s28, s0
	v_add_f32_e32 v2, v2, v5
	v_mul_f32_e32 v5, v57, v41
	v_add_f32_e32 v3, v3, v76
	v_fmac_f32_e32 v6, v61, v48
	s_addc_u32 s4, s29, s1
	s_mul_i32 s0, s3, s31
	s_mul_hi_u32 s1, s3, s30
	v_add_f32_e32 v3, v3, v77
	s_add_i32 s0, s1, s0
	s_delay_alu instid0(SALU_CYCLE_1) | instskip(SKIP_1) | instid1(VALU_DEP_1)
	s_add_i32 s1, s0, s6
	s_mul_i32 s0, s3, s30
	v_add_f32_e32 v3, v3, v66
	s_lshl_b64 s[0:1], s[0:1], 3
	s_delay_alu instid0(SALU_CYCLE_1) | instskip(SKIP_1) | instid1(VALU_DEP_1)
	s_add_u32 s0, s2, s0
	s_addc_u32 s1, s4, s1
	v_add_f32_e32 v6, v3, v6
	s_delay_alu instid0(VALU_DEP_1) | instskip(SKIP_1) | instid1(VALU_DEP_2)
	v_dual_add_f32 v6, v6, v7 :: v_dual_mul_f32 v7, v64, v53
	v_fma_f32 v4, v54, v38, -v4
	v_fmac_f32_e32 v7, v65, v52
	s_delay_alu instid0(VALU_DEP_2) | instskip(SKIP_2) | instid1(VALU_DEP_4)
	v_add_f32_e32 v2, v2, v4
	v_fma_f32 v4, v56, v40, -v5
	v_mul_f32_e32 v5, v59, v47
	v_add_f32_e32 v6, v6, v7
	s_delay_alu instid0(VALU_DEP_3) | instskip(NEXT) | instid1(VALU_DEP_3)
	v_add_f32_e32 v4, v2, v4
	v_fma_f32 v5, v58, v46, -v5
	v_mad_u64_u32 v[2:3], null, v1, s30, 0
	s_delay_alu instid0(VALU_DEP_2) | instskip(SKIP_1) | instid1(VALU_DEP_1)
	v_add_f32_e32 v4, v4, v5
	v_fma_f32 v5, v60, v48, -v8
	v_dual_mul_f32 v8, v63, v51 :: v_dual_add_f32 v9, v4, v5
	s_delay_alu instid0(VALU_DEP_4) | instskip(NEXT) | instid1(VALU_DEP_2)
	v_mad_u64_u32 v[4:5], null, v1, s31, v[3:4]
	v_fma_f32 v8, v62, v50, -v8
	v_fma_f32 v5, v64, v52, -v10
	s_delay_alu instid0(VALU_DEP_2) | instskip(NEXT) | instid1(VALU_DEP_4)
	v_add_f32_e32 v1, v9, v8
	v_dual_mov_b32 v3, v4 :: v_dual_mul_f32 v4, s8, v6
	s_delay_alu instid0(VALU_DEP_2) | instskip(NEXT) | instid1(VALU_DEP_2)
	v_add_f32_e32 v5, v1, v5
	v_lshlrev_b64 v[1:2], 3, v[2:3]
	s_delay_alu instid0(VALU_DEP_2) | instskip(NEXT) | instid1(VALU_DEP_2)
	v_dual_mul_f32 v3, s9, v6 :: v_dual_fmac_f32 v4, s9, v5
	v_add_co_u32 v1, vcc_lo, s0, v1
	s_delay_alu instid0(VALU_DEP_3) | instskip(NEXT) | instid1(VALU_DEP_3)
	v_add_co_ci_u32_e32 v2, vcc_lo, s1, v2, vcc_lo
	v_fma_f32 v3, s8, v5, -v3
	s_delay_alu instid0(VALU_DEP_3) | instskip(NEXT) | instid1(VALU_DEP_3)
	v_add_co_u32 v0, vcc_lo, v1, v0
	v_add_co_ci_u32_e32 v1, vcc_lo, 0, v2, vcc_lo
	global_store_b64 v[0:1], v[3:4], off
.LBB99_15:
	s_nop 0
	s_sendmsg sendmsg(MSG_DEALLOC_VGPRS)
	s_endpgm
	.section	.rodata,"a",@progbits
	.p2align	6, 0x0
	.amdhsa_kernel _ZL23rocblas_trmm_lTx_kernelILi16ELb0E19rocblas_complex_numIfES1_KS1_S1_Ev13rocblas_fill_17rocblas_diagonal_iiT2_lPT3_llS7_llPT4_lli
		.amdhsa_group_segment_fixed_size 4096
		.amdhsa_private_segment_fixed_size 0
		.amdhsa_kernarg_size 108
		.amdhsa_user_sgpr_count 14
		.amdhsa_user_sgpr_dispatch_ptr 0
		.amdhsa_user_sgpr_queue_ptr 0
		.amdhsa_user_sgpr_kernarg_segment_ptr 1
		.amdhsa_user_sgpr_dispatch_id 0
		.amdhsa_user_sgpr_private_segment_size 0
		.amdhsa_wavefront_size32 1
		.amdhsa_uses_dynamic_stack 0
		.amdhsa_enable_private_segment 0
		.amdhsa_system_sgpr_workgroup_id_x 1
		.amdhsa_system_sgpr_workgroup_id_y 0
		.amdhsa_system_sgpr_workgroup_id_z 1
		.amdhsa_system_sgpr_workgroup_info 0
		.amdhsa_system_vgpr_workitem_id 1
		.amdhsa_next_free_vgpr 78
		.amdhsa_next_free_sgpr 32
		.amdhsa_reserve_vcc 1
		.amdhsa_float_round_mode_32 0
		.amdhsa_float_round_mode_16_64 0
		.amdhsa_float_denorm_mode_32 3
		.amdhsa_float_denorm_mode_16_64 3
		.amdhsa_dx10_clamp 1
		.amdhsa_ieee_mode 1
		.amdhsa_fp16_overflow 0
		.amdhsa_workgroup_processor_mode 1
		.amdhsa_memory_ordered 1
		.amdhsa_forward_progress 0
		.amdhsa_shared_vgpr_count 0
		.amdhsa_exception_fp_ieee_invalid_op 0
		.amdhsa_exception_fp_denorm_src 0
		.amdhsa_exception_fp_ieee_div_zero 0
		.amdhsa_exception_fp_ieee_overflow 0
		.amdhsa_exception_fp_ieee_underflow 0
		.amdhsa_exception_fp_ieee_inexact 0
		.amdhsa_exception_int_div_zero 0
	.end_amdhsa_kernel
	.section	.text._ZL23rocblas_trmm_lTx_kernelILi16ELb0E19rocblas_complex_numIfES1_KS1_S1_Ev13rocblas_fill_17rocblas_diagonal_iiT2_lPT3_llS7_llPT4_lli,"axG",@progbits,_ZL23rocblas_trmm_lTx_kernelILi16ELb0E19rocblas_complex_numIfES1_KS1_S1_Ev13rocblas_fill_17rocblas_diagonal_iiT2_lPT3_llS7_llPT4_lli,comdat
.Lfunc_end99:
	.size	_ZL23rocblas_trmm_lTx_kernelILi16ELb0E19rocblas_complex_numIfES1_KS1_S1_Ev13rocblas_fill_17rocblas_diagonal_iiT2_lPT3_llS7_llPT4_lli, .Lfunc_end99-_ZL23rocblas_trmm_lTx_kernelILi16ELb0E19rocblas_complex_numIfES1_KS1_S1_Ev13rocblas_fill_17rocblas_diagonal_iiT2_lPT3_llS7_llPT4_lli
                                        ; -- End function
	.section	.AMDGPU.csdata,"",@progbits
; Kernel info:
; codeLenInByte = 1572
; NumSgprs: 34
; NumVgprs: 78
; ScratchSize: 0
; MemoryBound: 0
; FloatMode: 240
; IeeeMode: 1
; LDSByteSize: 4096 bytes/workgroup (compile time only)
; SGPRBlocks: 4
; VGPRBlocks: 9
; NumSGPRsForWavesPerEU: 34
; NumVGPRsForWavesPerEU: 78
; Occupancy: 16
; WaveLimiterHint : 0
; COMPUTE_PGM_RSRC2:SCRATCH_EN: 0
; COMPUTE_PGM_RSRC2:USER_SGPR: 14
; COMPUTE_PGM_RSRC2:TRAP_HANDLER: 0
; COMPUTE_PGM_RSRC2:TGID_X_EN: 1
; COMPUTE_PGM_RSRC2:TGID_Y_EN: 0
; COMPUTE_PGM_RSRC2:TGID_Z_EN: 1
; COMPUTE_PGM_RSRC2:TIDIG_COMP_CNT: 1
	.section	.text._ZL23rocblas_trmm_lTx_kernelILi16ELb1E19rocblas_complex_numIfEPKS1_S2_S1_Ev13rocblas_fill_17rocblas_diagonal_iiT2_lPT3_llS8_llPT4_lli,"axG",@progbits,_ZL23rocblas_trmm_lTx_kernelILi16ELb1E19rocblas_complex_numIfEPKS1_S2_S1_Ev13rocblas_fill_17rocblas_diagonal_iiT2_lPT3_llS8_llPT4_lli,comdat
	.globl	_ZL23rocblas_trmm_lTx_kernelILi16ELb1E19rocblas_complex_numIfEPKS1_S2_S1_Ev13rocblas_fill_17rocblas_diagonal_iiT2_lPT3_llS8_llPT4_lli ; -- Begin function _ZL23rocblas_trmm_lTx_kernelILi16ELb1E19rocblas_complex_numIfEPKS1_S2_S1_Ev13rocblas_fill_17rocblas_diagonal_iiT2_lPT3_llS8_llPT4_lli
	.p2align	8
	.type	_ZL23rocblas_trmm_lTx_kernelILi16ELb1E19rocblas_complex_numIfEPKS1_S2_S1_Ev13rocblas_fill_17rocblas_diagonal_iiT2_lPT3_llS8_llPT4_lli,@function
_ZL23rocblas_trmm_lTx_kernelILi16ELb1E19rocblas_complex_numIfEPKS1_S2_S1_Ev13rocblas_fill_17rocblas_diagonal_iiT2_lPT3_llS8_llPT4_lli: ; @_ZL23rocblas_trmm_lTx_kernelILi16ELb1E19rocblas_complex_numIfEPKS1_S2_S1_Ev13rocblas_fill_17rocblas_diagonal_iiT2_lPT3_llS8_llPT4_lli
; %bb.0:
	s_load_b512 s[16:31], s[0:1], 0x10
	s_waitcnt lgkmcnt(0)
	s_mul_i32 s3, s15, s19
	s_mul_hi_u32 s4, s15, s18
	s_mul_i32 s2, s15, s18
	s_add_i32 s3, s4, s3
	s_delay_alu instid0(SALU_CYCLE_1) | instskip(NEXT) | instid1(SALU_CYCLE_1)
	s_lshl_b64 s[2:3], s[2:3], 3
	s_add_u32 s2, s16, s2
	s_addc_u32 s3, s17, s3
	s_load_b64 s[8:9], s[2:3], 0x0
	s_waitcnt lgkmcnt(0)
	v_cmp_neq_f32_e64 s2, s8, 0
	v_cmp_neq_f32_e64 s3, s9, 0
	s_delay_alu instid0(VALU_DEP_1) | instskip(NEXT) | instid1(SALU_CYCLE_1)
	s_or_b32 s2, s2, s3
	s_and_not1_b32 vcc_lo, exec_lo, s2
	s_mov_b32 s2, 0
	s_cbranch_vccnz .LBB100_15
; %bb.1:
	s_load_b128 s[4:7], s[0:1], 0x0
	v_bfe_u32 v1, v0, 10, 10
	s_mov_b32 s3, s2
	v_and_b32_e32 v4, 0x3ff, v0
	v_dual_mov_b32 v6, s3 :: v_dual_mov_b32 v5, s2
	s_delay_alu instid0(VALU_DEP_3) | instskip(NEXT) | instid1(VALU_DEP_3)
	v_lshlrev_b32_e32 v2, 4, v1
	v_lshlrev_b32_e32 v0, 3, v4
	s_delay_alu instid0(VALU_DEP_2)
	v_add_lshl_u32 v3, v2, v4, 3
	ds_store_2addr_stride64_b64 v3, v[5:6], v[5:6] offset1:4
	s_waitcnt lgkmcnt(0)
	s_barrier
	buffer_gl0_inv
	v_cmp_gt_i32_e64 s2, s6, v1
	v_cmp_gt_i32_e32 vcc_lo, s6, v4
	s_delay_alu instid0(VALU_DEP_2) | instskip(NEXT) | instid1(SALU_CYCLE_1)
	s_and_b32 s2, s2, vcc_lo
	s_and_saveexec_b32 s3, s2
	s_cbranch_execz .LBB100_3
; %bb.2:
	v_mad_u64_u32 v[5:6], null, v1, s22, 0
	s_mul_i32 s2, s15, s25
	s_mul_hi_u32 s6, s15, s24
	s_mul_i32 s10, s15, s24
	s_add_i32 s11, s6, s2
	s_delay_alu instid0(SALU_CYCLE_1) | instskip(NEXT) | instid1(VALU_DEP_1)
	s_lshl_b64 s[10:11], s[10:11], 3
	v_mad_u64_u32 v[7:8], null, v1, s23, v[6:7]
	s_add_u32 s2, s20, s10
	s_addc_u32 s6, s21, s11
	s_delay_alu instid0(VALU_DEP_1) | instskip(NEXT) | instid1(VALU_DEP_1)
	v_dual_mov_b32 v6, v7 :: v_dual_lshlrev_b32 v7, 4, v4
	v_lshlrev_b64 v[5:6], 3, v[5:6]
	s_delay_alu instid0(VALU_DEP_2) | instskip(NEXT) | instid1(VALU_DEP_2)
	v_add_lshl_u32 v7, v7, v1, 3
	v_add_co_u32 v5, s2, s2, v5
	s_delay_alu instid0(VALU_DEP_1) | instskip(NEXT) | instid1(VALU_DEP_2)
	v_add_co_ci_u32_e64 v6, s2, s6, v6, s2
	v_add_co_u32 v5, s2, v5, v0
	s_delay_alu instid0(VALU_DEP_1)
	v_add_co_ci_u32_e64 v6, s2, 0, v6, s2
	global_load_b64 v[5:6], v[5:6], off
	s_waitcnt vmcnt(0)
	v_xor_b32_e32 v6, 0x80000000, v6
	ds_store_b64 v7, v[5:6]
.LBB100_3:
	s_or_b32 exec_lo, exec_lo, s3
	s_add_i32 s2, s7, -1
	s_delay_alu instid0(SALU_CYCLE_1) | instskip(NEXT) | instid1(SALU_CYCLE_1)
	s_ashr_i32 s3, s2, 31
	s_lshr_b32 s3, s3, 28
	s_delay_alu instid0(SALU_CYCLE_1) | instskip(NEXT) | instid1(SALU_CYCLE_1)
	s_add_i32 s2, s2, s3
	s_and_b32 s3, s2, -16
	s_ashr_i32 s2, s2, 4
	s_sub_i32 s3, s7, s3
	s_cmp_ge_i32 s14, s2
	s_cselect_b32 s2, s3, 16
	s_lshl_b32 s6, s14, 4
	v_cmp_gt_i32_e64 s2, s2, v1
	s_ashr_i32 s7, s6, 31
	s_delay_alu instid0(VALU_DEP_1) | instskip(NEXT) | instid1(SALU_CYCLE_1)
	s_and_b32 s2, vcc_lo, s2
	s_and_saveexec_b32 s3, s2
	s_cbranch_execz .LBB100_5
; %bb.4:
	v_mad_u64_u32 v[5:6], null, v1, s28, 0
	s_mul_i32 s11, s15, s31
	s_mul_hi_u32 s12, s15, s30
	s_mul_i32 s10, s15, s30
	s_add_i32 s11, s12, s11
	s_mul_i32 s13, s6, s29
	s_lshl_b64 s[10:11], s[10:11], 3
	s_delay_alu instid0(VALU_DEP_1)
	v_mad_u64_u32 v[7:8], null, v1, s29, v[6:7]
	s_mul_hi_u32 s12, s6, s28
	s_add_u32 s16, s26, s10
	s_mul_i32 s14, s7, s28
	s_addc_u32 s17, s27, s11
	s_add_i32 s11, s12, s13
	s_mul_i32 s10, s6, s28
	s_delay_alu instid0(VALU_DEP_1) | instskip(SKIP_1) | instid1(SALU_CYCLE_1)
	v_dual_mov_b32 v6, v7 :: v_dual_add_nc_u32 v7, 0x800, v3
	s_add_i32 s11, s11, s14
	s_lshl_b64 s[10:11], s[10:11], 3
	s_delay_alu instid0(VALU_DEP_1) | instskip(SKIP_2) | instid1(VALU_DEP_1)
	v_lshlrev_b64 v[5:6], 3, v[5:6]
	s_add_u32 s10, s16, s10
	s_addc_u32 s11, s17, s11
	v_add_co_u32 v5, vcc_lo, s10, v5
	s_delay_alu instid0(VALU_DEP_2) | instskip(NEXT) | instid1(VALU_DEP_2)
	v_add_co_ci_u32_e32 v6, vcc_lo, s11, v6, vcc_lo
	v_add_co_u32 v5, vcc_lo, v5, v0
	s_delay_alu instid0(VALU_DEP_2)
	v_add_co_ci_u32_e32 v6, vcc_lo, 0, v6, vcc_lo
	global_load_b64 v[5:6], v[5:6], off
	s_waitcnt vmcnt(0)
	ds_store_b64 v7, v[5:6]
.LBB100_5:
	s_or_b32 exec_lo, exec_lo, s3
	v_cmp_eq_u32_e32 vcc_lo, v1, v4
	s_cmpk_eq_i32 s5, 0x84
	s_cselect_b32 s3, -1, 0
	s_delay_alu instid0(SALU_CYCLE_1) | instskip(NEXT) | instid1(SALU_CYCLE_1)
	s_and_b32 s5, vcc_lo, s3
	s_and_saveexec_b32 s3, s5
	s_cbranch_execz .LBB100_7
; %bb.6:
	v_dual_mov_b32 v5, 1.0 :: v_dual_mov_b32 v6, 0
	ds_store_b64 v3, v[5:6]
.LBB100_7:
	s_or_b32 exec_lo, exec_lo, s3
	s_cmpk_lg_i32 s4, 0x7a
	s_waitcnt lgkmcnt(0)
	s_barrier
	buffer_gl0_inv
	s_cbranch_scc0 .LBB100_9
; %bb.8:
	v_cmp_lt_u32_e32 vcc_lo, v4, v1
	s_and_b32 s3, vcc_lo, exec_lo
	s_cbranch_execz .LBB100_10
	s_branch .LBB100_11
.LBB100_9:
	s_mov_b32 s3, 0
.LBB100_10:
	v_cmp_gt_u32_e32 vcc_lo, v4, v1
	s_and_not1_b32 s3, s3, exec_lo
	s_and_b32 s4, vcc_lo, exec_lo
	s_delay_alu instid0(SALU_CYCLE_1)
	s_or_b32 s3, s3, s4
.LBB100_11:
	s_delay_alu instid0(SALU_CYCLE_1)
	s_and_saveexec_b32 s4, s3
	s_cbranch_execz .LBB100_13
; %bb.12:
	v_mov_b32_e32 v4, 0
	s_delay_alu instid0(VALU_DEP_1)
	v_mov_b32_e32 v5, v4
	ds_store_b64 v3, v[4:5]
.LBB100_13:
	s_or_b32 exec_lo, exec_lo, s4
	s_waitcnt lgkmcnt(0)
	s_barrier
	buffer_gl0_inv
	s_and_saveexec_b32 s3, s2
	s_cbranch_execz .LBB100_15
; %bb.14:
	v_lshlrev_b32_e32 v62, 3, v2
	s_clause 0x1
	s_load_b64 s[4:5], s[0:1], 0x60
	s_load_b128 s[0:3], s[0:1], 0x50
	ds_load_2addr_b64 v[2:5], v0 offset1:16
	ds_load_b128 v[6:9], v62 offset:2048
	ds_load_2addr_b64 v[10:13], v0 offset0:32 offset1:48
	ds_load_b128 v[14:17], v62 offset:2064
	ds_load_2addr_b64 v[18:21], v0 offset0:64 offset1:80
	;; [unrolled: 2-line block ×3, first 2 shown]
	ds_load_2addr_b64 v[30:33], v0 offset0:128 offset1:144
	ds_load_b128 v[34:37], v62 offset:2096
	ds_load_2addr_b64 v[38:41], v0 offset0:160 offset1:176
	ds_load_b128 v[42:45], v62 offset:2112
	ds_load_2addr_b64 v[46:49], v0 offset0:192 offset1:208
	ds_load_2addr_b64 v[50:53], v0 offset0:224 offset1:240
	ds_load_b128 v[54:57], v62 offset:2128
	s_waitcnt lgkmcnt(0)
	v_dual_mul_f32 v67, v8, v5 :: v_dual_mul_f32 v66, v6, v3
	v_dual_mul_f32 v69, v16, v13 :: v_dual_mul_f32 v68, v14, v11
	v_mul_f32_e32 v71, v24, v21
	s_delay_alu instid0(VALU_DEP_3) | instskip(SKIP_2) | instid1(VALU_DEP_3)
	v_dual_fmac_f32 v67, v9, v4 :: v_dual_fmac_f32 v66, v7, v2
	v_dual_mul_f32 v70, v22, v19 :: v_dual_mul_f32 v73, v36, v29
	v_dual_mul_f32 v74, v42, v31 :: v_dual_mul_f32 v5, v9, v5
	v_dual_add_f32 v66, 0, v66 :: v_dual_mul_f32 v3, v7, v3
	v_fmac_f32_e32 v68, v15, v10
	v_dual_mul_f32 v76, v54, v39 :: v_dual_fmac_f32 v69, v17, v12
	s_delay_alu instid0(VALU_DEP_3) | instskip(NEXT) | instid1(VALU_DEP_4)
	v_add_f32_e32 v7, v66, v67
	v_fma_f32 v2, v6, v2, -v3
	v_mul_f32_e32 v66, v56, v41
	v_mul_f32_e32 v6, v15, v11
	v_fma_f32 v4, v8, v4, -v5
	v_mul_f32_e32 v5, v17, v13
	v_dual_add_f32 v3, v7, v68 :: v_dual_add_f32 v2, 0, v2
	v_dual_fmac_f32 v70, v23, v18 :: v_dual_fmac_f32 v71, v25, v20
	v_fma_f32 v6, v14, v10, -v6
	s_delay_alu instid0(VALU_DEP_3)
	v_dual_add_f32 v3, v3, v69 :: v_dual_add_f32 v2, v2, v4
	ds_load_b128 v[58:61], v62 offset:2144
	ds_load_b128 v[62:65], v62 offset:2160
	v_dual_mul_f32 v72, v34, v27 :: v_dual_mul_f32 v75, v44, v33
	v_add_f32_e32 v3, v3, v70
	v_dual_mul_f32 v4, v23, v19 :: v_dual_fmac_f32 v73, v37, v28
	v_fma_f32 v5, v16, v12, -v5
	s_delay_alu instid0(VALU_DEP_3) | instskip(SKIP_3) | instid1(VALU_DEP_4)
	v_dual_add_f32 v2, v2, v6 :: v_dual_add_f32 v3, v3, v71
	v_dual_fmac_f32 v72, v35, v26 :: v_dual_fmac_f32 v75, v45, v32
	v_mul_f32_e32 v6, v25, v21
	v_fma_f32 v4, v22, v18, -v4
	v_dual_add_f32 v2, v2, v5 :: v_dual_mul_f32 v5, v35, v27
	s_delay_alu instid0(VALU_DEP_4) | instskip(NEXT) | instid1(VALU_DEP_4)
	v_add_f32_e32 v3, v3, v72
	v_fma_f32 v6, v24, v20, -v6
	v_fmac_f32_e32 v74, v43, v30
	s_delay_alu instid0(VALU_DEP_4)
	v_add_f32_e32 v2, v2, v4
	v_fma_f32 v5, v34, v26, -v5
	v_add_f32_e32 v3, v3, v73
	s_waitcnt lgkmcnt(1)
	v_dual_mul_f32 v7, v60, v49 :: v_dual_fmac_f32 v76, v55, v38
	v_add_f32_e32 v2, v2, v6
	v_mul_f32_e32 v6, v43, v31
	v_fmac_f32_e32 v66, v57, v40
	s_delay_alu instid0(VALU_DEP_4)
	v_fmac_f32_e32 v7, v61, v48
	s_mul_i32 s5, s15, s5
	v_add_f32_e32 v2, v2, v5
	v_mul_f32_e32 v5, v45, v33
	v_dual_mul_f32 v4, v37, v29 :: v_dual_add_f32 v3, v3, v74
	v_fma_f32 v6, v42, v30, -v6
	s_mul_hi_u32 s10, s15, s4
	s_delay_alu instid0(VALU_DEP_3) | instskip(NEXT) | instid1(VALU_DEP_3)
	v_fma_f32 v5, v44, v32, -v5
	v_fma_f32 v4, v36, v28, -v4
	s_waitcnt lgkmcnt(0)
	v_dual_add_f32 v3, v3, v75 :: v_dual_mul_f32 v10, v65, v53
	s_mul_i32 s4, s15, s4
	s_add_i32 s5, s10, s5
	s_mul_i32 s7, s7, s2
	s_delay_alu instid0(VALU_DEP_1) | instskip(SKIP_3) | instid1(VALU_DEP_3)
	v_add_f32_e32 v3, v3, v76
	v_add_f32_e32 v2, v2, v4
	v_mul_f32_e32 v4, v58, v47
	s_lshl_b64 s[4:5], s[4:5], 3
	v_add_f32_e32 v3, v3, v66
	s_add_u32 s4, s0, s4
	s_delay_alu instid0(VALU_DEP_2) | instskip(SKIP_4) | instid1(VALU_DEP_2)
	v_fmac_f32_e32 v4, v59, v46
	v_add_f32_e32 v2, v2, v6
	v_mul_f32_e32 v6, v55, v39
	s_addc_u32 s5, s1, s5
	s_mul_i32 s0, s6, s3
	v_dual_add_f32 v3, v3, v4 :: v_dual_add_f32 v2, v2, v5
	s_delay_alu instid0(VALU_DEP_2) | instskip(SKIP_2) | instid1(SALU_CYCLE_1)
	v_fma_f32 v5, v54, v38, -v6
	v_mul_f32_e32 v6, v57, v41
	s_mul_hi_u32 s1, s6, s2
	s_add_i32 s0, s1, s0
	s_delay_alu instid0(VALU_DEP_1) | instskip(SKIP_4) | instid1(SALU_CYCLE_1)
	v_fma_f32 v4, v56, v40, -v6
	v_add_f32_e32 v6, v3, v7
	v_mul_f32_e32 v7, v62, v51
	s_add_i32 s1, s0, s7
	s_mul_i32 s0, s6, s2
	s_lshl_b64 s[0:1], s[0:1], 3
	s_delay_alu instid0(VALU_DEP_1) | instskip(SKIP_2) | instid1(VALU_DEP_1)
	v_fmac_f32_e32 v7, v63, v50
	s_add_u32 s0, s4, s0
	s_addc_u32 s1, s5, s1
	v_dual_add_f32 v6, v6, v7 :: v_dual_mul_f32 v7, v64, v53
	s_delay_alu instid0(VALU_DEP_1) | instskip(SKIP_1) | instid1(VALU_DEP_2)
	v_dual_fmac_f32 v7, v65, v52 :: v_dual_add_f32 v2, v2, v5
	v_mul_f32_e32 v5, v59, v47
	v_add_f32_e32 v6, v6, v7
	s_delay_alu instid0(VALU_DEP_3) | instskip(NEXT) | instid1(VALU_DEP_3)
	v_add_f32_e32 v4, v2, v4
	v_fma_f32 v5, v58, v46, -v5
	v_mul_f32_e32 v8, v61, v49
	v_mad_u64_u32 v[2:3], null, v1, s2, 0
	s_delay_alu instid0(VALU_DEP_3) | instskip(NEXT) | instid1(VALU_DEP_3)
	v_add_f32_e32 v4, v4, v5
	v_fma_f32 v5, v60, v48, -v8
	s_delay_alu instid0(VALU_DEP_1) | instskip(NEXT) | instid1(VALU_DEP_4)
	v_dual_mul_f32 v8, v63, v51 :: v_dual_add_f32 v9, v4, v5
	v_mad_u64_u32 v[4:5], null, v1, s3, v[3:4]
	s_delay_alu instid0(VALU_DEP_2) | instskip(SKIP_1) | instid1(VALU_DEP_2)
	v_fma_f32 v8, v62, v50, -v8
	v_fma_f32 v5, v64, v52, -v10
	v_add_f32_e32 v1, v9, v8
	s_delay_alu instid0(VALU_DEP_4) | instskip(NEXT) | instid1(VALU_DEP_2)
	v_dual_mov_b32 v3, v4 :: v_dual_mul_f32 v4, s8, v6
	v_add_f32_e32 v5, v1, v5
	s_delay_alu instid0(VALU_DEP_2) | instskip(NEXT) | instid1(VALU_DEP_2)
	v_lshlrev_b64 v[1:2], 3, v[2:3]
	v_dual_mul_f32 v3, s9, v6 :: v_dual_fmac_f32 v4, s9, v5
	s_delay_alu instid0(VALU_DEP_2) | instskip(NEXT) | instid1(VALU_DEP_3)
	v_add_co_u32 v1, vcc_lo, s0, v1
	v_add_co_ci_u32_e32 v2, vcc_lo, s1, v2, vcc_lo
	s_delay_alu instid0(VALU_DEP_3) | instskip(NEXT) | instid1(VALU_DEP_3)
	v_fma_f32 v3, s8, v5, -v3
	v_add_co_u32 v0, vcc_lo, v1, v0
	s_delay_alu instid0(VALU_DEP_3)
	v_add_co_ci_u32_e32 v1, vcc_lo, 0, v2, vcc_lo
	global_store_b64 v[0:1], v[3:4], off
.LBB100_15:
	s_nop 0
	s_sendmsg sendmsg(MSG_DEALLOC_VGPRS)
	s_endpgm
	.section	.rodata,"a",@progbits
	.p2align	6, 0x0
	.amdhsa_kernel _ZL23rocblas_trmm_lTx_kernelILi16ELb1E19rocblas_complex_numIfEPKS1_S2_S1_Ev13rocblas_fill_17rocblas_diagonal_iiT2_lPT3_llS8_llPT4_lli
		.amdhsa_group_segment_fixed_size 4096
		.amdhsa_private_segment_fixed_size 0
		.amdhsa_kernarg_size 108
		.amdhsa_user_sgpr_count 14
		.amdhsa_user_sgpr_dispatch_ptr 0
		.amdhsa_user_sgpr_queue_ptr 0
		.amdhsa_user_sgpr_kernarg_segment_ptr 1
		.amdhsa_user_sgpr_dispatch_id 0
		.amdhsa_user_sgpr_private_segment_size 0
		.amdhsa_wavefront_size32 1
		.amdhsa_uses_dynamic_stack 0
		.amdhsa_enable_private_segment 0
		.amdhsa_system_sgpr_workgroup_id_x 1
		.amdhsa_system_sgpr_workgroup_id_y 0
		.amdhsa_system_sgpr_workgroup_id_z 1
		.amdhsa_system_sgpr_workgroup_info 0
		.amdhsa_system_vgpr_workitem_id 1
		.amdhsa_next_free_vgpr 77
		.amdhsa_next_free_sgpr 32
		.amdhsa_reserve_vcc 1
		.amdhsa_float_round_mode_32 0
		.amdhsa_float_round_mode_16_64 0
		.amdhsa_float_denorm_mode_32 3
		.amdhsa_float_denorm_mode_16_64 3
		.amdhsa_dx10_clamp 1
		.amdhsa_ieee_mode 1
		.amdhsa_fp16_overflow 0
		.amdhsa_workgroup_processor_mode 1
		.amdhsa_memory_ordered 1
		.amdhsa_forward_progress 0
		.amdhsa_shared_vgpr_count 0
		.amdhsa_exception_fp_ieee_invalid_op 0
		.amdhsa_exception_fp_denorm_src 0
		.amdhsa_exception_fp_ieee_div_zero 0
		.amdhsa_exception_fp_ieee_overflow 0
		.amdhsa_exception_fp_ieee_underflow 0
		.amdhsa_exception_fp_ieee_inexact 0
		.amdhsa_exception_int_div_zero 0
	.end_amdhsa_kernel
	.section	.text._ZL23rocblas_trmm_lTx_kernelILi16ELb1E19rocblas_complex_numIfEPKS1_S2_S1_Ev13rocblas_fill_17rocblas_diagonal_iiT2_lPT3_llS8_llPT4_lli,"axG",@progbits,_ZL23rocblas_trmm_lTx_kernelILi16ELb1E19rocblas_complex_numIfEPKS1_S2_S1_Ev13rocblas_fill_17rocblas_diagonal_iiT2_lPT3_llS8_llPT4_lli,comdat
.Lfunc_end100:
	.size	_ZL23rocblas_trmm_lTx_kernelILi16ELb1E19rocblas_complex_numIfEPKS1_S2_S1_Ev13rocblas_fill_17rocblas_diagonal_iiT2_lPT3_llS8_llPT4_lli, .Lfunc_end100-_ZL23rocblas_trmm_lTx_kernelILi16ELb1E19rocblas_complex_numIfEPKS1_S2_S1_Ev13rocblas_fill_17rocblas_diagonal_iiT2_lPT3_llS8_llPT4_lli
                                        ; -- End function
	.section	.AMDGPU.csdata,"",@progbits
; Kernel info:
; codeLenInByte = 1632
; NumSgprs: 34
; NumVgprs: 77
; ScratchSize: 0
; MemoryBound: 0
; FloatMode: 240
; IeeeMode: 1
; LDSByteSize: 4096 bytes/workgroup (compile time only)
; SGPRBlocks: 4
; VGPRBlocks: 9
; NumSGPRsForWavesPerEU: 34
; NumVGPRsForWavesPerEU: 77
; Occupancy: 16
; WaveLimiterHint : 0
; COMPUTE_PGM_RSRC2:SCRATCH_EN: 0
; COMPUTE_PGM_RSRC2:USER_SGPR: 14
; COMPUTE_PGM_RSRC2:TRAP_HANDLER: 0
; COMPUTE_PGM_RSRC2:TGID_X_EN: 1
; COMPUTE_PGM_RSRC2:TGID_Y_EN: 0
; COMPUTE_PGM_RSRC2:TGID_Z_EN: 1
; COMPUTE_PGM_RSRC2:TIDIG_COMP_CNT: 1
	.section	.text._ZL23rocblas_trmm_lTx_kernelILi16ELb1E19rocblas_complex_numIfES1_KS1_S1_Ev13rocblas_fill_17rocblas_diagonal_iiT2_lPT3_llS7_llPT4_lli,"axG",@progbits,_ZL23rocblas_trmm_lTx_kernelILi16ELb1E19rocblas_complex_numIfES1_KS1_S1_Ev13rocblas_fill_17rocblas_diagonal_iiT2_lPT3_llS7_llPT4_lli,comdat
	.globl	_ZL23rocblas_trmm_lTx_kernelILi16ELb1E19rocblas_complex_numIfES1_KS1_S1_Ev13rocblas_fill_17rocblas_diagonal_iiT2_lPT3_llS7_llPT4_lli ; -- Begin function _ZL23rocblas_trmm_lTx_kernelILi16ELb1E19rocblas_complex_numIfES1_KS1_S1_Ev13rocblas_fill_17rocblas_diagonal_iiT2_lPT3_llS7_llPT4_lli
	.p2align	8
	.type	_ZL23rocblas_trmm_lTx_kernelILi16ELb1E19rocblas_complex_numIfES1_KS1_S1_Ev13rocblas_fill_17rocblas_diagonal_iiT2_lPT3_llS7_llPT4_lli,@function
_ZL23rocblas_trmm_lTx_kernelILi16ELb1E19rocblas_complex_numIfES1_KS1_S1_Ev13rocblas_fill_17rocblas_diagonal_iiT2_lPT3_llS7_llPT4_lli: ; @_ZL23rocblas_trmm_lTx_kernelILi16ELb1E19rocblas_complex_numIfES1_KS1_S1_Ev13rocblas_fill_17rocblas_diagonal_iiT2_lPT3_llS7_llPT4_lli
; %bb.0:
	s_load_b64 s[8:9], s[0:1], 0x10
	s_waitcnt lgkmcnt(0)
	v_cmp_neq_f32_e64 s2, s8, 0
	v_cmp_neq_f32_e64 s3, s9, 0
	s_delay_alu instid0(VALU_DEP_1) | instskip(NEXT) | instid1(SALU_CYCLE_1)
	s_or_b32 s2, s2, s3
	s_and_not1_b32 vcc_lo, exec_lo, s2
	s_mov_b32 s2, 0
	s_cbranch_vccnz .LBB101_15
; %bb.1:
	s_clause 0x1
	s_load_b128 s[4:7], s[0:1], 0x0
	s_load_b512 s[16:31], s[0:1], 0x20
	v_bfe_u32 v1, v0, 10, 10
	s_mov_b32 s3, s2
	v_and_b32_e32 v4, 0x3ff, v0
	v_dual_mov_b32 v6, s3 :: v_dual_mov_b32 v5, s2
	s_delay_alu instid0(VALU_DEP_3) | instskip(NEXT) | instid1(VALU_DEP_3)
	v_lshlrev_b32_e32 v2, 4, v1
	v_lshlrev_b32_e32 v0, 3, v4
	s_delay_alu instid0(VALU_DEP_2)
	v_add_lshl_u32 v3, v2, v4, 3
	ds_store_2addr_stride64_b64 v3, v[5:6], v[5:6] offset1:4
	s_waitcnt lgkmcnt(0)
	s_barrier
	v_cmp_gt_i32_e64 s2, s6, v1
	v_cmp_gt_i32_e32 vcc_lo, s6, v4
	buffer_gl0_inv
	s_and_b32 s2, s2, vcc_lo
	s_delay_alu instid0(SALU_CYCLE_1)
	s_and_saveexec_b32 s3, s2
	s_cbranch_execz .LBB101_3
; %bb.2:
	v_mad_u64_u32 v[5:6], null, v1, s18, 0
	s_mul_i32 s2, s15, s21
	s_mul_hi_u32 s6, s15, s20
	s_mul_i32 s10, s15, s20
	s_add_i32 s11, s6, s2
	s_delay_alu instid0(SALU_CYCLE_1) | instskip(NEXT) | instid1(VALU_DEP_1)
	s_lshl_b64 s[10:11], s[10:11], 3
	v_mad_u64_u32 v[7:8], null, v1, s19, v[6:7]
	s_add_u32 s2, s16, s10
	s_addc_u32 s6, s17, s11
	s_delay_alu instid0(VALU_DEP_1) | instskip(NEXT) | instid1(VALU_DEP_1)
	v_dual_mov_b32 v6, v7 :: v_dual_lshlrev_b32 v7, 4, v4
	v_lshlrev_b64 v[5:6], 3, v[5:6]
	s_delay_alu instid0(VALU_DEP_2) | instskip(NEXT) | instid1(VALU_DEP_2)
	v_add_lshl_u32 v7, v7, v1, 3
	v_add_co_u32 v5, s2, s2, v5
	s_delay_alu instid0(VALU_DEP_1) | instskip(NEXT) | instid1(VALU_DEP_2)
	v_add_co_ci_u32_e64 v6, s2, s6, v6, s2
	v_add_co_u32 v5, s2, v5, v0
	s_delay_alu instid0(VALU_DEP_1)
	v_add_co_ci_u32_e64 v6, s2, 0, v6, s2
	global_load_b64 v[5:6], v[5:6], off
	s_waitcnt vmcnt(0)
	v_xor_b32_e32 v6, 0x80000000, v6
	ds_store_b64 v7, v[5:6]
.LBB101_3:
	s_or_b32 exec_lo, exec_lo, s3
	s_add_i32 s2, s7, -1
	s_delay_alu instid0(SALU_CYCLE_1) | instskip(NEXT) | instid1(SALU_CYCLE_1)
	s_ashr_i32 s3, s2, 31
	s_lshr_b32 s3, s3, 28
	s_delay_alu instid0(SALU_CYCLE_1) | instskip(NEXT) | instid1(SALU_CYCLE_1)
	s_add_i32 s2, s2, s3
	s_and_b32 s3, s2, -16
	s_ashr_i32 s2, s2, 4
	s_sub_i32 s3, s7, s3
	s_cmp_ge_i32 s14, s2
	s_cselect_b32 s2, s3, 16
	s_lshl_b32 s3, s14, 4
	v_cmp_gt_i32_e64 s2, s2, v1
	s_ashr_i32 s6, s3, 31
	s_delay_alu instid0(VALU_DEP_1) | instskip(NEXT) | instid1(SALU_CYCLE_1)
	s_and_b32 s2, vcc_lo, s2
	s_and_saveexec_b32 s7, s2
	s_cbranch_execz .LBB101_5
; %bb.4:
	v_mad_u64_u32 v[5:6], null, v1, s24, 0
	s_mul_i32 s11, s15, s27
	s_mul_hi_u32 s12, s15, s26
	s_mul_i32 s10, s15, s26
	s_add_i32 s11, s12, s11
	s_mul_i32 s13, s3, s25
	s_lshl_b64 s[10:11], s[10:11], 3
	s_delay_alu instid0(VALU_DEP_1)
	v_mad_u64_u32 v[7:8], null, v1, s25, v[6:7]
	s_mul_hi_u32 s12, s3, s24
	s_add_u32 s16, s22, s10
	s_mul_i32 s14, s6, s24
	s_addc_u32 s17, s23, s11
	s_add_i32 s11, s12, s13
	s_mul_i32 s10, s3, s24
	s_delay_alu instid0(VALU_DEP_1) | instskip(SKIP_1) | instid1(SALU_CYCLE_1)
	v_dual_mov_b32 v6, v7 :: v_dual_add_nc_u32 v7, 0x800, v3
	s_add_i32 s11, s11, s14
	s_lshl_b64 s[10:11], s[10:11], 3
	s_delay_alu instid0(VALU_DEP_1) | instskip(SKIP_2) | instid1(VALU_DEP_1)
	v_lshlrev_b64 v[5:6], 3, v[5:6]
	s_add_u32 s10, s16, s10
	s_addc_u32 s11, s17, s11
	v_add_co_u32 v5, vcc_lo, s10, v5
	s_delay_alu instid0(VALU_DEP_2) | instskip(NEXT) | instid1(VALU_DEP_2)
	v_add_co_ci_u32_e32 v6, vcc_lo, s11, v6, vcc_lo
	v_add_co_u32 v5, vcc_lo, v5, v0
	s_delay_alu instid0(VALU_DEP_2)
	v_add_co_ci_u32_e32 v6, vcc_lo, 0, v6, vcc_lo
	global_load_b64 v[5:6], v[5:6], off
	s_waitcnt vmcnt(0)
	ds_store_b64 v7, v[5:6]
.LBB101_5:
	s_or_b32 exec_lo, exec_lo, s7
	v_cmp_eq_u32_e32 vcc_lo, v1, v4
	s_cmpk_eq_i32 s5, 0x84
	s_cselect_b32 s5, -1, 0
	s_delay_alu instid0(SALU_CYCLE_1) | instskip(NEXT) | instid1(SALU_CYCLE_1)
	s_and_b32 s7, vcc_lo, s5
	s_and_saveexec_b32 s5, s7
	s_cbranch_execz .LBB101_7
; %bb.6:
	v_dual_mov_b32 v5, 1.0 :: v_dual_mov_b32 v6, 0
	ds_store_b64 v3, v[5:6]
.LBB101_7:
	s_or_b32 exec_lo, exec_lo, s5
	s_cmpk_lg_i32 s4, 0x7a
	s_waitcnt lgkmcnt(0)
	s_barrier
	buffer_gl0_inv
	s_cbranch_scc0 .LBB101_9
; %bb.8:
	v_cmp_lt_u32_e32 vcc_lo, v4, v1
	s_and_b32 s4, vcc_lo, exec_lo
	s_cbranch_execz .LBB101_10
	s_branch .LBB101_11
.LBB101_9:
	s_mov_b32 s4, 0
.LBB101_10:
	v_cmp_gt_u32_e32 vcc_lo, v4, v1
	s_and_not1_b32 s4, s4, exec_lo
	s_and_b32 s5, vcc_lo, exec_lo
	s_delay_alu instid0(SALU_CYCLE_1)
	s_or_b32 s4, s4, s5
.LBB101_11:
	s_delay_alu instid0(SALU_CYCLE_1)
	s_and_saveexec_b32 s5, s4
	s_cbranch_execz .LBB101_13
; %bb.12:
	v_mov_b32_e32 v4, 0
	s_delay_alu instid0(VALU_DEP_1)
	v_mov_b32_e32 v5, v4
	ds_store_b64 v3, v[4:5]
.LBB101_13:
	s_or_b32 exec_lo, exec_lo, s5
	s_waitcnt lgkmcnt(0)
	s_barrier
	buffer_gl0_inv
	s_and_saveexec_b32 s4, s2
	s_cbranch_execz .LBB101_15
; %bb.14:
	v_lshlrev_b32_e32 v62, 3, v2
	s_load_b64 s[0:1], s[0:1], 0x60
	s_mul_i32 s6, s6, s30
	ds_load_2addr_b64 v[2:5], v0 offset1:16
	ds_load_b128 v[6:9], v62 offset:2048
	ds_load_2addr_b64 v[10:13], v0 offset0:32 offset1:48
	ds_load_b128 v[14:17], v62 offset:2064
	ds_load_2addr_b64 v[18:21], v0 offset0:64 offset1:80
	;; [unrolled: 2-line block ×4, first 2 shown]
	ds_load_2addr_b64 v[38:41], v0 offset0:160 offset1:176
	ds_load_b128 v[42:45], v62 offset:2112
	ds_load_2addr_b64 v[46:49], v0 offset0:192 offset1:208
	ds_load_2addr_b64 v[50:53], v0 offset0:224 offset1:240
	ds_load_b128 v[54:57], v62 offset:2128
	s_waitcnt lgkmcnt(0)
	v_dual_mul_f32 v67, v8, v5 :: v_dual_mul_f32 v66, v6, v3
	v_mul_f32_e32 v69, v16, v13
	ds_load_b128 v[58:61], v62 offset:2144
	ds_load_b128 v[62:65], v62 offset:2160
	v_dual_mul_f32 v68, v14, v11 :: v_dual_mul_f32 v71, v24, v21
	v_dual_fmac_f32 v66, v7, v2 :: v_dual_fmac_f32 v67, v9, v4
	v_dual_mul_f32 v70, v22, v19 :: v_dual_mul_f32 v73, v32, v29
	s_delay_alu instid0(VALU_DEP_2) | instskip(SKIP_2) | instid1(VALU_DEP_3)
	v_dual_mul_f32 v3, v7, v3 :: v_dual_add_f32 v66, 0, v66
	v_dual_mul_f32 v76, v54, v39 :: v_dual_mul_f32 v5, v9, v5
	v_fmac_f32_e32 v68, v15, v10
	v_fma_f32 v2, v6, v2, -v3
	s_delay_alu instid0(VALU_DEP_4)
	v_add_f32_e32 v7, v66, v67
	v_mul_f32_e32 v6, v15, v11
	v_fma_f32 v4, v8, v4, -v5
	v_mul_f32_e32 v5, v17, v13
	v_fmac_f32_e32 v69, v17, v12
	v_dual_add_f32 v3, v7, v68 :: v_dual_add_f32 v2, 0, v2
	s_waitcnt lgkmcnt(1)
	v_mul_f32_e32 v66, v58, v47
	v_dual_fmac_f32 v70, v23, v18 :: v_dual_fmac_f32 v71, v25, v20
	s_delay_alu instid0(VALU_DEP_3) | instskip(SKIP_2) | instid1(VALU_DEP_3)
	v_dual_add_f32 v3, v3, v69 :: v_dual_add_f32 v2, v2, v4
	v_fma_f32 v6, v14, v10, -v6
	v_dual_mul_f32 v72, v30, v27 :: v_dual_mul_f32 v75, v44, v37
	v_add_f32_e32 v3, v3, v70
	v_dual_mul_f32 v4, v23, v19 :: v_dual_fmac_f32 v73, v33, v28
	v_fma_f32 v5, v16, v12, -v5
	v_add_f32_e32 v2, v2, v6
	v_dual_fmac_f32 v72, v31, v26 :: v_dual_fmac_f32 v75, v45, v36
	v_dual_mul_f32 v6, v25, v21 :: v_dual_add_f32 v3, v3, v71
	v_fma_f32 v4, v22, v18, -v4
	s_delay_alu instid0(VALU_DEP_4) | instskip(SKIP_1) | instid1(VALU_DEP_4)
	v_add_f32_e32 v2, v2, v5
	v_dual_mul_f32 v74, v42, v35 :: v_dual_mul_f32 v77, v56, v41
	v_add_f32_e32 v3, v3, v72
	s_delay_alu instid0(VALU_DEP_3) | instskip(SKIP_1) | instid1(VALU_DEP_4)
	v_dual_mul_f32 v5, v31, v27 :: v_dual_add_f32 v2, v2, v4
	v_fma_f32 v6, v24, v20, -v6
	v_fmac_f32_e32 v74, v43, v34
	s_delay_alu instid0(VALU_DEP_4) | instskip(NEXT) | instid1(VALU_DEP_4)
	v_add_f32_e32 v3, v3, v73
	v_fma_f32 v5, v30, v26, -v5
	s_delay_alu instid0(VALU_DEP_4)
	v_dual_fmac_f32 v77, v57, v40 :: v_dual_add_f32 v2, v2, v6
	v_mul_f32_e32 v6, v43, v35
	v_fmac_f32_e32 v76, v55, v38
	s_waitcnt lgkmcnt(0)
	v_dual_fmac_f32 v66, v59, v46 :: v_dual_mul_f32 v7, v62, v51
	v_add_f32_e32 v2, v2, v5
	v_mul_f32_e32 v5, v45, v37
	v_dual_mul_f32 v4, v33, v29 :: v_dual_add_f32 v3, v3, v74
	v_fma_f32 v6, v42, v34, -v6
	v_mul_f32_e32 v8, v61, v49
	s_delay_alu instid0(VALU_DEP_4) | instskip(NEXT) | instid1(VALU_DEP_4)
	v_fma_f32 v5, v44, v36, -v5
	v_fma_f32 v4, v32, v28, -v4
	v_add_f32_e32 v3, v3, v75
	s_mul_i32 s1, s15, s1
	s_mul_hi_u32 s2, s15, s0
	v_mul_f32_e32 v10, v65, v53
	v_add_f32_e32 v2, v2, v4
	v_mul_f32_e32 v4, v55, v39
	s_mul_i32 s0, s15, s0
	s_add_i32 s1, s2, s1
	v_fmac_f32_e32 v7, v63, v50
	v_add_f32_e32 v2, v2, v6
	v_mul_f32_e32 v6, v60, v49
	s_lshl_b64 s[0:1], s[0:1], 3
	s_delay_alu instid0(SALU_CYCLE_1) | instskip(NEXT) | instid1(VALU_DEP_2)
	s_add_u32 s2, s28, s0
	v_add_f32_e32 v2, v2, v5
	v_mul_f32_e32 v5, v57, v41
	v_add_f32_e32 v3, v3, v76
	v_fmac_f32_e32 v6, v61, v48
	s_addc_u32 s4, s29, s1
	s_mul_i32 s0, s3, s31
	s_mul_hi_u32 s1, s3, s30
	v_add_f32_e32 v3, v3, v77
	s_add_i32 s0, s1, s0
	s_delay_alu instid0(SALU_CYCLE_1) | instskip(SKIP_1) | instid1(VALU_DEP_1)
	s_add_i32 s1, s0, s6
	s_mul_i32 s0, s3, s30
	v_add_f32_e32 v3, v3, v66
	s_lshl_b64 s[0:1], s[0:1], 3
	s_delay_alu instid0(SALU_CYCLE_1) | instskip(SKIP_1) | instid1(VALU_DEP_1)
	s_add_u32 s0, s2, s0
	s_addc_u32 s1, s4, s1
	v_add_f32_e32 v6, v3, v6
	s_delay_alu instid0(VALU_DEP_1) | instskip(SKIP_1) | instid1(VALU_DEP_2)
	v_dual_add_f32 v6, v6, v7 :: v_dual_mul_f32 v7, v64, v53
	v_fma_f32 v4, v54, v38, -v4
	v_fmac_f32_e32 v7, v65, v52
	s_delay_alu instid0(VALU_DEP_2) | instskip(SKIP_2) | instid1(VALU_DEP_4)
	v_add_f32_e32 v2, v2, v4
	v_fma_f32 v4, v56, v40, -v5
	v_mul_f32_e32 v5, v59, v47
	v_add_f32_e32 v6, v6, v7
	s_delay_alu instid0(VALU_DEP_3) | instskip(NEXT) | instid1(VALU_DEP_3)
	v_add_f32_e32 v4, v2, v4
	v_fma_f32 v5, v58, v46, -v5
	v_mad_u64_u32 v[2:3], null, v1, s30, 0
	s_delay_alu instid0(VALU_DEP_2) | instskip(SKIP_1) | instid1(VALU_DEP_1)
	v_add_f32_e32 v4, v4, v5
	v_fma_f32 v5, v60, v48, -v8
	v_dual_mul_f32 v8, v63, v51 :: v_dual_add_f32 v9, v4, v5
	s_delay_alu instid0(VALU_DEP_4) | instskip(NEXT) | instid1(VALU_DEP_2)
	v_mad_u64_u32 v[4:5], null, v1, s31, v[3:4]
	v_fma_f32 v8, v62, v50, -v8
	v_fma_f32 v5, v64, v52, -v10
	s_delay_alu instid0(VALU_DEP_2) | instskip(NEXT) | instid1(VALU_DEP_4)
	v_add_f32_e32 v1, v9, v8
	v_dual_mov_b32 v3, v4 :: v_dual_mul_f32 v4, s8, v6
	s_delay_alu instid0(VALU_DEP_2) | instskip(NEXT) | instid1(VALU_DEP_2)
	v_add_f32_e32 v5, v1, v5
	v_lshlrev_b64 v[1:2], 3, v[2:3]
	s_delay_alu instid0(VALU_DEP_2) | instskip(NEXT) | instid1(VALU_DEP_2)
	v_dual_mul_f32 v3, s9, v6 :: v_dual_fmac_f32 v4, s9, v5
	v_add_co_u32 v1, vcc_lo, s0, v1
	s_delay_alu instid0(VALU_DEP_3) | instskip(NEXT) | instid1(VALU_DEP_3)
	v_add_co_ci_u32_e32 v2, vcc_lo, s1, v2, vcc_lo
	v_fma_f32 v3, s8, v5, -v3
	s_delay_alu instid0(VALU_DEP_3) | instskip(NEXT) | instid1(VALU_DEP_3)
	v_add_co_u32 v0, vcc_lo, v1, v0
	v_add_co_ci_u32_e32 v1, vcc_lo, 0, v2, vcc_lo
	global_store_b64 v[0:1], v[3:4], off
.LBB101_15:
	s_nop 0
	s_sendmsg sendmsg(MSG_DEALLOC_VGPRS)
	s_endpgm
	.section	.rodata,"a",@progbits
	.p2align	6, 0x0
	.amdhsa_kernel _ZL23rocblas_trmm_lTx_kernelILi16ELb1E19rocblas_complex_numIfES1_KS1_S1_Ev13rocblas_fill_17rocblas_diagonal_iiT2_lPT3_llS7_llPT4_lli
		.amdhsa_group_segment_fixed_size 4096
		.amdhsa_private_segment_fixed_size 0
		.amdhsa_kernarg_size 108
		.amdhsa_user_sgpr_count 14
		.amdhsa_user_sgpr_dispatch_ptr 0
		.amdhsa_user_sgpr_queue_ptr 0
		.amdhsa_user_sgpr_kernarg_segment_ptr 1
		.amdhsa_user_sgpr_dispatch_id 0
		.amdhsa_user_sgpr_private_segment_size 0
		.amdhsa_wavefront_size32 1
		.amdhsa_uses_dynamic_stack 0
		.amdhsa_enable_private_segment 0
		.amdhsa_system_sgpr_workgroup_id_x 1
		.amdhsa_system_sgpr_workgroup_id_y 0
		.amdhsa_system_sgpr_workgroup_id_z 1
		.amdhsa_system_sgpr_workgroup_info 0
		.amdhsa_system_vgpr_workitem_id 1
		.amdhsa_next_free_vgpr 78
		.amdhsa_next_free_sgpr 32
		.amdhsa_reserve_vcc 1
		.amdhsa_float_round_mode_32 0
		.amdhsa_float_round_mode_16_64 0
		.amdhsa_float_denorm_mode_32 3
		.amdhsa_float_denorm_mode_16_64 3
		.amdhsa_dx10_clamp 1
		.amdhsa_ieee_mode 1
		.amdhsa_fp16_overflow 0
		.amdhsa_workgroup_processor_mode 1
		.amdhsa_memory_ordered 1
		.amdhsa_forward_progress 0
		.amdhsa_shared_vgpr_count 0
		.amdhsa_exception_fp_ieee_invalid_op 0
		.amdhsa_exception_fp_denorm_src 0
		.amdhsa_exception_fp_ieee_div_zero 0
		.amdhsa_exception_fp_ieee_overflow 0
		.amdhsa_exception_fp_ieee_underflow 0
		.amdhsa_exception_fp_ieee_inexact 0
		.amdhsa_exception_int_div_zero 0
	.end_amdhsa_kernel
	.section	.text._ZL23rocblas_trmm_lTx_kernelILi16ELb1E19rocblas_complex_numIfES1_KS1_S1_Ev13rocblas_fill_17rocblas_diagonal_iiT2_lPT3_llS7_llPT4_lli,"axG",@progbits,_ZL23rocblas_trmm_lTx_kernelILi16ELb1E19rocblas_complex_numIfES1_KS1_S1_Ev13rocblas_fill_17rocblas_diagonal_iiT2_lPT3_llS7_llPT4_lli,comdat
.Lfunc_end101:
	.size	_ZL23rocblas_trmm_lTx_kernelILi16ELb1E19rocblas_complex_numIfES1_KS1_S1_Ev13rocblas_fill_17rocblas_diagonal_iiT2_lPT3_llS7_llPT4_lli, .Lfunc_end101-_ZL23rocblas_trmm_lTx_kernelILi16ELb1E19rocblas_complex_numIfES1_KS1_S1_Ev13rocblas_fill_17rocblas_diagonal_iiT2_lPT3_llS7_llPT4_lli
                                        ; -- End function
	.section	.AMDGPU.csdata,"",@progbits
; Kernel info:
; codeLenInByte = 1580
; NumSgprs: 34
; NumVgprs: 78
; ScratchSize: 0
; MemoryBound: 0
; FloatMode: 240
; IeeeMode: 1
; LDSByteSize: 4096 bytes/workgroup (compile time only)
; SGPRBlocks: 4
; VGPRBlocks: 9
; NumSGPRsForWavesPerEU: 34
; NumVGPRsForWavesPerEU: 78
; Occupancy: 16
; WaveLimiterHint : 0
; COMPUTE_PGM_RSRC2:SCRATCH_EN: 0
; COMPUTE_PGM_RSRC2:USER_SGPR: 14
; COMPUTE_PGM_RSRC2:TRAP_HANDLER: 0
; COMPUTE_PGM_RSRC2:TGID_X_EN: 1
; COMPUTE_PGM_RSRC2:TGID_Y_EN: 0
; COMPUTE_PGM_RSRC2:TGID_Z_EN: 1
; COMPUTE_PGM_RSRC2:TIDIG_COMP_CNT: 1
	.section	.text._ZL23rocblas_trmm_rNx_kernelILi16E19rocblas_complex_numIfEPKS1_S2_S1_Ev13rocblas_fill_17rocblas_diagonal_iiT1_lPT2_llS8_llPT3_lli,"axG",@progbits,_ZL23rocblas_trmm_rNx_kernelILi16E19rocblas_complex_numIfEPKS1_S2_S1_Ev13rocblas_fill_17rocblas_diagonal_iiT1_lPT2_llS8_llPT3_lli,comdat
	.globl	_ZL23rocblas_trmm_rNx_kernelILi16E19rocblas_complex_numIfEPKS1_S2_S1_Ev13rocblas_fill_17rocblas_diagonal_iiT1_lPT2_llS8_llPT3_lli ; -- Begin function _ZL23rocblas_trmm_rNx_kernelILi16E19rocblas_complex_numIfEPKS1_S2_S1_Ev13rocblas_fill_17rocblas_diagonal_iiT1_lPT2_llS8_llPT3_lli
	.p2align	8
	.type	_ZL23rocblas_trmm_rNx_kernelILi16E19rocblas_complex_numIfEPKS1_S2_S1_Ev13rocblas_fill_17rocblas_diagonal_iiT1_lPT2_llS8_llPT3_lli,@function
_ZL23rocblas_trmm_rNx_kernelILi16E19rocblas_complex_numIfEPKS1_S2_S1_Ev13rocblas_fill_17rocblas_diagonal_iiT1_lPT2_llS8_llPT3_lli: ; @_ZL23rocblas_trmm_rNx_kernelILi16E19rocblas_complex_numIfEPKS1_S2_S1_Ev13rocblas_fill_17rocblas_diagonal_iiT1_lPT2_llS8_llPT3_lli
; %bb.0:
	s_load_b512 s[16:31], s[0:1], 0x10
	s_mov_b32 s10, 0
	s_waitcnt lgkmcnt(0)
	s_mul_i32 s3, s15, s19
	s_mul_hi_u32 s4, s15, s18
	s_mul_i32 s2, s15, s18
	s_add_i32 s3, s4, s3
	s_delay_alu instid0(SALU_CYCLE_1) | instskip(NEXT) | instid1(SALU_CYCLE_1)
	s_lshl_b64 s[2:3], s[2:3], 3
	s_add_u32 s2, s16, s2
	s_addc_u32 s3, s17, s3
	s_load_b64 s[8:9], s[2:3], 0x0
	s_waitcnt lgkmcnt(0)
	v_cmp_neq_f32_e64 s2, s8, 0
	v_cmp_neq_f32_e64 s3, s9, 0
	s_delay_alu instid0(VALU_DEP_1) | instskip(NEXT) | instid1(SALU_CYCLE_1)
	s_or_b32 s2, s2, s3
	s_and_not1_b32 vcc_lo, exec_lo, s2
	s_cbranch_vccnz .LBB102_15
; %bb.1:
	s_load_b128 s[4:7], s[0:1], 0x0
	v_bfe_u32 v1, v0, 10, 10
	s_mov_b32 s11, s10
	v_dual_mov_b32 v5, s10 :: v_dual_and_b32 v4, 0x3ff, v0
	v_mov_b32_e32 v6, s11
	s_delay_alu instid0(VALU_DEP_3) | instskip(NEXT) | instid1(VALU_DEP_3)
	v_lshlrev_b32_e32 v2, 4, v1
	v_lshlrev_b32_e32 v0, 3, v4
	s_delay_alu instid0(VALU_DEP_2) | instskip(SKIP_4) | instid1(VALU_DEP_1)
	v_add_lshl_u32 v3, v2, v4, 3
	ds_store_2addr_stride64_b64 v3, v[5:6], v[5:6] offset1:4
	s_waitcnt lgkmcnt(0)
	v_cmp_gt_i32_e32 vcc_lo, s7, v1
	v_cmp_gt_i32_e64 s2, s7, v4
	s_and_b32 s2, vcc_lo, s2
	s_delay_alu instid0(SALU_CYCLE_1)
	s_and_saveexec_b32 s3, s2
	s_cbranch_execz .LBB102_3
; %bb.2:
	v_mad_u64_u32 v[5:6], null, v1, s22, 0
	s_mul_i32 s2, s15, s25
	s_mul_hi_u32 s7, s15, s24
	s_mul_i32 s10, s15, s24
	s_add_i32 s11, s7, s2
	s_delay_alu instid0(SALU_CYCLE_1) | instskip(NEXT) | instid1(VALU_DEP_1)
	s_lshl_b64 s[10:11], s[10:11], 3
	v_mad_u64_u32 v[7:8], null, v1, s23, v[6:7]
	s_add_u32 s2, s20, s10
	s_addc_u32 s7, s21, s11
	s_delay_alu instid0(VALU_DEP_1) | instskip(NEXT) | instid1(VALU_DEP_1)
	v_mov_b32_e32 v6, v7
	v_lshlrev_b64 v[5:6], 3, v[5:6]
	s_delay_alu instid0(VALU_DEP_1) | instskip(NEXT) | instid1(VALU_DEP_1)
	v_add_co_u32 v5, s2, s2, v5
	v_add_co_ci_u32_e64 v6, s2, s7, v6, s2
	s_delay_alu instid0(VALU_DEP_2) | instskip(NEXT) | instid1(VALU_DEP_1)
	v_add_co_u32 v5, s2, v5, v0
	v_add_co_ci_u32_e64 v6, s2, 0, v6, s2
	global_load_b64 v[5:6], v[5:6], off
	s_waitcnt vmcnt(0)
	ds_store_b64 v3, v[5:6]
.LBB102_3:
	s_or_b32 exec_lo, exec_lo, s3
	s_add_i32 s2, s6, -1
	s_delay_alu instid0(SALU_CYCLE_1) | instskip(NEXT) | instid1(SALU_CYCLE_1)
	s_ashr_i32 s3, s2, 31
	s_lshr_b32 s3, s3, 28
	s_delay_alu instid0(SALU_CYCLE_1) | instskip(NEXT) | instid1(SALU_CYCLE_1)
	s_add_i32 s2, s2, s3
	s_and_b32 s3, s2, -16
	s_ashr_i32 s2, s2, 4
	s_sub_i32 s3, s6, s3
	s_cmp_ge_i32 s14, s2
	s_cselect_b32 s2, s3, 16
	s_lshl_b32 s6, s14, 4
	v_cmp_gt_i32_e64 s2, s2, v4
	s_ashr_i32 s7, s6, 31
	s_delay_alu instid0(VALU_DEP_1) | instskip(NEXT) | instid1(SALU_CYCLE_1)
	s_and_b32 s2, vcc_lo, s2
	s_and_saveexec_b32 s3, s2
	s_cbranch_execz .LBB102_5
; %bb.4:
	v_mad_u64_u32 v[5:6], null, v1, s28, 0
	s_mul_i32 s11, s15, s31
	s_mul_hi_u32 s12, s15, s30
	s_mul_i32 s10, s15, s30
	s_add_i32 s11, s12, s11
	s_delay_alu instid0(SALU_CYCLE_1) | instskip(NEXT) | instid1(VALU_DEP_1)
	s_lshl_b64 s[10:11], s[10:11], 3
	v_mad_u64_u32 v[7:8], null, v1, s29, v[6:7]
	s_add_u32 s12, s26, s10
	s_addc_u32 s13, s27, s11
	s_lshl_b64 s[10:11], s[6:7], 3
	s_delay_alu instid0(SALU_CYCLE_1) | instskip(SKIP_1) | instid1(VALU_DEP_1)
	s_add_u32 s10, s12, s10
	s_addc_u32 s11, s13, s11
	v_dual_mov_b32 v6, v7 :: v_dual_add_nc_u32 v7, 0x800, v3
	s_delay_alu instid0(VALU_DEP_1) | instskip(NEXT) | instid1(VALU_DEP_1)
	v_lshlrev_b64 v[5:6], 3, v[5:6]
	v_add_co_u32 v5, vcc_lo, s10, v5
	s_delay_alu instid0(VALU_DEP_2) | instskip(NEXT) | instid1(VALU_DEP_2)
	v_add_co_ci_u32_e32 v6, vcc_lo, s11, v6, vcc_lo
	v_add_co_u32 v5, vcc_lo, v5, v0
	s_delay_alu instid0(VALU_DEP_2)
	v_add_co_ci_u32_e32 v6, vcc_lo, 0, v6, vcc_lo
	global_load_b64 v[5:6], v[5:6], off
	s_waitcnt vmcnt(0)
	ds_store_b64 v7, v[5:6]
.LBB102_5:
	s_or_b32 exec_lo, exec_lo, s3
	v_cmp_eq_u32_e32 vcc_lo, v1, v4
	s_cmpk_eq_i32 s5, 0x84
	s_cselect_b32 s3, -1, 0
	s_delay_alu instid0(SALU_CYCLE_1) | instskip(NEXT) | instid1(SALU_CYCLE_1)
	s_and_b32 s5, vcc_lo, s3
	s_and_saveexec_b32 s3, s5
	s_cbranch_execz .LBB102_7
; %bb.6:
	v_dual_mov_b32 v5, 1.0 :: v_dual_mov_b32 v6, 0
	ds_store_b64 v3, v[5:6]
.LBB102_7:
	s_or_b32 exec_lo, exec_lo, s3
	s_cmpk_lg_i32 s4, 0x79
	s_cbranch_scc0 .LBB102_9
; %bb.8:
	v_cmp_lt_u32_e32 vcc_lo, v4, v1
	s_and_b32 s3, vcc_lo, exec_lo
	s_cbranch_execz .LBB102_10
	s_branch .LBB102_11
.LBB102_9:
	s_mov_b32 s3, 0
.LBB102_10:
	v_cmp_gt_u32_e32 vcc_lo, v4, v1
	s_and_not1_b32 s3, s3, exec_lo
	s_and_b32 s4, vcc_lo, exec_lo
	s_delay_alu instid0(SALU_CYCLE_1)
	s_or_b32 s3, s3, s4
.LBB102_11:
	s_delay_alu instid0(SALU_CYCLE_1)
	s_and_saveexec_b32 s4, s3
	s_cbranch_execz .LBB102_13
; %bb.12:
	v_mov_b32_e32 v4, 0
	s_delay_alu instid0(VALU_DEP_1)
	v_mov_b32_e32 v5, v4
	ds_store_b64 v3, v[4:5]
.LBB102_13:
	s_or_b32 exec_lo, exec_lo, s4
	s_waitcnt lgkmcnt(0)
	s_barrier
	buffer_gl0_inv
	s_and_saveexec_b32 s3, s2
	s_cbranch_execz .LBB102_15
; %bb.14:
	v_add_nc_u32_e32 v62, 0x800, v0
	v_lshlrev_b32_e32 v58, 3, v2
	s_clause 0x1
	s_load_b64 s[4:5], s[0:1], 0x60
	s_load_b128 s[0:3], s[0:1], 0x50
	ds_load_2addr_b64 v[2:5], v62 offset1:16
	ds_load_b128 v[6:9], v58
	ds_load_b128 v[10:13], v58 offset:16
	ds_load_2addr_b64 v[14:17], v62 offset0:32 offset1:48
	ds_load_2addr_b64 v[18:21], v62 offset0:64 offset1:80
	ds_load_b128 v[22:25], v58 offset:32
	ds_load_b128 v[26:29], v58 offset:48
	ds_load_2addr_b64 v[30:33], v62 offset0:96 offset1:112
	ds_load_2addr_b64 v[34:37], v62 offset0:128 offset1:144
	ds_load_b128 v[38:41], v58 offset:64
	;; [unrolled: 4-line block ×3, first 2 shown]
	s_waitcnt lgkmcnt(0)
	v_dual_mul_f32 v67, v8, v5 :: v_dual_mul_f32 v66, v6, v3
	v_dual_mul_f32 v68, v10, v15 :: v_dual_mul_f32 v69, v12, v17
	;; [unrolled: 1-line block ×3, first 2 shown]
	s_delay_alu instid0(VALU_DEP_2) | instskip(NEXT) | instid1(VALU_DEP_4)
	v_dual_mul_f32 v73, v28, v33 :: v_dual_fmac_f32 v68, v11, v14
	v_dual_mul_f32 v74, v38, v35 :: v_dual_fmac_f32 v67, v9, v4
	v_dual_mul_f32 v76, v42, v47 :: v_dual_mul_f32 v5, v9, v5
	v_fmac_f32_e32 v66, v7, v2
	v_dual_mul_f32 v72, v26, v31 :: v_dual_mul_f32 v77, v44, v49
	v_mul_f32_e32 v75, v40, v37
	s_delay_alu instid0(VALU_DEP_4) | instskip(SKIP_4) | instid1(VALU_DEP_3)
	v_fma_f32 v4, v8, v4, -v5
	v_mul_f32_e32 v5, v13, v17
	v_mul_f32_e32 v3, v7, v3
	v_dual_mul_f32 v7, v56, v53 :: v_dual_add_f32 v66, 0, v66
	v_dual_mul_f32 v78, v54, v51 :: v_dual_fmac_f32 v69, v13, v16
	v_fma_f32 v2, v6, v2, -v3
	v_mul_f32_e32 v3, v11, v15
	s_delay_alu instid0(VALU_DEP_4) | instskip(SKIP_1) | instid1(VALU_DEP_4)
	v_dual_add_f32 v66, v66, v67 :: v_dual_fmac_f32 v71, v25, v20
	v_fma_f32 v5, v12, v16, -v5
	v_add_f32_e32 v2, 0, v2
	s_delay_alu instid0(VALU_DEP_4) | instskip(NEXT) | instid1(VALU_DEP_4)
	v_fma_f32 v3, v10, v14, -v3
	v_add_f32_e32 v6, v66, v68
	v_dual_fmac_f32 v75, v41, v36 :: v_dual_fmac_f32 v78, v55, v50
	s_delay_alu instid0(VALU_DEP_4) | instskip(SKIP_1) | instid1(VALU_DEP_4)
	v_add_f32_e32 v2, v2, v4
	v_dual_mul_f32 v4, v23, v19 :: v_dual_fmac_f32 v77, v45, v48
	v_add_f32_e32 v6, v6, v69
	ds_load_b128 v[58:61], v58 offset:112
	ds_load_2addr_b64 v[62:65], v62 offset0:224 offset1:240
	v_dual_add_f32 v2, v2, v3 :: v_dual_mul_f32 v3, v25, v21
	v_fma_f32 v4, v22, v18, -v4
	v_dual_fmac_f32 v70, v23, v18 :: v_dual_fmac_f32 v73, v29, v32
	s_delay_alu instid0(VALU_DEP_3) | instskip(NEXT) | instid1(VALU_DEP_4)
	v_dual_add_f32 v2, v2, v5 :: v_dual_mul_f32 v5, v27, v31
	v_fma_f32 v3, v24, v20, -v3
	s_delay_alu instid0(VALU_DEP_3) | instskip(SKIP_1) | instid1(VALU_DEP_4)
	v_add_f32_e32 v6, v6, v70
	v_fmac_f32_e32 v72, v27, v30
	v_add_f32_e32 v2, v2, v4
	v_mul_f32_e32 v4, v29, v33
	v_fma_f32 v5, v26, v30, -v5
	v_fmac_f32_e32 v76, v43, v46
	v_mul_f32_e32 v8, v57, v53
	v_add_f32_e32 v2, v2, v3
	v_mul_f32_e32 v3, v39, v35
	v_fma_f32 v4, v28, v32, -v4
	v_fmac_f32_e32 v7, v57, v52
	s_waitcnt lgkmcnt(0)
	v_mul_f32_e32 v10, v61, v65
	v_add_f32_e32 v2, v2, v5
	v_mul_f32_e32 v5, v41, v37
	v_fma_f32 v3, v38, v34, -v3
	v_add_f32_e32 v6, v6, v71
	s_mul_i32 s5, s15, s5
	v_add_f32_e32 v2, v2, v4
	v_mul_f32_e32 v4, v43, v47
	v_fma_f32 v5, v40, v36, -v5
	v_mul_f32_e32 v9, v60, v65
	s_mul_hi_u32 s10, s15, s4
	v_dual_add_f32 v2, v2, v3 :: v_dual_mul_f32 v3, v45, v49
	v_add_f32_e32 v6, v6, v72
	v_fma_f32 v4, v42, v46, -v4
	s_delay_alu instid0(VALU_DEP_3) | instskip(NEXT) | instid1(VALU_DEP_4)
	v_dual_fmac_f32 v9, v61, v64 :: v_dual_add_f32 v2, v2, v5
	v_fma_f32 v3, v44, v48, -v3
	s_delay_alu instid0(VALU_DEP_4)
	v_add_f32_e32 v6, v6, v73
	s_add_i32 s5, s10, s5
	s_mul_i32 s4, s15, s4
	v_add_f32_e32 v2, v2, v4
	v_fmac_f32_e32 v74, v39, v34
	v_mul_f32_e32 v4, v55, v51
	s_delay_alu instid0(VALU_DEP_2) | instskip(NEXT) | instid1(VALU_DEP_2)
	v_add_f32_e32 v6, v6, v74
	v_fma_f32 v4, v54, v50, -v4
	s_delay_alu instid0(VALU_DEP_2) | instskip(NEXT) | instid1(VALU_DEP_1)
	v_add_f32_e32 v6, v6, v75
	v_add_f32_e32 v6, v6, v76
	s_delay_alu instid0(VALU_DEP_1) | instskip(NEXT) | instid1(VALU_DEP_1)
	v_add_f32_e32 v6, v6, v77
	v_add_f32_e32 v5, v6, v78
	v_mul_f32_e32 v6, v58, v63
	s_delay_alu instid0(VALU_DEP_2) | instskip(SKIP_2) | instid1(VALU_DEP_4)
	v_add_f32_e32 v5, v5, v7
	v_add_f32_e32 v7, v2, v3
	v_mad_u64_u32 v[2:3], null, v1, s2, 0
	v_fmac_f32_e32 v6, v59, v62
	s_delay_alu instid0(VALU_DEP_3) | instskip(SKIP_2) | instid1(VALU_DEP_2)
	v_add_f32_e32 v4, v7, v4
	v_fma_f32 v7, v56, v52, -v8
	v_mul_f32_e32 v8, v59, v63
	v_dual_add_f32 v6, v5, v6 :: v_dual_add_f32 v7, v4, v7
	v_mad_u64_u32 v[4:5], null, v1, s3, v[3:4]
	s_delay_alu instid0(VALU_DEP_3)
	v_fma_f32 v8, v58, v62, -v8
	v_fma_f32 v5, v60, v64, -v10
	s_lshl_b64 s[2:3], s[4:5], 3
	v_add_f32_e32 v6, v6, v9
	s_add_u32 s2, s0, s2
	v_add_f32_e32 v1, v7, v8
	v_mov_b32_e32 v3, v4
	s_addc_u32 s3, s1, s3
	s_lshl_b64 s[0:1], s[6:7], 3
	s_delay_alu instid0(VALU_DEP_2) | instskip(NEXT) | instid1(VALU_DEP_2)
	v_dual_mul_f32 v4, s8, v6 :: v_dual_add_f32 v5, v1, v5
	v_lshlrev_b64 v[1:2], 3, v[2:3]
	s_add_u32 s0, s2, s0
	s_addc_u32 s1, s3, s1
	s_delay_alu instid0(VALU_DEP_2) | instskip(NEXT) | instid1(VALU_DEP_2)
	v_dual_mul_f32 v3, s9, v6 :: v_dual_fmac_f32 v4, s9, v5
	v_add_co_u32 v1, vcc_lo, s0, v1
	s_delay_alu instid0(VALU_DEP_3) | instskip(NEXT) | instid1(VALU_DEP_3)
	v_add_co_ci_u32_e32 v2, vcc_lo, s1, v2, vcc_lo
	v_fma_f32 v3, s8, v5, -v3
	s_delay_alu instid0(VALU_DEP_3) | instskip(NEXT) | instid1(VALU_DEP_3)
	v_add_co_u32 v0, vcc_lo, v1, v0
	v_add_co_ci_u32_e32 v1, vcc_lo, 0, v2, vcc_lo
	global_store_b64 v[0:1], v[3:4], off
.LBB102_15:
	s_nop 0
	s_sendmsg sendmsg(MSG_DEALLOC_VGPRS)
	s_endpgm
	.section	.rodata,"a",@progbits
	.p2align	6, 0x0
	.amdhsa_kernel _ZL23rocblas_trmm_rNx_kernelILi16E19rocblas_complex_numIfEPKS1_S2_S1_Ev13rocblas_fill_17rocblas_diagonal_iiT1_lPT2_llS8_llPT3_lli
		.amdhsa_group_segment_fixed_size 4096
		.amdhsa_private_segment_fixed_size 0
		.amdhsa_kernarg_size 108
		.amdhsa_user_sgpr_count 14
		.amdhsa_user_sgpr_dispatch_ptr 0
		.amdhsa_user_sgpr_queue_ptr 0
		.amdhsa_user_sgpr_kernarg_segment_ptr 1
		.amdhsa_user_sgpr_dispatch_id 0
		.amdhsa_user_sgpr_private_segment_size 0
		.amdhsa_wavefront_size32 1
		.amdhsa_uses_dynamic_stack 0
		.amdhsa_enable_private_segment 0
		.amdhsa_system_sgpr_workgroup_id_x 1
		.amdhsa_system_sgpr_workgroup_id_y 0
		.amdhsa_system_sgpr_workgroup_id_z 1
		.amdhsa_system_sgpr_workgroup_info 0
		.amdhsa_system_vgpr_workitem_id 1
		.amdhsa_next_free_vgpr 79
		.amdhsa_next_free_sgpr 32
		.amdhsa_reserve_vcc 1
		.amdhsa_float_round_mode_32 0
		.amdhsa_float_round_mode_16_64 0
		.amdhsa_float_denorm_mode_32 3
		.amdhsa_float_denorm_mode_16_64 3
		.amdhsa_dx10_clamp 1
		.amdhsa_ieee_mode 1
		.amdhsa_fp16_overflow 0
		.amdhsa_workgroup_processor_mode 1
		.amdhsa_memory_ordered 1
		.amdhsa_forward_progress 0
		.amdhsa_shared_vgpr_count 0
		.amdhsa_exception_fp_ieee_invalid_op 0
		.amdhsa_exception_fp_denorm_src 0
		.amdhsa_exception_fp_ieee_div_zero 0
		.amdhsa_exception_fp_ieee_overflow 0
		.amdhsa_exception_fp_ieee_underflow 0
		.amdhsa_exception_fp_ieee_inexact 0
		.amdhsa_exception_int_div_zero 0
	.end_amdhsa_kernel
	.section	.text._ZL23rocblas_trmm_rNx_kernelILi16E19rocblas_complex_numIfEPKS1_S2_S1_Ev13rocblas_fill_17rocblas_diagonal_iiT1_lPT2_llS8_llPT3_lli,"axG",@progbits,_ZL23rocblas_trmm_rNx_kernelILi16E19rocblas_complex_numIfEPKS1_S2_S1_Ev13rocblas_fill_17rocblas_diagonal_iiT1_lPT2_llS8_llPT3_lli,comdat
.Lfunc_end102:
	.size	_ZL23rocblas_trmm_rNx_kernelILi16E19rocblas_complex_numIfEPKS1_S2_S1_Ev13rocblas_fill_17rocblas_diagonal_iiT1_lPT2_llS8_llPT3_lli, .Lfunc_end102-_ZL23rocblas_trmm_rNx_kernelILi16E19rocblas_complex_numIfEPKS1_S2_S1_Ev13rocblas_fill_17rocblas_diagonal_iiT1_lPT2_llS8_llPT3_lli
                                        ; -- End function
	.section	.AMDGPU.csdata,"",@progbits
; Kernel info:
; codeLenInByte = 1520
; NumSgprs: 34
; NumVgprs: 79
; ScratchSize: 0
; MemoryBound: 0
; FloatMode: 240
; IeeeMode: 1
; LDSByteSize: 4096 bytes/workgroup (compile time only)
; SGPRBlocks: 4
; VGPRBlocks: 9
; NumSGPRsForWavesPerEU: 34
; NumVGPRsForWavesPerEU: 79
; Occupancy: 16
; WaveLimiterHint : 0
; COMPUTE_PGM_RSRC2:SCRATCH_EN: 0
; COMPUTE_PGM_RSRC2:USER_SGPR: 14
; COMPUTE_PGM_RSRC2:TRAP_HANDLER: 0
; COMPUTE_PGM_RSRC2:TGID_X_EN: 1
; COMPUTE_PGM_RSRC2:TGID_Y_EN: 0
; COMPUTE_PGM_RSRC2:TGID_Z_EN: 1
; COMPUTE_PGM_RSRC2:TIDIG_COMP_CNT: 1
	.section	.text._ZL23rocblas_trmm_rNx_kernelILi16E19rocblas_complex_numIfES1_KS1_S1_Ev13rocblas_fill_17rocblas_diagonal_iiT1_lPT2_llS7_llPT3_lli,"axG",@progbits,_ZL23rocblas_trmm_rNx_kernelILi16E19rocblas_complex_numIfES1_KS1_S1_Ev13rocblas_fill_17rocblas_diagonal_iiT1_lPT2_llS7_llPT3_lli,comdat
	.globl	_ZL23rocblas_trmm_rNx_kernelILi16E19rocblas_complex_numIfES1_KS1_S1_Ev13rocblas_fill_17rocblas_diagonal_iiT1_lPT2_llS7_llPT3_lli ; -- Begin function _ZL23rocblas_trmm_rNx_kernelILi16E19rocblas_complex_numIfES1_KS1_S1_Ev13rocblas_fill_17rocblas_diagonal_iiT1_lPT2_llS7_llPT3_lli
	.p2align	8
	.type	_ZL23rocblas_trmm_rNx_kernelILi16E19rocblas_complex_numIfES1_KS1_S1_Ev13rocblas_fill_17rocblas_diagonal_iiT1_lPT2_llS7_llPT3_lli,@function
_ZL23rocblas_trmm_rNx_kernelILi16E19rocblas_complex_numIfES1_KS1_S1_Ev13rocblas_fill_17rocblas_diagonal_iiT1_lPT2_llS7_llPT3_lli: ; @_ZL23rocblas_trmm_rNx_kernelILi16E19rocblas_complex_numIfES1_KS1_S1_Ev13rocblas_fill_17rocblas_diagonal_iiT1_lPT2_llS7_llPT3_lli
; %bb.0:
	s_load_b64 s[8:9], s[0:1], 0x10
	s_mov_b32 s10, 0
	s_waitcnt lgkmcnt(0)
	v_cmp_neq_f32_e64 s2, s8, 0
	v_cmp_neq_f32_e64 s3, s9, 0
	s_delay_alu instid0(VALU_DEP_1) | instskip(NEXT) | instid1(SALU_CYCLE_1)
	s_or_b32 s2, s2, s3
	s_and_not1_b32 vcc_lo, exec_lo, s2
	s_cbranch_vccnz .LBB103_15
; %bb.1:
	s_clause 0x1
	s_load_b128 s[4:7], s[0:1], 0x0
	s_load_b512 s[16:31], s[0:1], 0x20
	v_bfe_u32 v1, v0, 10, 10
	s_mov_b32 s11, s10
	v_dual_mov_b32 v5, s10 :: v_dual_and_b32 v4, 0x3ff, v0
	v_mov_b32_e32 v6, s11
	s_delay_alu instid0(VALU_DEP_3) | instskip(NEXT) | instid1(VALU_DEP_3)
	v_lshlrev_b32_e32 v2, 4, v1
	v_lshlrev_b32_e32 v0, 3, v4
	s_delay_alu instid0(VALU_DEP_2) | instskip(SKIP_4) | instid1(VALU_DEP_1)
	v_add_lshl_u32 v3, v2, v4, 3
	ds_store_2addr_stride64_b64 v3, v[5:6], v[5:6] offset1:4
	s_waitcnt lgkmcnt(0)
	v_cmp_gt_i32_e32 vcc_lo, s7, v1
	v_cmp_gt_i32_e64 s2, s7, v4
	s_and_b32 s2, vcc_lo, s2
	s_delay_alu instid0(SALU_CYCLE_1)
	s_and_saveexec_b32 s3, s2
	s_cbranch_execz .LBB103_3
; %bb.2:
	v_mad_u64_u32 v[5:6], null, v1, s18, 0
	s_mul_i32 s2, s15, s21
	s_mul_hi_u32 s7, s15, s20
	s_mul_i32 s10, s15, s20
	s_add_i32 s11, s7, s2
	s_delay_alu instid0(SALU_CYCLE_1) | instskip(NEXT) | instid1(VALU_DEP_1)
	s_lshl_b64 s[10:11], s[10:11], 3
	v_mad_u64_u32 v[7:8], null, v1, s19, v[6:7]
	s_add_u32 s2, s16, s10
	s_addc_u32 s7, s17, s11
	s_delay_alu instid0(VALU_DEP_1) | instskip(NEXT) | instid1(VALU_DEP_1)
	v_mov_b32_e32 v6, v7
	v_lshlrev_b64 v[5:6], 3, v[5:6]
	s_delay_alu instid0(VALU_DEP_1) | instskip(NEXT) | instid1(VALU_DEP_1)
	v_add_co_u32 v5, s2, s2, v5
	v_add_co_ci_u32_e64 v6, s2, s7, v6, s2
	s_delay_alu instid0(VALU_DEP_2) | instskip(NEXT) | instid1(VALU_DEP_1)
	v_add_co_u32 v5, s2, v5, v0
	v_add_co_ci_u32_e64 v6, s2, 0, v6, s2
	global_load_b64 v[5:6], v[5:6], off
	s_waitcnt vmcnt(0)
	ds_store_b64 v3, v[5:6]
.LBB103_3:
	s_or_b32 exec_lo, exec_lo, s3
	s_add_i32 s2, s6, -1
	s_delay_alu instid0(SALU_CYCLE_1) | instskip(NEXT) | instid1(SALU_CYCLE_1)
	s_ashr_i32 s3, s2, 31
	s_lshr_b32 s3, s3, 28
	s_delay_alu instid0(SALU_CYCLE_1) | instskip(NEXT) | instid1(SALU_CYCLE_1)
	s_add_i32 s2, s2, s3
	s_and_b32 s3, s2, -16
	s_ashr_i32 s2, s2, 4
	s_sub_i32 s3, s6, s3
	s_cmp_ge_i32 s14, s2
	s_cselect_b32 s2, s3, 16
	s_lshl_b32 s6, s14, 4
	v_cmp_gt_i32_e64 s2, s2, v4
	s_ashr_i32 s7, s6, 31
	s_delay_alu instid0(VALU_DEP_1) | instskip(NEXT) | instid1(SALU_CYCLE_1)
	s_and_b32 s2, vcc_lo, s2
	s_and_saveexec_b32 s3, s2
	s_cbranch_execz .LBB103_5
; %bb.4:
	v_mad_u64_u32 v[5:6], null, v1, s24, 0
	s_mul_i32 s11, s15, s27
	s_mul_hi_u32 s12, s15, s26
	s_mul_i32 s10, s15, s26
	s_add_i32 s11, s12, s11
	s_delay_alu instid0(SALU_CYCLE_1) | instskip(NEXT) | instid1(VALU_DEP_1)
	s_lshl_b64 s[10:11], s[10:11], 3
	v_mad_u64_u32 v[7:8], null, v1, s25, v[6:7]
	s_add_u32 s12, s22, s10
	s_addc_u32 s13, s23, s11
	s_lshl_b64 s[10:11], s[6:7], 3
	s_delay_alu instid0(SALU_CYCLE_1) | instskip(SKIP_1) | instid1(VALU_DEP_1)
	s_add_u32 s10, s12, s10
	s_addc_u32 s11, s13, s11
	v_dual_mov_b32 v6, v7 :: v_dual_add_nc_u32 v7, 0x800, v3
	s_delay_alu instid0(VALU_DEP_1) | instskip(NEXT) | instid1(VALU_DEP_1)
	v_lshlrev_b64 v[5:6], 3, v[5:6]
	v_add_co_u32 v5, vcc_lo, s10, v5
	s_delay_alu instid0(VALU_DEP_2) | instskip(NEXT) | instid1(VALU_DEP_2)
	v_add_co_ci_u32_e32 v6, vcc_lo, s11, v6, vcc_lo
	v_add_co_u32 v5, vcc_lo, v5, v0
	s_delay_alu instid0(VALU_DEP_2)
	v_add_co_ci_u32_e32 v6, vcc_lo, 0, v6, vcc_lo
	global_load_b64 v[5:6], v[5:6], off
	s_waitcnt vmcnt(0)
	ds_store_b64 v7, v[5:6]
.LBB103_5:
	s_or_b32 exec_lo, exec_lo, s3
	v_cmp_eq_u32_e32 vcc_lo, v1, v4
	s_cmpk_eq_i32 s5, 0x84
	s_cselect_b32 s3, -1, 0
	s_delay_alu instid0(SALU_CYCLE_1) | instskip(NEXT) | instid1(SALU_CYCLE_1)
	s_and_b32 s5, vcc_lo, s3
	s_and_saveexec_b32 s3, s5
	s_cbranch_execz .LBB103_7
; %bb.6:
	v_dual_mov_b32 v5, 1.0 :: v_dual_mov_b32 v6, 0
	ds_store_b64 v3, v[5:6]
.LBB103_7:
	s_or_b32 exec_lo, exec_lo, s3
	s_cmpk_lg_i32 s4, 0x79
	s_cbranch_scc0 .LBB103_9
; %bb.8:
	v_cmp_lt_u32_e32 vcc_lo, v4, v1
	s_and_b32 s3, vcc_lo, exec_lo
	s_cbranch_execz .LBB103_10
	s_branch .LBB103_11
.LBB103_9:
	s_mov_b32 s3, 0
.LBB103_10:
	v_cmp_gt_u32_e32 vcc_lo, v4, v1
	s_and_not1_b32 s3, s3, exec_lo
	s_and_b32 s4, vcc_lo, exec_lo
	s_delay_alu instid0(SALU_CYCLE_1)
	s_or_b32 s3, s3, s4
.LBB103_11:
	s_delay_alu instid0(SALU_CYCLE_1)
	s_and_saveexec_b32 s4, s3
	s_cbranch_execz .LBB103_13
; %bb.12:
	v_mov_b32_e32 v4, 0
	s_delay_alu instid0(VALU_DEP_1)
	v_mov_b32_e32 v5, v4
	ds_store_b64 v3, v[4:5]
.LBB103_13:
	s_or_b32 exec_lo, exec_lo, s4
	s_waitcnt lgkmcnt(0)
	s_barrier
	buffer_gl0_inv
	s_and_saveexec_b32 s3, s2
	s_cbranch_execz .LBB103_15
; %bb.14:
	v_add_nc_u32_e32 v62, 0x800, v0
	v_lshlrev_b32_e32 v58, 3, v2
	s_load_b64 s[0:1], s[0:1], 0x60
	ds_load_2addr_b64 v[2:5], v62 offset1:16
	ds_load_b128 v[6:9], v58
	ds_load_b128 v[10:13], v58 offset:16
	ds_load_2addr_b64 v[14:17], v62 offset0:32 offset1:48
	ds_load_2addr_b64 v[18:21], v62 offset0:64 offset1:80
	ds_load_b128 v[22:25], v58 offset:32
	ds_load_b128 v[26:29], v58 offset:48
	ds_load_2addr_b64 v[30:33], v62 offset0:96 offset1:112
	ds_load_2addr_b64 v[34:37], v62 offset0:128 offset1:144
	ds_load_b128 v[38:41], v58 offset:64
	;; [unrolled: 4-line block ×3, first 2 shown]
	ds_load_b128 v[58:61], v58 offset:112
	ds_load_2addr_b64 v[62:65], v62 offset0:224 offset1:240
	s_waitcnt lgkmcnt(0)
	v_dual_mul_f32 v66, v6, v3 :: v_dual_mul_f32 v67, v8, v5
	v_mul_f32_e32 v68, v10, v15
	v_mul_f32_e32 v3, v7, v3
	s_delay_alu instid0(VALU_DEP_3)
	v_dual_mul_f32 v71, v24, v21 :: v_dual_fmac_f32 v66, v7, v2
	v_mul_f32_e32 v69, v12, v17
	v_dual_mul_f32 v73, v28, v33 :: v_dual_mul_f32 v74, v38, v35
	v_dual_fmac_f32 v67, v9, v4 :: v_dual_mul_f32 v76, v42, v47
	v_mul_f32_e32 v5, v9, v5
	v_dual_mul_f32 v7, v56, v53 :: v_dual_add_f32 v66, 0, v66
	v_fma_f32 v2, v6, v2, -v3
	v_mul_f32_e32 v3, v11, v15
	v_fmac_f32_e32 v68, v11, v14
	v_dual_mul_f32 v70, v22, v19 :: v_dual_mul_f32 v75, v40, v37
	v_add_f32_e32 v9, v66, v67
	v_dual_mul_f32 v78, v54, v51 :: v_dual_fmac_f32 v69, v13, v16
	v_fma_f32 v4, v8, v4, -v5
	s_delay_alu instid0(VALU_DEP_3) | instskip(SKIP_3) | instid1(VALU_DEP_4)
	v_dual_add_f32 v2, 0, v2 :: v_dual_add_f32 v5, v9, v68
	v_fmac_f32_e32 v70, v23, v18
	v_mul_f32_e32 v6, v13, v17
	v_fma_f32 v3, v10, v14, -v3
	v_dual_add_f32 v2, v2, v4 :: v_dual_add_f32 v5, v5, v69
	v_dual_mul_f32 v72, v26, v31 :: v_dual_mul_f32 v77, v44, v49
	v_dual_mul_f32 v4, v23, v19 :: v_dual_fmac_f32 v71, v25, v20
	v_fma_f32 v6, v12, v16, -v6
	s_delay_alu instid0(VALU_DEP_4) | instskip(NEXT) | instid1(VALU_DEP_4)
	v_dual_add_f32 v5, v5, v70 :: v_dual_add_f32 v2, v2, v3
	v_dual_mul_f32 v3, v25, v21 :: v_dual_fmac_f32 v72, v27, v30
	s_delay_alu instid0(VALU_DEP_4) | instskip(NEXT) | instid1(VALU_DEP_3)
	v_fma_f32 v4, v22, v18, -v4
	v_dual_add_f32 v5, v5, v71 :: v_dual_add_f32 v2, v2, v6
	v_dual_mul_f32 v6, v27, v31 :: v_dual_fmac_f32 v73, v29, v32
	s_delay_alu instid0(VALU_DEP_4) | instskip(NEXT) | instid1(VALU_DEP_3)
	v_fma_f32 v3, v24, v20, -v3
	v_dual_add_f32 v5, v5, v72 :: v_dual_fmac_f32 v74, v39, v34
	s_delay_alu instid0(VALU_DEP_4) | instskip(SKIP_2) | instid1(VALU_DEP_4)
	v_add_f32_e32 v2, v2, v4
	v_mul_f32_e32 v4, v29, v33
	v_fma_f32 v6, v26, v30, -v6
	v_add_f32_e32 v5, v5, v73
	s_delay_alu instid0(VALU_DEP_4) | instskip(SKIP_3) | instid1(VALU_DEP_4)
	v_dual_fmac_f32 v75, v41, v36 :: v_dual_add_f32 v2, v2, v3
	v_mul_f32_e32 v3, v39, v35
	v_fma_f32 v4, v28, v32, -v4
	v_dual_fmac_f32 v76, v43, v46 :: v_dual_fmac_f32 v77, v45, v48
	v_add_f32_e32 v2, v2, v6
	v_add_f32_e32 v5, v5, v74
	v_mul_f32_e32 v6, v41, v37
	v_fma_f32 v3, v38, v34, -v3
	v_mul_f32_e32 v8, v57, v53
	s_delay_alu instid0(VALU_DEP_4) | instskip(SKIP_3) | instid1(VALU_DEP_4)
	v_dual_add_f32 v2, v2, v4 :: v_dual_add_f32 v5, v5, v75
	v_mul_f32_e32 v4, v43, v47
	v_fma_f32 v6, v40, v36, -v6
	v_mul_f32_e32 v10, v61, v65
	v_dual_add_f32 v2, v2, v3 :: v_dual_mul_f32 v3, v45, v49
	v_dual_add_f32 v5, v5, v76 :: v_dual_fmac_f32 v78, v55, v50
	v_fma_f32 v4, v42, v46, -v4
	s_delay_alu instid0(VALU_DEP_3) | instskip(NEXT) | instid1(VALU_DEP_3)
	v_dual_add_f32 v2, v2, v6 :: v_dual_fmac_f32 v7, v57, v52
	v_add_f32_e32 v5, v5, v77
	v_fma_f32 v3, v44, v48, -v3
	s_delay_alu instid0(VALU_DEP_3) | instskip(NEXT) | instid1(VALU_DEP_3)
	v_dual_mul_f32 v9, v60, v65 :: v_dual_add_f32 v2, v2, v4
	v_dual_mul_f32 v4, v55, v51 :: v_dual_add_f32 v5, v5, v78
	s_delay_alu instid0(VALU_DEP_2) | instskip(SKIP_1) | instid1(VALU_DEP_2)
	v_dual_mul_f32 v6, v58, v63 :: v_dual_fmac_f32 v9, v61, v64
	s_mul_i32 s1, s15, s1
	v_fma_f32 v4, v54, v50, -v4
	s_delay_alu instid0(VALU_DEP_2) | instskip(SKIP_4) | instid1(VALU_DEP_2)
	v_dual_add_f32 v5, v5, v7 :: v_dual_fmac_f32 v6, v59, v62
	v_add_f32_e32 v7, v2, v3
	v_mad_u64_u32 v[2:3], null, v1, s30, 0
	s_mul_hi_u32 s2, s15, s0
	s_mul_i32 s0, s15, s0
	v_add_f32_e32 v4, v7, v4
	v_fma_f32 v7, v56, v52, -v8
	s_add_i32 s1, s2, s1
	s_delay_alu instid0(SALU_CYCLE_1) | instskip(NEXT) | instid1(VALU_DEP_1)
	s_lshl_b64 s[0:1], s[0:1], 3
	v_dual_add_f32 v7, v4, v7 :: v_dual_add_f32 v6, v5, v6
	v_mad_u64_u32 v[4:5], null, v1, s31, v[3:4]
	v_fma_f32 v5, v60, v64, -v10
	s_add_u32 s2, s28, s0
	s_delay_alu instid0(VALU_DEP_3) | instskip(SKIP_3) | instid1(VALU_DEP_4)
	v_add_f32_e32 v6, v6, v9
	v_mul_f32_e32 v8, v59, v63
	s_addc_u32 s3, s29, s1
	s_lshl_b64 s[0:1], s[6:7], 3
	v_mov_b32_e32 v3, v4
	s_add_u32 s0, s2, s0
	v_fma_f32 v8, v58, v62, -v8
	s_addc_u32 s1, s3, s1
	s_delay_alu instid0(VALU_DEP_1) | instskip(NEXT) | instid1(VALU_DEP_1)
	v_dual_mul_f32 v4, s8, v6 :: v_dual_add_f32 v1, v7, v8
	v_add_f32_e32 v5, v1, v5
	v_lshlrev_b64 v[1:2], 3, v[2:3]
	s_delay_alu instid0(VALU_DEP_2) | instskip(NEXT) | instid1(VALU_DEP_2)
	v_dual_mul_f32 v3, s9, v6 :: v_dual_fmac_f32 v4, s9, v5
	v_add_co_u32 v1, vcc_lo, s0, v1
	s_delay_alu instid0(VALU_DEP_3) | instskip(NEXT) | instid1(VALU_DEP_3)
	v_add_co_ci_u32_e32 v2, vcc_lo, s1, v2, vcc_lo
	v_fma_f32 v3, s8, v5, -v3
	s_delay_alu instid0(VALU_DEP_3) | instskip(NEXT) | instid1(VALU_DEP_3)
	v_add_co_u32 v0, vcc_lo, v1, v0
	v_add_co_ci_u32_e32 v1, vcc_lo, 0, v2, vcc_lo
	global_store_b64 v[0:1], v[3:4], off
.LBB103_15:
	s_nop 0
	s_sendmsg sendmsg(MSG_DEALLOC_VGPRS)
	s_endpgm
	.section	.rodata,"a",@progbits
	.p2align	6, 0x0
	.amdhsa_kernel _ZL23rocblas_trmm_rNx_kernelILi16E19rocblas_complex_numIfES1_KS1_S1_Ev13rocblas_fill_17rocblas_diagonal_iiT1_lPT2_llS7_llPT3_lli
		.amdhsa_group_segment_fixed_size 4096
		.amdhsa_private_segment_fixed_size 0
		.amdhsa_kernarg_size 108
		.amdhsa_user_sgpr_count 14
		.amdhsa_user_sgpr_dispatch_ptr 0
		.amdhsa_user_sgpr_queue_ptr 0
		.amdhsa_user_sgpr_kernarg_segment_ptr 1
		.amdhsa_user_sgpr_dispatch_id 0
		.amdhsa_user_sgpr_private_segment_size 0
		.amdhsa_wavefront_size32 1
		.amdhsa_uses_dynamic_stack 0
		.amdhsa_enable_private_segment 0
		.amdhsa_system_sgpr_workgroup_id_x 1
		.amdhsa_system_sgpr_workgroup_id_y 0
		.amdhsa_system_sgpr_workgroup_id_z 1
		.amdhsa_system_sgpr_workgroup_info 0
		.amdhsa_system_vgpr_workitem_id 1
		.amdhsa_next_free_vgpr 79
		.amdhsa_next_free_sgpr 32
		.amdhsa_reserve_vcc 1
		.amdhsa_float_round_mode_32 0
		.amdhsa_float_round_mode_16_64 0
		.amdhsa_float_denorm_mode_32 3
		.amdhsa_float_denorm_mode_16_64 3
		.amdhsa_dx10_clamp 1
		.amdhsa_ieee_mode 1
		.amdhsa_fp16_overflow 0
		.amdhsa_workgroup_processor_mode 1
		.amdhsa_memory_ordered 1
		.amdhsa_forward_progress 0
		.amdhsa_shared_vgpr_count 0
		.amdhsa_exception_fp_ieee_invalid_op 0
		.amdhsa_exception_fp_denorm_src 0
		.amdhsa_exception_fp_ieee_div_zero 0
		.amdhsa_exception_fp_ieee_overflow 0
		.amdhsa_exception_fp_ieee_underflow 0
		.amdhsa_exception_fp_ieee_inexact 0
		.amdhsa_exception_int_div_zero 0
	.end_amdhsa_kernel
	.section	.text._ZL23rocblas_trmm_rNx_kernelILi16E19rocblas_complex_numIfES1_KS1_S1_Ev13rocblas_fill_17rocblas_diagonal_iiT1_lPT2_llS7_llPT3_lli,"axG",@progbits,_ZL23rocblas_trmm_rNx_kernelILi16E19rocblas_complex_numIfES1_KS1_S1_Ev13rocblas_fill_17rocblas_diagonal_iiT1_lPT2_llS7_llPT3_lli,comdat
.Lfunc_end103:
	.size	_ZL23rocblas_trmm_rNx_kernelILi16E19rocblas_complex_numIfES1_KS1_S1_Ev13rocblas_fill_17rocblas_diagonal_iiT1_lPT2_llS7_llPT3_lli, .Lfunc_end103-_ZL23rocblas_trmm_rNx_kernelILi16E19rocblas_complex_numIfES1_KS1_S1_Ev13rocblas_fill_17rocblas_diagonal_iiT1_lPT2_llS7_llPT3_lli
                                        ; -- End function
	.section	.AMDGPU.csdata,"",@progbits
; Kernel info:
; codeLenInByte = 1468
; NumSgprs: 34
; NumVgprs: 79
; ScratchSize: 0
; MemoryBound: 0
; FloatMode: 240
; IeeeMode: 1
; LDSByteSize: 4096 bytes/workgroup (compile time only)
; SGPRBlocks: 4
; VGPRBlocks: 9
; NumSGPRsForWavesPerEU: 34
; NumVGPRsForWavesPerEU: 79
; Occupancy: 16
; WaveLimiterHint : 0
; COMPUTE_PGM_RSRC2:SCRATCH_EN: 0
; COMPUTE_PGM_RSRC2:USER_SGPR: 14
; COMPUTE_PGM_RSRC2:TRAP_HANDLER: 0
; COMPUTE_PGM_RSRC2:TGID_X_EN: 1
; COMPUTE_PGM_RSRC2:TGID_Y_EN: 0
; COMPUTE_PGM_RSRC2:TGID_Z_EN: 1
; COMPUTE_PGM_RSRC2:TIDIG_COMP_CNT: 1
	.section	.text._ZL23rocblas_trmm_rTx_kernelILi16ELb0E19rocblas_complex_numIfEPKS1_S2_S1_Ev13rocblas_fill_17rocblas_diagonal_iiT2_lPT3_llS8_llPT4_lli,"axG",@progbits,_ZL23rocblas_trmm_rTx_kernelILi16ELb0E19rocblas_complex_numIfEPKS1_S2_S1_Ev13rocblas_fill_17rocblas_diagonal_iiT2_lPT3_llS8_llPT4_lli,comdat
	.globl	_ZL23rocblas_trmm_rTx_kernelILi16ELb0E19rocblas_complex_numIfEPKS1_S2_S1_Ev13rocblas_fill_17rocblas_diagonal_iiT2_lPT3_llS8_llPT4_lli ; -- Begin function _ZL23rocblas_trmm_rTx_kernelILi16ELb0E19rocblas_complex_numIfEPKS1_S2_S1_Ev13rocblas_fill_17rocblas_diagonal_iiT2_lPT3_llS8_llPT4_lli
	.p2align	8
	.type	_ZL23rocblas_trmm_rTx_kernelILi16ELb0E19rocblas_complex_numIfEPKS1_S2_S1_Ev13rocblas_fill_17rocblas_diagonal_iiT2_lPT3_llS8_llPT4_lli,@function
_ZL23rocblas_trmm_rTx_kernelILi16ELb0E19rocblas_complex_numIfEPKS1_S2_S1_Ev13rocblas_fill_17rocblas_diagonal_iiT2_lPT3_llS8_llPT4_lli: ; @_ZL23rocblas_trmm_rTx_kernelILi16ELb0E19rocblas_complex_numIfEPKS1_S2_S1_Ev13rocblas_fill_17rocblas_diagonal_iiT2_lPT3_llS8_llPT4_lli
; %bb.0:
	s_load_b512 s[16:31], s[0:1], 0x10
	s_mov_b32 s10, 0
	s_waitcnt lgkmcnt(0)
	s_mul_i32 s3, s15, s19
	s_mul_hi_u32 s4, s15, s18
	s_mul_i32 s2, s15, s18
	s_add_i32 s3, s4, s3
	s_delay_alu instid0(SALU_CYCLE_1) | instskip(NEXT) | instid1(SALU_CYCLE_1)
	s_lshl_b64 s[2:3], s[2:3], 3
	s_add_u32 s2, s16, s2
	s_addc_u32 s3, s17, s3
	s_load_b64 s[8:9], s[2:3], 0x0
	s_waitcnt lgkmcnt(0)
	v_cmp_neq_f32_e64 s2, s8, 0
	v_cmp_neq_f32_e64 s3, s9, 0
	s_delay_alu instid0(VALU_DEP_1) | instskip(NEXT) | instid1(SALU_CYCLE_1)
	s_or_b32 s2, s2, s3
	s_and_not1_b32 vcc_lo, exec_lo, s2
	s_cbranch_vccnz .LBB104_15
; %bb.1:
	s_load_b128 s[4:7], s[0:1], 0x0
	v_bfe_u32 v1, v0, 10, 10
	s_mov_b32 s11, s10
	v_dual_mov_b32 v4, s10 :: v_dual_and_b32 v3, 0x3ff, v0
	s_delay_alu instid0(VALU_DEP_2) | instskip(NEXT) | instid1(VALU_DEP_1)
	v_dual_mov_b32 v5, s11 :: v_dual_lshlrev_b32 v0, 4, v1
	v_add_lshl_u32 v2, v0, v3, 3
	v_lshlrev_b32_e32 v0, 3, v3
	ds_store_2addr_stride64_b64 v2, v[4:5], v[4:5] offset1:4
	s_waitcnt lgkmcnt(0)
	v_cmp_gt_i32_e32 vcc_lo, s7, v1
	v_cmp_gt_i32_e64 s2, s7, v3
	s_delay_alu instid0(VALU_DEP_1) | instskip(NEXT) | instid1(SALU_CYCLE_1)
	s_and_b32 s2, vcc_lo, s2
	s_and_saveexec_b32 s3, s2
	s_cbranch_execz .LBB104_3
; %bb.2:
	v_mad_u64_u32 v[4:5], null, v1, s22, 0
	s_mul_i32 s2, s15, s25
	s_mul_hi_u32 s7, s15, s24
	s_mul_i32 s10, s15, s24
	s_add_i32 s11, s7, s2
	s_delay_alu instid0(SALU_CYCLE_1) | instskip(NEXT) | instid1(VALU_DEP_1)
	s_lshl_b64 s[10:11], s[10:11], 3
	v_mad_u64_u32 v[6:7], null, v1, s23, v[5:6]
	s_add_u32 s2, s20, s10
	s_addc_u32 s7, s21, s11
	s_delay_alu instid0(VALU_DEP_1) | instskip(NEXT) | instid1(VALU_DEP_1)
	v_mov_b32_e32 v5, v6
	v_lshlrev_b64 v[4:5], 3, v[4:5]
	s_delay_alu instid0(VALU_DEP_1) | instskip(NEXT) | instid1(VALU_DEP_1)
	v_add_co_u32 v4, s2, s2, v4
	v_add_co_ci_u32_e64 v5, s2, s7, v5, s2
	s_delay_alu instid0(VALU_DEP_2) | instskip(NEXT) | instid1(VALU_DEP_1)
	v_add_co_u32 v4, s2, v4, v0
	v_add_co_ci_u32_e64 v5, s2, 0, v5, s2
	global_load_b64 v[4:5], v[4:5], off
	s_waitcnt vmcnt(0)
	ds_store_b64 v2, v[4:5]
.LBB104_3:
	s_or_b32 exec_lo, exec_lo, s3
	s_add_i32 s2, s6, -1
	s_delay_alu instid0(SALU_CYCLE_1) | instskip(NEXT) | instid1(SALU_CYCLE_1)
	s_ashr_i32 s3, s2, 31
	s_lshr_b32 s3, s3, 28
	s_delay_alu instid0(SALU_CYCLE_1) | instskip(NEXT) | instid1(SALU_CYCLE_1)
	s_add_i32 s2, s2, s3
	s_and_b32 s3, s2, -16
	s_ashr_i32 s2, s2, 4
	s_sub_i32 s3, s6, s3
	s_cmp_ge_i32 s14, s2
	s_cselect_b32 s2, s3, 16
	s_lshl_b32 s6, s14, 4
	v_cmp_gt_i32_e64 s2, s2, v3
	s_ashr_i32 s7, s6, 31
	s_delay_alu instid0(VALU_DEP_1) | instskip(NEXT) | instid1(SALU_CYCLE_1)
	s_and_b32 s2, vcc_lo, s2
	s_and_saveexec_b32 s3, s2
	s_cbranch_execz .LBB104_5
; %bb.4:
	v_mad_u64_u32 v[4:5], null, v1, s28, 0
	s_mul_i32 s11, s15, s31
	s_mul_hi_u32 s12, s15, s30
	s_mul_i32 s10, s15, s30
	s_add_i32 s11, s12, s11
	s_delay_alu instid0(SALU_CYCLE_1) | instskip(NEXT) | instid1(VALU_DEP_1)
	s_lshl_b64 s[10:11], s[10:11], 3
	v_mad_u64_u32 v[6:7], null, v1, s29, v[5:6]
	s_add_u32 s12, s26, s10
	s_addc_u32 s13, s27, s11
	s_lshl_b64 s[10:11], s[6:7], 3
	s_delay_alu instid0(SALU_CYCLE_1) | instskip(SKIP_1) | instid1(VALU_DEP_1)
	s_add_u32 s10, s12, s10
	s_addc_u32 s11, s13, s11
	v_dual_mov_b32 v5, v6 :: v_dual_add_nc_u32 v6, 0x800, v2
	s_delay_alu instid0(VALU_DEP_1) | instskip(NEXT) | instid1(VALU_DEP_1)
	v_lshlrev_b64 v[4:5], 3, v[4:5]
	v_add_co_u32 v4, vcc_lo, s10, v4
	s_delay_alu instid0(VALU_DEP_2) | instskip(NEXT) | instid1(VALU_DEP_2)
	v_add_co_ci_u32_e32 v5, vcc_lo, s11, v5, vcc_lo
	v_add_co_u32 v4, vcc_lo, v4, v0
	s_delay_alu instid0(VALU_DEP_2)
	v_add_co_ci_u32_e32 v5, vcc_lo, 0, v5, vcc_lo
	global_load_b64 v[4:5], v[4:5], off
	s_waitcnt vmcnt(0)
	ds_store_b64 v6, v[4:5]
.LBB104_5:
	s_or_b32 exec_lo, exec_lo, s3
	v_cmp_eq_u32_e32 vcc_lo, v1, v3
	s_cmpk_eq_i32 s5, 0x84
	s_cselect_b32 s3, -1, 0
	s_delay_alu instid0(SALU_CYCLE_1) | instskip(NEXT) | instid1(SALU_CYCLE_1)
	s_and_b32 s5, vcc_lo, s3
	s_and_saveexec_b32 s3, s5
	s_cbranch_execz .LBB104_7
; %bb.6:
	v_dual_mov_b32 v4, 1.0 :: v_dual_mov_b32 v5, 0
	ds_store_b64 v2, v[4:5]
.LBB104_7:
	s_or_b32 exec_lo, exec_lo, s3
	s_cmpk_lg_i32 s4, 0x79
	s_cbranch_scc0 .LBB104_9
; %bb.8:
	v_cmp_lt_u32_e32 vcc_lo, v3, v1
	s_and_b32 s3, vcc_lo, exec_lo
	s_cbranch_execz .LBB104_10
	s_branch .LBB104_11
.LBB104_9:
	s_mov_b32 s3, 0
.LBB104_10:
	v_cmp_gt_u32_e32 vcc_lo, v3, v1
	s_and_not1_b32 s3, s3, exec_lo
	s_and_b32 s4, vcc_lo, exec_lo
	s_delay_alu instid0(SALU_CYCLE_1)
	s_or_b32 s3, s3, s4
.LBB104_11:
	s_delay_alu instid0(SALU_CYCLE_1)
	s_and_saveexec_b32 s4, s3
	s_cbranch_execz .LBB104_13
; %bb.12:
	v_mov_b32_e32 v3, 0
	s_delay_alu instid0(VALU_DEP_1)
	v_mov_b32_e32 v4, v3
	ds_store_b64 v2, v[3:4]
.LBB104_13:
	s_or_b32 exec_lo, exec_lo, s4
	s_waitcnt lgkmcnt(0)
	s_barrier
	buffer_gl0_inv
	s_and_saveexec_b32 s3, s2
	s_cbranch_execz .LBB104_15
; %bb.14:
	v_lshlrev_b32_e32 v58, 3, v1
	v_add_nc_u32_e32 v62, 0x800, v0
	s_clause 0x1
	s_load_b64 s[4:5], s[0:1], 0x60
	s_load_b128 s[0:3], s[0:1], 0x50
	ds_load_2addr_b64 v[2:5], v58 offset1:16
	ds_load_2addr_b64 v[6:9], v62 offset1:16
	ds_load_2addr_b64 v[10:13], v58 offset0:32 offset1:48
	ds_load_2addr_b64 v[14:17], v62 offset0:32 offset1:48
	;; [unrolled: 1-line block ×12, first 2 shown]
	s_waitcnt lgkmcnt(0)
	v_dual_mul_f32 v67, v4, v9 :: v_dual_mul_f32 v66, v2, v7
	v_dual_mul_f32 v69, v12, v17 :: v_dual_mul_f32 v68, v10, v15
	v_mul_f32_e32 v71, v20, v25
	s_delay_alu instid0(VALU_DEP_3) | instskip(SKIP_1) | instid1(VALU_DEP_4)
	v_dual_fmac_f32 v67, v5, v8 :: v_dual_fmac_f32 v66, v3, v6
	v_dual_mul_f32 v72, v26, v31 :: v_dual_mul_f32 v75, v36, v41
	v_fmac_f32_e32 v68, v11, v14
	v_dual_mul_f32 v76, v42, v47 :: v_dual_mul_f32 v5, v5, v9
	v_dual_mul_f32 v74, v34, v39 :: v_dual_mul_f32 v77, v44, v49
	v_dual_mul_f32 v78, v50, v55 :: v_dual_fmac_f32 v69, v13, v16
	s_delay_alu instid0(VALU_DEP_3) | instskip(SKIP_4) | instid1(VALU_DEP_4)
	v_fma_f32 v4, v4, v8, -v5
	v_mul_f32_e32 v5, v13, v17
	v_mul_f32_e32 v3, v3, v7
	v_dual_mul_f32 v7, v52, v57 :: v_dual_add_f32 v66, 0, v66
	v_fmac_f32_e32 v71, v21, v24
	v_fma_f32 v5, v12, v16, -v5
	s_delay_alu instid0(VALU_DEP_4) | instskip(SKIP_3) | instid1(VALU_DEP_4)
	v_fma_f32 v2, v2, v6, -v3
	v_mul_f32_e32 v3, v11, v15
	v_add_f32_e32 v66, v66, v67
	v_dual_mul_f32 v70, v18, v23 :: v_dual_mul_f32 v73, v28, v33
	v_add_f32_e32 v2, 0, v2
	s_delay_alu instid0(VALU_DEP_4) | instskip(NEXT) | instid1(VALU_DEP_4)
	v_fma_f32 v3, v10, v14, -v3
	v_add_f32_e32 v6, v66, v68
	v_dual_fmac_f32 v75, v37, v40 :: v_dual_fmac_f32 v78, v51, v54
	s_delay_alu instid0(VALU_DEP_4) | instskip(SKIP_1) | instid1(VALU_DEP_4)
	v_add_f32_e32 v2, v2, v4
	v_dual_mul_f32 v4, v19, v23 :: v_dual_fmac_f32 v77, v45, v48
	v_add_f32_e32 v6, v6, v69
	ds_load_2addr_b64 v[58:61], v58 offset0:224 offset1:240
	ds_load_2addr_b64 v[62:65], v62 offset0:224 offset1:240
	v_dual_add_f32 v2, v2, v3 :: v_dual_mul_f32 v3, v21, v25
	v_fma_f32 v4, v18, v22, -v4
	v_dual_fmac_f32 v70, v19, v22 :: v_dual_fmac_f32 v73, v29, v32
	s_delay_alu instid0(VALU_DEP_3) | instskip(NEXT) | instid1(VALU_DEP_4)
	v_dual_add_f32 v2, v2, v5 :: v_dual_mul_f32 v5, v27, v31
	v_fma_f32 v3, v20, v24, -v3
	s_delay_alu instid0(VALU_DEP_3) | instskip(SKIP_1) | instid1(VALU_DEP_4)
	v_add_f32_e32 v6, v6, v70
	v_fmac_f32_e32 v72, v27, v30
	v_add_f32_e32 v2, v2, v4
	v_mul_f32_e32 v4, v29, v33
	v_fma_f32 v5, v26, v30, -v5
	v_fmac_f32_e32 v76, v43, v46
	v_mul_f32_e32 v8, v53, v57
	v_add_f32_e32 v2, v2, v3
	v_mul_f32_e32 v3, v35, v39
	v_fma_f32 v4, v28, v32, -v4
	v_fmac_f32_e32 v7, v53, v56
	s_waitcnt lgkmcnt(0)
	v_mul_f32_e32 v10, v61, v65
	v_add_f32_e32 v2, v2, v5
	v_mul_f32_e32 v5, v37, v41
	v_fma_f32 v3, v34, v38, -v3
	v_add_f32_e32 v6, v6, v71
	s_mul_i32 s5, s15, s5
	v_add_f32_e32 v2, v2, v4
	v_mul_f32_e32 v4, v43, v47
	v_fma_f32 v5, v36, v40, -v5
	v_mul_f32_e32 v9, v60, v65
	s_mul_hi_u32 s10, s15, s4
	v_dual_add_f32 v2, v2, v3 :: v_dual_mul_f32 v3, v45, v49
	v_add_f32_e32 v6, v6, v72
	v_fma_f32 v4, v42, v46, -v4
	s_delay_alu instid0(VALU_DEP_3) | instskip(NEXT) | instid1(VALU_DEP_4)
	v_dual_fmac_f32 v9, v61, v64 :: v_dual_add_f32 v2, v2, v5
	v_fma_f32 v3, v44, v48, -v3
	s_delay_alu instid0(VALU_DEP_4)
	v_add_f32_e32 v6, v6, v73
	s_add_i32 s5, s10, s5
	s_mul_i32 s4, s15, s4
	v_add_f32_e32 v2, v2, v4
	v_fmac_f32_e32 v74, v35, v38
	v_mul_f32_e32 v4, v51, v55
	s_delay_alu instid0(VALU_DEP_2) | instskip(NEXT) | instid1(VALU_DEP_2)
	v_add_f32_e32 v6, v6, v74
	v_fma_f32 v4, v50, v54, -v4
	s_delay_alu instid0(VALU_DEP_2) | instskip(NEXT) | instid1(VALU_DEP_1)
	v_add_f32_e32 v6, v6, v75
	v_add_f32_e32 v6, v6, v76
	s_delay_alu instid0(VALU_DEP_1) | instskip(NEXT) | instid1(VALU_DEP_1)
	v_add_f32_e32 v6, v6, v77
	v_add_f32_e32 v5, v6, v78
	v_mul_f32_e32 v6, v58, v63
	s_delay_alu instid0(VALU_DEP_2) | instskip(SKIP_2) | instid1(VALU_DEP_4)
	v_add_f32_e32 v5, v5, v7
	v_add_f32_e32 v7, v2, v3
	v_mad_u64_u32 v[2:3], null, v1, s2, 0
	v_fmac_f32_e32 v6, v59, v62
	s_delay_alu instid0(VALU_DEP_3) | instskip(SKIP_2) | instid1(VALU_DEP_2)
	v_add_f32_e32 v4, v7, v4
	v_fma_f32 v7, v52, v56, -v8
	v_mul_f32_e32 v8, v59, v63
	v_dual_add_f32 v6, v5, v6 :: v_dual_add_f32 v7, v4, v7
	v_mad_u64_u32 v[4:5], null, v1, s3, v[3:4]
	s_delay_alu instid0(VALU_DEP_3)
	v_fma_f32 v8, v58, v62, -v8
	v_fma_f32 v5, v60, v64, -v10
	s_lshl_b64 s[2:3], s[4:5], 3
	v_add_f32_e32 v6, v6, v9
	s_add_u32 s2, s0, s2
	v_add_f32_e32 v1, v7, v8
	v_mov_b32_e32 v3, v4
	s_addc_u32 s3, s1, s3
	s_lshl_b64 s[0:1], s[6:7], 3
	s_delay_alu instid0(VALU_DEP_2) | instskip(NEXT) | instid1(VALU_DEP_2)
	v_dual_mul_f32 v4, s8, v6 :: v_dual_add_f32 v5, v1, v5
	v_lshlrev_b64 v[1:2], 3, v[2:3]
	s_add_u32 s0, s2, s0
	s_addc_u32 s1, s3, s1
	s_delay_alu instid0(VALU_DEP_2) | instskip(NEXT) | instid1(VALU_DEP_2)
	v_dual_mul_f32 v3, s9, v6 :: v_dual_fmac_f32 v4, s9, v5
	v_add_co_u32 v1, vcc_lo, s0, v1
	s_delay_alu instid0(VALU_DEP_3) | instskip(NEXT) | instid1(VALU_DEP_3)
	v_add_co_ci_u32_e32 v2, vcc_lo, s1, v2, vcc_lo
	v_fma_f32 v3, s8, v5, -v3
	s_delay_alu instid0(VALU_DEP_3) | instskip(NEXT) | instid1(VALU_DEP_3)
	v_add_co_u32 v0, vcc_lo, v1, v0
	v_add_co_ci_u32_e32 v1, vcc_lo, 0, v2, vcc_lo
	global_store_b64 v[0:1], v[3:4], off
.LBB104_15:
	s_nop 0
	s_sendmsg sendmsg(MSG_DEALLOC_VGPRS)
	s_endpgm
	.section	.rodata,"a",@progbits
	.p2align	6, 0x0
	.amdhsa_kernel _ZL23rocblas_trmm_rTx_kernelILi16ELb0E19rocblas_complex_numIfEPKS1_S2_S1_Ev13rocblas_fill_17rocblas_diagonal_iiT2_lPT3_llS8_llPT4_lli
		.amdhsa_group_segment_fixed_size 4096
		.amdhsa_private_segment_fixed_size 0
		.amdhsa_kernarg_size 108
		.amdhsa_user_sgpr_count 14
		.amdhsa_user_sgpr_dispatch_ptr 0
		.amdhsa_user_sgpr_queue_ptr 0
		.amdhsa_user_sgpr_kernarg_segment_ptr 1
		.amdhsa_user_sgpr_dispatch_id 0
		.amdhsa_user_sgpr_private_segment_size 0
		.amdhsa_wavefront_size32 1
		.amdhsa_uses_dynamic_stack 0
		.amdhsa_enable_private_segment 0
		.amdhsa_system_sgpr_workgroup_id_x 1
		.amdhsa_system_sgpr_workgroup_id_y 0
		.amdhsa_system_sgpr_workgroup_id_z 1
		.amdhsa_system_sgpr_workgroup_info 0
		.amdhsa_system_vgpr_workitem_id 1
		.amdhsa_next_free_vgpr 79
		.amdhsa_next_free_sgpr 32
		.amdhsa_reserve_vcc 1
		.amdhsa_float_round_mode_32 0
		.amdhsa_float_round_mode_16_64 0
		.amdhsa_float_denorm_mode_32 3
		.amdhsa_float_denorm_mode_16_64 3
		.amdhsa_dx10_clamp 1
		.amdhsa_ieee_mode 1
		.amdhsa_fp16_overflow 0
		.amdhsa_workgroup_processor_mode 1
		.amdhsa_memory_ordered 1
		.amdhsa_forward_progress 0
		.amdhsa_shared_vgpr_count 0
		.amdhsa_exception_fp_ieee_invalid_op 0
		.amdhsa_exception_fp_denorm_src 0
		.amdhsa_exception_fp_ieee_div_zero 0
		.amdhsa_exception_fp_ieee_overflow 0
		.amdhsa_exception_fp_ieee_underflow 0
		.amdhsa_exception_fp_ieee_inexact 0
		.amdhsa_exception_int_div_zero 0
	.end_amdhsa_kernel
	.section	.text._ZL23rocblas_trmm_rTx_kernelILi16ELb0E19rocblas_complex_numIfEPKS1_S2_S1_Ev13rocblas_fill_17rocblas_diagonal_iiT2_lPT3_llS8_llPT4_lli,"axG",@progbits,_ZL23rocblas_trmm_rTx_kernelILi16ELb0E19rocblas_complex_numIfEPKS1_S2_S1_Ev13rocblas_fill_17rocblas_diagonal_iiT2_lPT3_llS8_llPT4_lli,comdat
.Lfunc_end104:
	.size	_ZL23rocblas_trmm_rTx_kernelILi16ELb0E19rocblas_complex_numIfEPKS1_S2_S1_Ev13rocblas_fill_17rocblas_diagonal_iiT2_lPT3_llS8_llPT4_lli, .Lfunc_end104-_ZL23rocblas_trmm_rTx_kernelILi16ELb0E19rocblas_complex_numIfEPKS1_S2_S1_Ev13rocblas_fill_17rocblas_diagonal_iiT2_lPT3_llS8_llPT4_lli
                                        ; -- End function
	.section	.AMDGPU.csdata,"",@progbits
; Kernel info:
; codeLenInByte = 1516
; NumSgprs: 34
; NumVgprs: 79
; ScratchSize: 0
; MemoryBound: 0
; FloatMode: 240
; IeeeMode: 1
; LDSByteSize: 4096 bytes/workgroup (compile time only)
; SGPRBlocks: 4
; VGPRBlocks: 9
; NumSGPRsForWavesPerEU: 34
; NumVGPRsForWavesPerEU: 79
; Occupancy: 16
; WaveLimiterHint : 0
; COMPUTE_PGM_RSRC2:SCRATCH_EN: 0
; COMPUTE_PGM_RSRC2:USER_SGPR: 14
; COMPUTE_PGM_RSRC2:TRAP_HANDLER: 0
; COMPUTE_PGM_RSRC2:TGID_X_EN: 1
; COMPUTE_PGM_RSRC2:TGID_Y_EN: 0
; COMPUTE_PGM_RSRC2:TGID_Z_EN: 1
; COMPUTE_PGM_RSRC2:TIDIG_COMP_CNT: 1
	.section	.text._ZL23rocblas_trmm_rTx_kernelILi16ELb0E19rocblas_complex_numIfES1_KS1_S1_Ev13rocblas_fill_17rocblas_diagonal_iiT2_lPT3_llS7_llPT4_lli,"axG",@progbits,_ZL23rocblas_trmm_rTx_kernelILi16ELb0E19rocblas_complex_numIfES1_KS1_S1_Ev13rocblas_fill_17rocblas_diagonal_iiT2_lPT3_llS7_llPT4_lli,comdat
	.globl	_ZL23rocblas_trmm_rTx_kernelILi16ELb0E19rocblas_complex_numIfES1_KS1_S1_Ev13rocblas_fill_17rocblas_diagonal_iiT2_lPT3_llS7_llPT4_lli ; -- Begin function _ZL23rocblas_trmm_rTx_kernelILi16ELb0E19rocblas_complex_numIfES1_KS1_S1_Ev13rocblas_fill_17rocblas_diagonal_iiT2_lPT3_llS7_llPT4_lli
	.p2align	8
	.type	_ZL23rocblas_trmm_rTx_kernelILi16ELb0E19rocblas_complex_numIfES1_KS1_S1_Ev13rocblas_fill_17rocblas_diagonal_iiT2_lPT3_llS7_llPT4_lli,@function
_ZL23rocblas_trmm_rTx_kernelILi16ELb0E19rocblas_complex_numIfES1_KS1_S1_Ev13rocblas_fill_17rocblas_diagonal_iiT2_lPT3_llS7_llPT4_lli: ; @_ZL23rocblas_trmm_rTx_kernelILi16ELb0E19rocblas_complex_numIfES1_KS1_S1_Ev13rocblas_fill_17rocblas_diagonal_iiT2_lPT3_llS7_llPT4_lli
; %bb.0:
	s_load_b64 s[8:9], s[0:1], 0x10
	s_mov_b32 s10, 0
	s_waitcnt lgkmcnt(0)
	v_cmp_neq_f32_e64 s2, s8, 0
	v_cmp_neq_f32_e64 s3, s9, 0
	s_delay_alu instid0(VALU_DEP_1) | instskip(NEXT) | instid1(SALU_CYCLE_1)
	s_or_b32 s2, s2, s3
	s_and_not1_b32 vcc_lo, exec_lo, s2
	s_cbranch_vccnz .LBB105_15
; %bb.1:
	s_clause 0x1
	s_load_b128 s[4:7], s[0:1], 0x0
	s_load_b512 s[16:31], s[0:1], 0x20
	v_bfe_u32 v1, v0, 10, 10
	s_mov_b32 s11, s10
	v_dual_mov_b32 v4, s10 :: v_dual_and_b32 v3, 0x3ff, v0
	s_delay_alu instid0(VALU_DEP_2) | instskip(NEXT) | instid1(VALU_DEP_1)
	v_dual_mov_b32 v5, s11 :: v_dual_lshlrev_b32 v0, 4, v1
	v_add_lshl_u32 v2, v0, v3, 3
	v_lshlrev_b32_e32 v0, 3, v3
	ds_store_2addr_stride64_b64 v2, v[4:5], v[4:5] offset1:4
	s_waitcnt lgkmcnt(0)
	v_cmp_gt_i32_e32 vcc_lo, s7, v1
	v_cmp_gt_i32_e64 s2, s7, v3
	s_delay_alu instid0(VALU_DEP_1) | instskip(NEXT) | instid1(SALU_CYCLE_1)
	s_and_b32 s2, vcc_lo, s2
	s_and_saveexec_b32 s3, s2
	s_cbranch_execz .LBB105_3
; %bb.2:
	v_mad_u64_u32 v[4:5], null, v1, s18, 0
	s_mul_i32 s2, s15, s21
	s_mul_hi_u32 s7, s15, s20
	s_mul_i32 s10, s15, s20
	s_add_i32 s11, s7, s2
	s_delay_alu instid0(SALU_CYCLE_1) | instskip(NEXT) | instid1(VALU_DEP_1)
	s_lshl_b64 s[10:11], s[10:11], 3
	v_mad_u64_u32 v[6:7], null, v1, s19, v[5:6]
	s_add_u32 s2, s16, s10
	s_addc_u32 s7, s17, s11
	s_delay_alu instid0(VALU_DEP_1) | instskip(NEXT) | instid1(VALU_DEP_1)
	v_mov_b32_e32 v5, v6
	v_lshlrev_b64 v[4:5], 3, v[4:5]
	s_delay_alu instid0(VALU_DEP_1) | instskip(NEXT) | instid1(VALU_DEP_1)
	v_add_co_u32 v4, s2, s2, v4
	v_add_co_ci_u32_e64 v5, s2, s7, v5, s2
	s_delay_alu instid0(VALU_DEP_2) | instskip(NEXT) | instid1(VALU_DEP_1)
	v_add_co_u32 v4, s2, v4, v0
	v_add_co_ci_u32_e64 v5, s2, 0, v5, s2
	global_load_b64 v[4:5], v[4:5], off
	s_waitcnt vmcnt(0)
	ds_store_b64 v2, v[4:5]
.LBB105_3:
	s_or_b32 exec_lo, exec_lo, s3
	s_add_i32 s2, s6, -1
	s_delay_alu instid0(SALU_CYCLE_1) | instskip(NEXT) | instid1(SALU_CYCLE_1)
	s_ashr_i32 s3, s2, 31
	s_lshr_b32 s3, s3, 28
	s_delay_alu instid0(SALU_CYCLE_1) | instskip(NEXT) | instid1(SALU_CYCLE_1)
	s_add_i32 s2, s2, s3
	s_and_b32 s3, s2, -16
	s_ashr_i32 s2, s2, 4
	s_sub_i32 s3, s6, s3
	s_cmp_ge_i32 s14, s2
	s_cselect_b32 s2, s3, 16
	s_lshl_b32 s6, s14, 4
	v_cmp_gt_i32_e64 s2, s2, v3
	s_ashr_i32 s7, s6, 31
	s_delay_alu instid0(VALU_DEP_1) | instskip(NEXT) | instid1(SALU_CYCLE_1)
	s_and_b32 s2, vcc_lo, s2
	s_and_saveexec_b32 s3, s2
	s_cbranch_execz .LBB105_5
; %bb.4:
	v_mad_u64_u32 v[4:5], null, v1, s24, 0
	s_mul_i32 s11, s15, s27
	s_mul_hi_u32 s12, s15, s26
	s_mul_i32 s10, s15, s26
	s_add_i32 s11, s12, s11
	s_delay_alu instid0(SALU_CYCLE_1) | instskip(NEXT) | instid1(VALU_DEP_1)
	s_lshl_b64 s[10:11], s[10:11], 3
	v_mad_u64_u32 v[6:7], null, v1, s25, v[5:6]
	s_add_u32 s12, s22, s10
	s_addc_u32 s13, s23, s11
	s_lshl_b64 s[10:11], s[6:7], 3
	s_delay_alu instid0(SALU_CYCLE_1) | instskip(SKIP_1) | instid1(VALU_DEP_1)
	s_add_u32 s10, s12, s10
	s_addc_u32 s11, s13, s11
	v_dual_mov_b32 v5, v6 :: v_dual_add_nc_u32 v6, 0x800, v2
	s_delay_alu instid0(VALU_DEP_1) | instskip(NEXT) | instid1(VALU_DEP_1)
	v_lshlrev_b64 v[4:5], 3, v[4:5]
	v_add_co_u32 v4, vcc_lo, s10, v4
	s_delay_alu instid0(VALU_DEP_2) | instskip(NEXT) | instid1(VALU_DEP_2)
	v_add_co_ci_u32_e32 v5, vcc_lo, s11, v5, vcc_lo
	v_add_co_u32 v4, vcc_lo, v4, v0
	s_delay_alu instid0(VALU_DEP_2)
	v_add_co_ci_u32_e32 v5, vcc_lo, 0, v5, vcc_lo
	global_load_b64 v[4:5], v[4:5], off
	s_waitcnt vmcnt(0)
	ds_store_b64 v6, v[4:5]
.LBB105_5:
	s_or_b32 exec_lo, exec_lo, s3
	v_cmp_eq_u32_e32 vcc_lo, v1, v3
	s_cmpk_eq_i32 s5, 0x84
	s_cselect_b32 s3, -1, 0
	s_delay_alu instid0(SALU_CYCLE_1) | instskip(NEXT) | instid1(SALU_CYCLE_1)
	s_and_b32 s5, vcc_lo, s3
	s_and_saveexec_b32 s3, s5
	s_cbranch_execz .LBB105_7
; %bb.6:
	v_dual_mov_b32 v4, 1.0 :: v_dual_mov_b32 v5, 0
	ds_store_b64 v2, v[4:5]
.LBB105_7:
	s_or_b32 exec_lo, exec_lo, s3
	s_cmpk_lg_i32 s4, 0x79
	s_cbranch_scc0 .LBB105_9
; %bb.8:
	v_cmp_lt_u32_e32 vcc_lo, v3, v1
	s_and_b32 s3, vcc_lo, exec_lo
	s_cbranch_execz .LBB105_10
	s_branch .LBB105_11
.LBB105_9:
	s_mov_b32 s3, 0
.LBB105_10:
	v_cmp_gt_u32_e32 vcc_lo, v3, v1
	s_and_not1_b32 s3, s3, exec_lo
	s_and_b32 s4, vcc_lo, exec_lo
	s_delay_alu instid0(SALU_CYCLE_1)
	s_or_b32 s3, s3, s4
.LBB105_11:
	s_delay_alu instid0(SALU_CYCLE_1)
	s_and_saveexec_b32 s4, s3
	s_cbranch_execz .LBB105_13
; %bb.12:
	v_mov_b32_e32 v3, 0
	s_delay_alu instid0(VALU_DEP_1)
	v_mov_b32_e32 v4, v3
	ds_store_b64 v2, v[3:4]
.LBB105_13:
	s_or_b32 exec_lo, exec_lo, s4
	s_waitcnt lgkmcnt(0)
	s_barrier
	buffer_gl0_inv
	s_and_saveexec_b32 s3, s2
	s_cbranch_execz .LBB105_15
; %bb.14:
	v_lshlrev_b32_e32 v58, 3, v1
	v_add_nc_u32_e32 v62, 0x800, v0
	s_load_b64 s[0:1], s[0:1], 0x60
	ds_load_2addr_b64 v[2:5], v58 offset1:16
	ds_load_2addr_b64 v[6:9], v62 offset1:16
	ds_load_2addr_b64 v[10:13], v58 offset0:32 offset1:48
	ds_load_2addr_b64 v[14:17], v62 offset0:32 offset1:48
	ds_load_2addr_b64 v[18:21], v58 offset0:64 offset1:80
	ds_load_2addr_b64 v[22:25], v62 offset0:64 offset1:80
	ds_load_2addr_b64 v[26:29], v58 offset0:96 offset1:112
	ds_load_2addr_b64 v[30:33], v62 offset0:96 offset1:112
	ds_load_2addr_b64 v[34:37], v58 offset0:128 offset1:144
	ds_load_2addr_b64 v[38:41], v62 offset0:128 offset1:144
	ds_load_2addr_b64 v[42:45], v58 offset0:160 offset1:176
	ds_load_2addr_b64 v[46:49], v62 offset0:160 offset1:176
	ds_load_2addr_b64 v[50:53], v58 offset0:192 offset1:208
	ds_load_2addr_b64 v[54:57], v62 offset0:192 offset1:208
	ds_load_2addr_b64 v[58:61], v58 offset0:224 offset1:240
	ds_load_2addr_b64 v[62:65], v62 offset0:224 offset1:240
	s_waitcnt lgkmcnt(0)
	v_dual_mul_f32 v67, v4, v9 :: v_dual_mul_f32 v66, v2, v7
	v_dual_mul_f32 v69, v12, v17 :: v_dual_mul_f32 v68, v10, v15
	v_mul_f32_e32 v71, v20, v25
	s_delay_alu instid0(VALU_DEP_3) | instskip(SKIP_3) | instid1(VALU_DEP_4)
	v_dual_fmac_f32 v67, v5, v8 :: v_dual_fmac_f32 v66, v3, v6
	v_mul_f32_e32 v3, v3, v7
	v_dual_mul_f32 v70, v18, v23 :: v_dual_mul_f32 v73, v28, v33
	v_dual_mul_f32 v76, v42, v47 :: v_dual_mul_f32 v5, v5, v9
	v_dual_mul_f32 v7, v52, v57 :: v_dual_add_f32 v66, 0, v66
	s_delay_alu instid0(VALU_DEP_4)
	v_fma_f32 v2, v2, v6, -v3
	v_mul_f32_e32 v3, v11, v15
	v_fmac_f32_e32 v68, v11, v14
	v_dual_mul_f32 v78, v50, v55 :: v_dual_fmac_f32 v69, v13, v16
	v_add_f32_e32 v9, v66, v67
	v_fma_f32 v4, v4, v8, -v5
	v_add_f32_e32 v2, 0, v2
	v_mul_f32_e32 v6, v13, v17
	s_delay_alu instid0(VALU_DEP_4) | instskip(SKIP_2) | instid1(VALU_DEP_3)
	v_dual_fmac_f32 v70, v19, v22 :: v_dual_add_f32 v5, v9, v68
	v_fma_f32 v3, v10, v14, -v3
	v_dual_mul_f32 v72, v26, v31 :: v_dual_mul_f32 v75, v36, v41
	v_dual_add_f32 v2, v2, v4 :: v_dual_add_f32 v5, v5, v69
	v_dual_mul_f32 v4, v19, v23 :: v_dual_fmac_f32 v71, v21, v24
	v_fma_f32 v6, v12, v16, -v6
	s_delay_alu instid0(VALU_DEP_3) | instskip(SKIP_3) | instid1(VALU_DEP_4)
	v_dual_add_f32 v2, v2, v3 :: v_dual_add_f32 v5, v5, v70
	v_dual_mul_f32 v74, v34, v39 :: v_dual_mul_f32 v77, v44, v49
	v_dual_mul_f32 v3, v21, v25 :: v_dual_fmac_f32 v72, v27, v30
	v_fma_f32 v4, v18, v22, -v4
	v_dual_add_f32 v5, v5, v71 :: v_dual_add_f32 v2, v2, v6
	v_dual_mul_f32 v6, v27, v31 :: v_dual_fmac_f32 v73, v29, v32
	s_delay_alu instid0(VALU_DEP_4) | instskip(NEXT) | instid1(VALU_DEP_3)
	v_fma_f32 v3, v20, v24, -v3
	v_dual_add_f32 v5, v5, v72 :: v_dual_fmac_f32 v74, v35, v38
	s_delay_alu instid0(VALU_DEP_4) | instskip(SKIP_2) | instid1(VALU_DEP_4)
	v_add_f32_e32 v2, v2, v4
	v_mul_f32_e32 v4, v29, v33
	v_fma_f32 v6, v26, v30, -v6
	v_add_f32_e32 v5, v5, v73
	s_delay_alu instid0(VALU_DEP_4) | instskip(SKIP_3) | instid1(VALU_DEP_4)
	v_dual_fmac_f32 v75, v37, v40 :: v_dual_add_f32 v2, v2, v3
	v_mul_f32_e32 v3, v35, v39
	v_fma_f32 v4, v28, v32, -v4
	v_dual_fmac_f32 v76, v43, v46 :: v_dual_fmac_f32 v77, v45, v48
	v_add_f32_e32 v2, v2, v6
	v_add_f32_e32 v5, v5, v74
	v_mul_f32_e32 v6, v37, v41
	v_fma_f32 v3, v34, v38, -v3
	v_mul_f32_e32 v8, v53, v57
	s_delay_alu instid0(VALU_DEP_4) | instskip(SKIP_3) | instid1(VALU_DEP_4)
	v_dual_add_f32 v2, v2, v4 :: v_dual_add_f32 v5, v5, v75
	v_mul_f32_e32 v4, v43, v47
	v_fma_f32 v6, v36, v40, -v6
	v_mul_f32_e32 v10, v61, v65
	v_dual_add_f32 v2, v2, v3 :: v_dual_mul_f32 v3, v45, v49
	v_dual_add_f32 v5, v5, v76 :: v_dual_fmac_f32 v78, v51, v54
	v_fma_f32 v4, v42, v46, -v4
	s_delay_alu instid0(VALU_DEP_3) | instskip(NEXT) | instid1(VALU_DEP_3)
	v_dual_add_f32 v2, v2, v6 :: v_dual_fmac_f32 v7, v53, v56
	v_add_f32_e32 v5, v5, v77
	v_fma_f32 v3, v44, v48, -v3
	s_delay_alu instid0(VALU_DEP_3) | instskip(NEXT) | instid1(VALU_DEP_3)
	v_dual_mul_f32 v9, v60, v65 :: v_dual_add_f32 v2, v2, v4
	v_dual_mul_f32 v4, v51, v55 :: v_dual_add_f32 v5, v5, v78
	s_delay_alu instid0(VALU_DEP_2) | instskip(SKIP_1) | instid1(VALU_DEP_2)
	v_dual_mul_f32 v6, v58, v63 :: v_dual_fmac_f32 v9, v61, v64
	s_mul_i32 s1, s15, s1
	v_fma_f32 v4, v50, v54, -v4
	s_delay_alu instid0(VALU_DEP_2) | instskip(SKIP_4) | instid1(VALU_DEP_2)
	v_dual_add_f32 v5, v5, v7 :: v_dual_fmac_f32 v6, v59, v62
	v_add_f32_e32 v7, v2, v3
	v_mad_u64_u32 v[2:3], null, v1, s30, 0
	s_mul_hi_u32 s2, s15, s0
	s_mul_i32 s0, s15, s0
	v_add_f32_e32 v4, v7, v4
	v_fma_f32 v7, v52, v56, -v8
	s_add_i32 s1, s2, s1
	s_delay_alu instid0(SALU_CYCLE_1) | instskip(NEXT) | instid1(VALU_DEP_1)
	s_lshl_b64 s[0:1], s[0:1], 3
	v_dual_add_f32 v7, v4, v7 :: v_dual_add_f32 v6, v5, v6
	v_mad_u64_u32 v[4:5], null, v1, s31, v[3:4]
	v_fma_f32 v5, v60, v64, -v10
	s_add_u32 s2, s28, s0
	s_delay_alu instid0(VALU_DEP_3) | instskip(SKIP_3) | instid1(VALU_DEP_4)
	v_add_f32_e32 v6, v6, v9
	v_mul_f32_e32 v8, v59, v63
	s_addc_u32 s3, s29, s1
	s_lshl_b64 s[0:1], s[6:7], 3
	v_mov_b32_e32 v3, v4
	s_add_u32 s0, s2, s0
	v_fma_f32 v8, v58, v62, -v8
	s_addc_u32 s1, s3, s1
	s_delay_alu instid0(VALU_DEP_1) | instskip(NEXT) | instid1(VALU_DEP_1)
	v_dual_mul_f32 v4, s8, v6 :: v_dual_add_f32 v1, v7, v8
	v_add_f32_e32 v5, v1, v5
	v_lshlrev_b64 v[1:2], 3, v[2:3]
	s_delay_alu instid0(VALU_DEP_2) | instskip(NEXT) | instid1(VALU_DEP_2)
	v_dual_mul_f32 v3, s9, v6 :: v_dual_fmac_f32 v4, s9, v5
	v_add_co_u32 v1, vcc_lo, s0, v1
	s_delay_alu instid0(VALU_DEP_3) | instskip(NEXT) | instid1(VALU_DEP_3)
	v_add_co_ci_u32_e32 v2, vcc_lo, s1, v2, vcc_lo
	v_fma_f32 v3, s8, v5, -v3
	s_delay_alu instid0(VALU_DEP_3) | instskip(NEXT) | instid1(VALU_DEP_3)
	v_add_co_u32 v0, vcc_lo, v1, v0
	v_add_co_ci_u32_e32 v1, vcc_lo, 0, v2, vcc_lo
	global_store_b64 v[0:1], v[3:4], off
.LBB105_15:
	s_nop 0
	s_sendmsg sendmsg(MSG_DEALLOC_VGPRS)
	s_endpgm
	.section	.rodata,"a",@progbits
	.p2align	6, 0x0
	.amdhsa_kernel _ZL23rocblas_trmm_rTx_kernelILi16ELb0E19rocblas_complex_numIfES1_KS1_S1_Ev13rocblas_fill_17rocblas_diagonal_iiT2_lPT3_llS7_llPT4_lli
		.amdhsa_group_segment_fixed_size 4096
		.amdhsa_private_segment_fixed_size 0
		.amdhsa_kernarg_size 108
		.amdhsa_user_sgpr_count 14
		.amdhsa_user_sgpr_dispatch_ptr 0
		.amdhsa_user_sgpr_queue_ptr 0
		.amdhsa_user_sgpr_kernarg_segment_ptr 1
		.amdhsa_user_sgpr_dispatch_id 0
		.amdhsa_user_sgpr_private_segment_size 0
		.amdhsa_wavefront_size32 1
		.amdhsa_uses_dynamic_stack 0
		.amdhsa_enable_private_segment 0
		.amdhsa_system_sgpr_workgroup_id_x 1
		.amdhsa_system_sgpr_workgroup_id_y 0
		.amdhsa_system_sgpr_workgroup_id_z 1
		.amdhsa_system_sgpr_workgroup_info 0
		.amdhsa_system_vgpr_workitem_id 1
		.amdhsa_next_free_vgpr 79
		.amdhsa_next_free_sgpr 32
		.amdhsa_reserve_vcc 1
		.amdhsa_float_round_mode_32 0
		.amdhsa_float_round_mode_16_64 0
		.amdhsa_float_denorm_mode_32 3
		.amdhsa_float_denorm_mode_16_64 3
		.amdhsa_dx10_clamp 1
		.amdhsa_ieee_mode 1
		.amdhsa_fp16_overflow 0
		.amdhsa_workgroup_processor_mode 1
		.amdhsa_memory_ordered 1
		.amdhsa_forward_progress 0
		.amdhsa_shared_vgpr_count 0
		.amdhsa_exception_fp_ieee_invalid_op 0
		.amdhsa_exception_fp_denorm_src 0
		.amdhsa_exception_fp_ieee_div_zero 0
		.amdhsa_exception_fp_ieee_overflow 0
		.amdhsa_exception_fp_ieee_underflow 0
		.amdhsa_exception_fp_ieee_inexact 0
		.amdhsa_exception_int_div_zero 0
	.end_amdhsa_kernel
	.section	.text._ZL23rocblas_trmm_rTx_kernelILi16ELb0E19rocblas_complex_numIfES1_KS1_S1_Ev13rocblas_fill_17rocblas_diagonal_iiT2_lPT3_llS7_llPT4_lli,"axG",@progbits,_ZL23rocblas_trmm_rTx_kernelILi16ELb0E19rocblas_complex_numIfES1_KS1_S1_Ev13rocblas_fill_17rocblas_diagonal_iiT2_lPT3_llS7_llPT4_lli,comdat
.Lfunc_end105:
	.size	_ZL23rocblas_trmm_rTx_kernelILi16ELb0E19rocblas_complex_numIfES1_KS1_S1_Ev13rocblas_fill_17rocblas_diagonal_iiT2_lPT3_llS7_llPT4_lli, .Lfunc_end105-_ZL23rocblas_trmm_rTx_kernelILi16ELb0E19rocblas_complex_numIfES1_KS1_S1_Ev13rocblas_fill_17rocblas_diagonal_iiT2_lPT3_llS7_llPT4_lli
                                        ; -- End function
	.section	.AMDGPU.csdata,"",@progbits
; Kernel info:
; codeLenInByte = 1464
; NumSgprs: 34
; NumVgprs: 79
; ScratchSize: 0
; MemoryBound: 0
; FloatMode: 240
; IeeeMode: 1
; LDSByteSize: 4096 bytes/workgroup (compile time only)
; SGPRBlocks: 4
; VGPRBlocks: 9
; NumSGPRsForWavesPerEU: 34
; NumVGPRsForWavesPerEU: 79
; Occupancy: 16
; WaveLimiterHint : 0
; COMPUTE_PGM_RSRC2:SCRATCH_EN: 0
; COMPUTE_PGM_RSRC2:USER_SGPR: 14
; COMPUTE_PGM_RSRC2:TRAP_HANDLER: 0
; COMPUTE_PGM_RSRC2:TGID_X_EN: 1
; COMPUTE_PGM_RSRC2:TGID_Y_EN: 0
; COMPUTE_PGM_RSRC2:TGID_Z_EN: 1
; COMPUTE_PGM_RSRC2:TIDIG_COMP_CNT: 1
	.section	.text._ZL23rocblas_trmm_rTx_kernelILi16ELb1E19rocblas_complex_numIfEPKS1_S2_S1_Ev13rocblas_fill_17rocblas_diagonal_iiT2_lPT3_llS8_llPT4_lli,"axG",@progbits,_ZL23rocblas_trmm_rTx_kernelILi16ELb1E19rocblas_complex_numIfEPKS1_S2_S1_Ev13rocblas_fill_17rocblas_diagonal_iiT2_lPT3_llS8_llPT4_lli,comdat
	.globl	_ZL23rocblas_trmm_rTx_kernelILi16ELb1E19rocblas_complex_numIfEPKS1_S2_S1_Ev13rocblas_fill_17rocblas_diagonal_iiT2_lPT3_llS8_llPT4_lli ; -- Begin function _ZL23rocblas_trmm_rTx_kernelILi16ELb1E19rocblas_complex_numIfEPKS1_S2_S1_Ev13rocblas_fill_17rocblas_diagonal_iiT2_lPT3_llS8_llPT4_lli
	.p2align	8
	.type	_ZL23rocblas_trmm_rTx_kernelILi16ELb1E19rocblas_complex_numIfEPKS1_S2_S1_Ev13rocblas_fill_17rocblas_diagonal_iiT2_lPT3_llS8_llPT4_lli,@function
_ZL23rocblas_trmm_rTx_kernelILi16ELb1E19rocblas_complex_numIfEPKS1_S2_S1_Ev13rocblas_fill_17rocblas_diagonal_iiT2_lPT3_llS8_llPT4_lli: ; @_ZL23rocblas_trmm_rTx_kernelILi16ELb1E19rocblas_complex_numIfEPKS1_S2_S1_Ev13rocblas_fill_17rocblas_diagonal_iiT2_lPT3_llS8_llPT4_lli
; %bb.0:
	s_load_b512 s[16:31], s[0:1], 0x10
	s_mov_b32 s10, 0
	s_waitcnt lgkmcnt(0)
	s_mul_i32 s3, s15, s19
	s_mul_hi_u32 s4, s15, s18
	s_mul_i32 s2, s15, s18
	s_add_i32 s3, s4, s3
	s_delay_alu instid0(SALU_CYCLE_1) | instskip(NEXT) | instid1(SALU_CYCLE_1)
	s_lshl_b64 s[2:3], s[2:3], 3
	s_add_u32 s2, s16, s2
	s_addc_u32 s3, s17, s3
	s_load_b64 s[8:9], s[2:3], 0x0
	s_waitcnt lgkmcnt(0)
	v_cmp_neq_f32_e64 s2, s8, 0
	v_cmp_neq_f32_e64 s3, s9, 0
	s_delay_alu instid0(VALU_DEP_1) | instskip(NEXT) | instid1(SALU_CYCLE_1)
	s_or_b32 s2, s2, s3
	s_and_not1_b32 vcc_lo, exec_lo, s2
	s_cbranch_vccnz .LBB106_15
; %bb.1:
	s_load_b128 s[4:7], s[0:1], 0x0
	v_bfe_u32 v1, v0, 10, 10
	s_mov_b32 s11, s10
	v_dual_mov_b32 v4, s10 :: v_dual_and_b32 v3, 0x3ff, v0
	s_delay_alu instid0(VALU_DEP_2) | instskip(NEXT) | instid1(VALU_DEP_1)
	v_dual_mov_b32 v5, s11 :: v_dual_lshlrev_b32 v0, 4, v1
	v_add_lshl_u32 v2, v0, v3, 3
	v_lshlrev_b32_e32 v0, 3, v3
	ds_store_2addr_stride64_b64 v2, v[4:5], v[4:5] offset1:4
	s_waitcnt lgkmcnt(0)
	v_cmp_gt_i32_e32 vcc_lo, s7, v1
	v_cmp_gt_i32_e64 s2, s7, v3
	s_delay_alu instid0(VALU_DEP_1) | instskip(NEXT) | instid1(SALU_CYCLE_1)
	s_and_b32 s2, vcc_lo, s2
	s_and_saveexec_b32 s3, s2
	s_cbranch_execz .LBB106_3
; %bb.2:
	v_mad_u64_u32 v[4:5], null, v1, s22, 0
	s_mul_i32 s2, s15, s25
	s_mul_hi_u32 s7, s15, s24
	s_mul_i32 s10, s15, s24
	s_add_i32 s11, s7, s2
	s_delay_alu instid0(SALU_CYCLE_1) | instskip(NEXT) | instid1(VALU_DEP_1)
	s_lshl_b64 s[10:11], s[10:11], 3
	v_mad_u64_u32 v[6:7], null, v1, s23, v[5:6]
	s_add_u32 s2, s20, s10
	s_addc_u32 s7, s21, s11
	s_delay_alu instid0(VALU_DEP_1) | instskip(NEXT) | instid1(VALU_DEP_1)
	v_mov_b32_e32 v5, v6
	v_lshlrev_b64 v[4:5], 3, v[4:5]
	s_delay_alu instid0(VALU_DEP_1) | instskip(NEXT) | instid1(VALU_DEP_1)
	v_add_co_u32 v4, s2, s2, v4
	v_add_co_ci_u32_e64 v5, s2, s7, v5, s2
	s_delay_alu instid0(VALU_DEP_2) | instskip(NEXT) | instid1(VALU_DEP_1)
	v_add_co_u32 v4, s2, v4, v0
	v_add_co_ci_u32_e64 v5, s2, 0, v5, s2
	global_load_b64 v[4:5], v[4:5], off
	s_waitcnt vmcnt(0)
	v_xor_b32_e32 v5, 0x80000000, v5
	ds_store_b64 v2, v[4:5]
.LBB106_3:
	s_or_b32 exec_lo, exec_lo, s3
	s_add_i32 s2, s6, -1
	s_delay_alu instid0(SALU_CYCLE_1) | instskip(NEXT) | instid1(SALU_CYCLE_1)
	s_ashr_i32 s3, s2, 31
	s_lshr_b32 s3, s3, 28
	s_delay_alu instid0(SALU_CYCLE_1) | instskip(NEXT) | instid1(SALU_CYCLE_1)
	s_add_i32 s2, s2, s3
	s_and_b32 s3, s2, -16
	s_ashr_i32 s2, s2, 4
	s_sub_i32 s3, s6, s3
	s_cmp_ge_i32 s14, s2
	s_cselect_b32 s2, s3, 16
	s_lshl_b32 s6, s14, 4
	v_cmp_gt_i32_e64 s2, s2, v3
	s_ashr_i32 s7, s6, 31
	s_delay_alu instid0(VALU_DEP_1) | instskip(NEXT) | instid1(SALU_CYCLE_1)
	s_and_b32 s2, vcc_lo, s2
	s_and_saveexec_b32 s3, s2
	s_cbranch_execz .LBB106_5
; %bb.4:
	v_mad_u64_u32 v[4:5], null, v1, s28, 0
	s_mul_i32 s11, s15, s31
	s_mul_hi_u32 s12, s15, s30
	s_mul_i32 s10, s15, s30
	s_add_i32 s11, s12, s11
	s_delay_alu instid0(SALU_CYCLE_1) | instskip(NEXT) | instid1(VALU_DEP_1)
	s_lshl_b64 s[10:11], s[10:11], 3
	v_mad_u64_u32 v[6:7], null, v1, s29, v[5:6]
	s_add_u32 s12, s26, s10
	s_addc_u32 s13, s27, s11
	s_lshl_b64 s[10:11], s[6:7], 3
	s_delay_alu instid0(SALU_CYCLE_1) | instskip(SKIP_1) | instid1(VALU_DEP_1)
	s_add_u32 s10, s12, s10
	s_addc_u32 s11, s13, s11
	v_dual_mov_b32 v5, v6 :: v_dual_add_nc_u32 v6, 0x800, v2
	s_delay_alu instid0(VALU_DEP_1) | instskip(NEXT) | instid1(VALU_DEP_1)
	v_lshlrev_b64 v[4:5], 3, v[4:5]
	v_add_co_u32 v4, vcc_lo, s10, v4
	s_delay_alu instid0(VALU_DEP_2) | instskip(NEXT) | instid1(VALU_DEP_2)
	v_add_co_ci_u32_e32 v5, vcc_lo, s11, v5, vcc_lo
	v_add_co_u32 v4, vcc_lo, v4, v0
	s_delay_alu instid0(VALU_DEP_2)
	v_add_co_ci_u32_e32 v5, vcc_lo, 0, v5, vcc_lo
	global_load_b64 v[4:5], v[4:5], off
	s_waitcnt vmcnt(0)
	ds_store_b64 v6, v[4:5]
.LBB106_5:
	s_or_b32 exec_lo, exec_lo, s3
	v_cmp_eq_u32_e32 vcc_lo, v1, v3
	s_cmpk_eq_i32 s5, 0x84
	s_cselect_b32 s3, -1, 0
	s_delay_alu instid0(SALU_CYCLE_1) | instskip(NEXT) | instid1(SALU_CYCLE_1)
	s_and_b32 s5, vcc_lo, s3
	s_and_saveexec_b32 s3, s5
	s_cbranch_execz .LBB106_7
; %bb.6:
	v_dual_mov_b32 v4, 1.0 :: v_dual_mov_b32 v5, 0
	ds_store_b64 v2, v[4:5]
.LBB106_7:
	s_or_b32 exec_lo, exec_lo, s3
	s_cmpk_lg_i32 s4, 0x79
	s_cbranch_scc0 .LBB106_9
; %bb.8:
	v_cmp_lt_u32_e32 vcc_lo, v3, v1
	s_and_b32 s3, vcc_lo, exec_lo
	s_cbranch_execz .LBB106_10
	s_branch .LBB106_11
.LBB106_9:
	s_mov_b32 s3, 0
.LBB106_10:
	v_cmp_gt_u32_e32 vcc_lo, v3, v1
	s_and_not1_b32 s3, s3, exec_lo
	s_and_b32 s4, vcc_lo, exec_lo
	s_delay_alu instid0(SALU_CYCLE_1)
	s_or_b32 s3, s3, s4
.LBB106_11:
	s_delay_alu instid0(SALU_CYCLE_1)
	s_and_saveexec_b32 s4, s3
	s_cbranch_execz .LBB106_13
; %bb.12:
	v_mov_b32_e32 v3, 0
	s_delay_alu instid0(VALU_DEP_1)
	v_mov_b32_e32 v4, v3
	ds_store_b64 v2, v[3:4]
.LBB106_13:
	s_or_b32 exec_lo, exec_lo, s4
	s_waitcnt lgkmcnt(0)
	s_barrier
	buffer_gl0_inv
	s_and_saveexec_b32 s3, s2
	s_cbranch_execz .LBB106_15
; %bb.14:
	v_lshlrev_b32_e32 v58, 3, v1
	v_add_nc_u32_e32 v62, 0x800, v0
	s_clause 0x1
	s_load_b64 s[4:5], s[0:1], 0x60
	s_load_b128 s[0:3], s[0:1], 0x50
	ds_load_2addr_b64 v[2:5], v58 offset1:16
	ds_load_2addr_b64 v[6:9], v62 offset1:16
	ds_load_2addr_b64 v[10:13], v58 offset0:32 offset1:48
	ds_load_2addr_b64 v[14:17], v62 offset0:32 offset1:48
	;; [unrolled: 1-line block ×12, first 2 shown]
	s_waitcnt lgkmcnt(0)
	v_dual_mul_f32 v67, v4, v9 :: v_dual_mul_f32 v66, v2, v7
	v_dual_mul_f32 v69, v12, v17 :: v_dual_mul_f32 v68, v10, v15
	v_mul_f32_e32 v71, v20, v25
	s_delay_alu instid0(VALU_DEP_3) | instskip(SKIP_1) | instid1(VALU_DEP_4)
	v_dual_fmac_f32 v67, v5, v8 :: v_dual_fmac_f32 v66, v3, v6
	v_dual_mul_f32 v72, v26, v31 :: v_dual_mul_f32 v75, v36, v41
	v_fmac_f32_e32 v68, v11, v14
	v_dual_mul_f32 v76, v42, v47 :: v_dual_mul_f32 v5, v5, v9
	v_dual_mul_f32 v74, v34, v39 :: v_dual_mul_f32 v77, v44, v49
	v_dual_mul_f32 v78, v50, v55 :: v_dual_fmac_f32 v69, v13, v16
	s_delay_alu instid0(VALU_DEP_3) | instskip(SKIP_4) | instid1(VALU_DEP_4)
	v_fma_f32 v4, v4, v8, -v5
	v_mul_f32_e32 v5, v13, v17
	v_mul_f32_e32 v3, v3, v7
	v_dual_mul_f32 v7, v52, v57 :: v_dual_add_f32 v66, 0, v66
	v_fmac_f32_e32 v71, v21, v24
	v_fma_f32 v5, v12, v16, -v5
	s_delay_alu instid0(VALU_DEP_4) | instskip(SKIP_3) | instid1(VALU_DEP_4)
	v_fma_f32 v2, v2, v6, -v3
	v_mul_f32_e32 v3, v11, v15
	v_add_f32_e32 v66, v66, v67
	v_dual_mul_f32 v70, v18, v23 :: v_dual_mul_f32 v73, v28, v33
	v_add_f32_e32 v2, 0, v2
	s_delay_alu instid0(VALU_DEP_4) | instskip(NEXT) | instid1(VALU_DEP_4)
	v_fma_f32 v3, v10, v14, -v3
	v_add_f32_e32 v6, v66, v68
	v_dual_fmac_f32 v75, v37, v40 :: v_dual_fmac_f32 v78, v51, v54
	s_delay_alu instid0(VALU_DEP_4) | instskip(SKIP_1) | instid1(VALU_DEP_4)
	v_add_f32_e32 v2, v2, v4
	v_dual_mul_f32 v4, v19, v23 :: v_dual_fmac_f32 v77, v45, v48
	v_add_f32_e32 v6, v6, v69
	ds_load_2addr_b64 v[58:61], v58 offset0:224 offset1:240
	ds_load_2addr_b64 v[62:65], v62 offset0:224 offset1:240
	v_dual_add_f32 v2, v2, v3 :: v_dual_mul_f32 v3, v21, v25
	v_fma_f32 v4, v18, v22, -v4
	v_dual_fmac_f32 v70, v19, v22 :: v_dual_fmac_f32 v73, v29, v32
	s_delay_alu instid0(VALU_DEP_3) | instskip(NEXT) | instid1(VALU_DEP_4)
	v_dual_add_f32 v2, v2, v5 :: v_dual_mul_f32 v5, v27, v31
	v_fma_f32 v3, v20, v24, -v3
	s_delay_alu instid0(VALU_DEP_3) | instskip(SKIP_1) | instid1(VALU_DEP_4)
	v_add_f32_e32 v6, v6, v70
	v_fmac_f32_e32 v72, v27, v30
	v_add_f32_e32 v2, v2, v4
	v_mul_f32_e32 v4, v29, v33
	v_fma_f32 v5, v26, v30, -v5
	v_fmac_f32_e32 v76, v43, v46
	v_mul_f32_e32 v8, v53, v57
	v_add_f32_e32 v2, v2, v3
	v_mul_f32_e32 v3, v35, v39
	v_fma_f32 v4, v28, v32, -v4
	v_fmac_f32_e32 v7, v53, v56
	s_waitcnt lgkmcnt(0)
	v_mul_f32_e32 v10, v61, v65
	v_add_f32_e32 v2, v2, v5
	v_mul_f32_e32 v5, v37, v41
	v_fma_f32 v3, v34, v38, -v3
	v_add_f32_e32 v6, v6, v71
	s_mul_i32 s5, s15, s5
	v_add_f32_e32 v2, v2, v4
	v_mul_f32_e32 v4, v43, v47
	v_fma_f32 v5, v36, v40, -v5
	v_mul_f32_e32 v9, v60, v65
	s_mul_hi_u32 s10, s15, s4
	v_dual_add_f32 v2, v2, v3 :: v_dual_mul_f32 v3, v45, v49
	v_add_f32_e32 v6, v6, v72
	v_fma_f32 v4, v42, v46, -v4
	s_delay_alu instid0(VALU_DEP_3) | instskip(NEXT) | instid1(VALU_DEP_4)
	v_dual_fmac_f32 v9, v61, v64 :: v_dual_add_f32 v2, v2, v5
	v_fma_f32 v3, v44, v48, -v3
	s_delay_alu instid0(VALU_DEP_4)
	v_add_f32_e32 v6, v6, v73
	s_add_i32 s5, s10, s5
	s_mul_i32 s4, s15, s4
	v_add_f32_e32 v2, v2, v4
	v_fmac_f32_e32 v74, v35, v38
	v_mul_f32_e32 v4, v51, v55
	s_delay_alu instid0(VALU_DEP_2) | instskip(NEXT) | instid1(VALU_DEP_2)
	v_add_f32_e32 v6, v6, v74
	v_fma_f32 v4, v50, v54, -v4
	s_delay_alu instid0(VALU_DEP_2) | instskip(NEXT) | instid1(VALU_DEP_1)
	v_add_f32_e32 v6, v6, v75
	v_add_f32_e32 v6, v6, v76
	s_delay_alu instid0(VALU_DEP_1) | instskip(NEXT) | instid1(VALU_DEP_1)
	v_add_f32_e32 v6, v6, v77
	v_add_f32_e32 v5, v6, v78
	v_mul_f32_e32 v6, v58, v63
	s_delay_alu instid0(VALU_DEP_2) | instskip(SKIP_2) | instid1(VALU_DEP_4)
	v_add_f32_e32 v5, v5, v7
	v_add_f32_e32 v7, v2, v3
	v_mad_u64_u32 v[2:3], null, v1, s2, 0
	v_fmac_f32_e32 v6, v59, v62
	s_delay_alu instid0(VALU_DEP_3) | instskip(SKIP_2) | instid1(VALU_DEP_2)
	v_add_f32_e32 v4, v7, v4
	v_fma_f32 v7, v52, v56, -v8
	v_mul_f32_e32 v8, v59, v63
	v_dual_add_f32 v6, v5, v6 :: v_dual_add_f32 v7, v4, v7
	v_mad_u64_u32 v[4:5], null, v1, s3, v[3:4]
	s_delay_alu instid0(VALU_DEP_3)
	v_fma_f32 v8, v58, v62, -v8
	v_fma_f32 v5, v60, v64, -v10
	s_lshl_b64 s[2:3], s[4:5], 3
	v_add_f32_e32 v6, v6, v9
	s_add_u32 s2, s0, s2
	v_add_f32_e32 v1, v7, v8
	v_mov_b32_e32 v3, v4
	s_addc_u32 s3, s1, s3
	s_lshl_b64 s[0:1], s[6:7], 3
	s_delay_alu instid0(VALU_DEP_2) | instskip(NEXT) | instid1(VALU_DEP_2)
	v_dual_mul_f32 v4, s8, v6 :: v_dual_add_f32 v5, v1, v5
	v_lshlrev_b64 v[1:2], 3, v[2:3]
	s_add_u32 s0, s2, s0
	s_addc_u32 s1, s3, s1
	s_delay_alu instid0(VALU_DEP_2) | instskip(NEXT) | instid1(VALU_DEP_2)
	v_dual_mul_f32 v3, s9, v6 :: v_dual_fmac_f32 v4, s9, v5
	v_add_co_u32 v1, vcc_lo, s0, v1
	s_delay_alu instid0(VALU_DEP_3) | instskip(NEXT) | instid1(VALU_DEP_3)
	v_add_co_ci_u32_e32 v2, vcc_lo, s1, v2, vcc_lo
	v_fma_f32 v3, s8, v5, -v3
	s_delay_alu instid0(VALU_DEP_3) | instskip(NEXT) | instid1(VALU_DEP_3)
	v_add_co_u32 v0, vcc_lo, v1, v0
	v_add_co_ci_u32_e32 v1, vcc_lo, 0, v2, vcc_lo
	global_store_b64 v[0:1], v[3:4], off
.LBB106_15:
	s_nop 0
	s_sendmsg sendmsg(MSG_DEALLOC_VGPRS)
	s_endpgm
	.section	.rodata,"a",@progbits
	.p2align	6, 0x0
	.amdhsa_kernel _ZL23rocblas_trmm_rTx_kernelILi16ELb1E19rocblas_complex_numIfEPKS1_S2_S1_Ev13rocblas_fill_17rocblas_diagonal_iiT2_lPT3_llS8_llPT4_lli
		.amdhsa_group_segment_fixed_size 4096
		.amdhsa_private_segment_fixed_size 0
		.amdhsa_kernarg_size 108
		.amdhsa_user_sgpr_count 14
		.amdhsa_user_sgpr_dispatch_ptr 0
		.amdhsa_user_sgpr_queue_ptr 0
		.amdhsa_user_sgpr_kernarg_segment_ptr 1
		.amdhsa_user_sgpr_dispatch_id 0
		.amdhsa_user_sgpr_private_segment_size 0
		.amdhsa_wavefront_size32 1
		.amdhsa_uses_dynamic_stack 0
		.amdhsa_enable_private_segment 0
		.amdhsa_system_sgpr_workgroup_id_x 1
		.amdhsa_system_sgpr_workgroup_id_y 0
		.amdhsa_system_sgpr_workgroup_id_z 1
		.amdhsa_system_sgpr_workgroup_info 0
		.amdhsa_system_vgpr_workitem_id 1
		.amdhsa_next_free_vgpr 79
		.amdhsa_next_free_sgpr 32
		.amdhsa_reserve_vcc 1
		.amdhsa_float_round_mode_32 0
		.amdhsa_float_round_mode_16_64 0
		.amdhsa_float_denorm_mode_32 3
		.amdhsa_float_denorm_mode_16_64 3
		.amdhsa_dx10_clamp 1
		.amdhsa_ieee_mode 1
		.amdhsa_fp16_overflow 0
		.amdhsa_workgroup_processor_mode 1
		.amdhsa_memory_ordered 1
		.amdhsa_forward_progress 0
		.amdhsa_shared_vgpr_count 0
		.amdhsa_exception_fp_ieee_invalid_op 0
		.amdhsa_exception_fp_denorm_src 0
		.amdhsa_exception_fp_ieee_div_zero 0
		.amdhsa_exception_fp_ieee_overflow 0
		.amdhsa_exception_fp_ieee_underflow 0
		.amdhsa_exception_fp_ieee_inexact 0
		.amdhsa_exception_int_div_zero 0
	.end_amdhsa_kernel
	.section	.text._ZL23rocblas_trmm_rTx_kernelILi16ELb1E19rocblas_complex_numIfEPKS1_S2_S1_Ev13rocblas_fill_17rocblas_diagonal_iiT2_lPT3_llS8_llPT4_lli,"axG",@progbits,_ZL23rocblas_trmm_rTx_kernelILi16ELb1E19rocblas_complex_numIfEPKS1_S2_S1_Ev13rocblas_fill_17rocblas_diagonal_iiT2_lPT3_llS8_llPT4_lli,comdat
.Lfunc_end106:
	.size	_ZL23rocblas_trmm_rTx_kernelILi16ELb1E19rocblas_complex_numIfEPKS1_S2_S1_Ev13rocblas_fill_17rocblas_diagonal_iiT2_lPT3_llS8_llPT4_lli, .Lfunc_end106-_ZL23rocblas_trmm_rTx_kernelILi16ELb1E19rocblas_complex_numIfEPKS1_S2_S1_Ev13rocblas_fill_17rocblas_diagonal_iiT2_lPT3_llS8_llPT4_lli
                                        ; -- End function
	.section	.AMDGPU.csdata,"",@progbits
; Kernel info:
; codeLenInByte = 1524
; NumSgprs: 34
; NumVgprs: 79
; ScratchSize: 0
; MemoryBound: 0
; FloatMode: 240
; IeeeMode: 1
; LDSByteSize: 4096 bytes/workgroup (compile time only)
; SGPRBlocks: 4
; VGPRBlocks: 9
; NumSGPRsForWavesPerEU: 34
; NumVGPRsForWavesPerEU: 79
; Occupancy: 16
; WaveLimiterHint : 0
; COMPUTE_PGM_RSRC2:SCRATCH_EN: 0
; COMPUTE_PGM_RSRC2:USER_SGPR: 14
; COMPUTE_PGM_RSRC2:TRAP_HANDLER: 0
; COMPUTE_PGM_RSRC2:TGID_X_EN: 1
; COMPUTE_PGM_RSRC2:TGID_Y_EN: 0
; COMPUTE_PGM_RSRC2:TGID_Z_EN: 1
; COMPUTE_PGM_RSRC2:TIDIG_COMP_CNT: 1
	.section	.text._ZL23rocblas_trmm_rTx_kernelILi16ELb1E19rocblas_complex_numIfES1_KS1_S1_Ev13rocblas_fill_17rocblas_diagonal_iiT2_lPT3_llS7_llPT4_lli,"axG",@progbits,_ZL23rocblas_trmm_rTx_kernelILi16ELb1E19rocblas_complex_numIfES1_KS1_S1_Ev13rocblas_fill_17rocblas_diagonal_iiT2_lPT3_llS7_llPT4_lli,comdat
	.globl	_ZL23rocblas_trmm_rTx_kernelILi16ELb1E19rocblas_complex_numIfES1_KS1_S1_Ev13rocblas_fill_17rocblas_diagonal_iiT2_lPT3_llS7_llPT4_lli ; -- Begin function _ZL23rocblas_trmm_rTx_kernelILi16ELb1E19rocblas_complex_numIfES1_KS1_S1_Ev13rocblas_fill_17rocblas_diagonal_iiT2_lPT3_llS7_llPT4_lli
	.p2align	8
	.type	_ZL23rocblas_trmm_rTx_kernelILi16ELb1E19rocblas_complex_numIfES1_KS1_S1_Ev13rocblas_fill_17rocblas_diagonal_iiT2_lPT3_llS7_llPT4_lli,@function
_ZL23rocblas_trmm_rTx_kernelILi16ELb1E19rocblas_complex_numIfES1_KS1_S1_Ev13rocblas_fill_17rocblas_diagonal_iiT2_lPT3_llS7_llPT4_lli: ; @_ZL23rocblas_trmm_rTx_kernelILi16ELb1E19rocblas_complex_numIfES1_KS1_S1_Ev13rocblas_fill_17rocblas_diagonal_iiT2_lPT3_llS7_llPT4_lli
; %bb.0:
	s_load_b64 s[8:9], s[0:1], 0x10
	s_mov_b32 s10, 0
	s_waitcnt lgkmcnt(0)
	v_cmp_neq_f32_e64 s2, s8, 0
	v_cmp_neq_f32_e64 s3, s9, 0
	s_delay_alu instid0(VALU_DEP_1) | instskip(NEXT) | instid1(SALU_CYCLE_1)
	s_or_b32 s2, s2, s3
	s_and_not1_b32 vcc_lo, exec_lo, s2
	s_cbranch_vccnz .LBB107_15
; %bb.1:
	s_clause 0x1
	s_load_b128 s[4:7], s[0:1], 0x0
	s_load_b512 s[16:31], s[0:1], 0x20
	v_bfe_u32 v1, v0, 10, 10
	s_mov_b32 s11, s10
	v_dual_mov_b32 v4, s10 :: v_dual_and_b32 v3, 0x3ff, v0
	s_delay_alu instid0(VALU_DEP_2) | instskip(NEXT) | instid1(VALU_DEP_1)
	v_dual_mov_b32 v5, s11 :: v_dual_lshlrev_b32 v0, 4, v1
	v_add_lshl_u32 v2, v0, v3, 3
	v_lshlrev_b32_e32 v0, 3, v3
	ds_store_2addr_stride64_b64 v2, v[4:5], v[4:5] offset1:4
	s_waitcnt lgkmcnt(0)
	v_cmp_gt_i32_e32 vcc_lo, s7, v1
	v_cmp_gt_i32_e64 s2, s7, v3
	s_delay_alu instid0(VALU_DEP_1) | instskip(NEXT) | instid1(SALU_CYCLE_1)
	s_and_b32 s2, vcc_lo, s2
	s_and_saveexec_b32 s3, s2
	s_cbranch_execz .LBB107_3
; %bb.2:
	v_mad_u64_u32 v[4:5], null, v1, s18, 0
	s_mul_i32 s2, s15, s21
	s_mul_hi_u32 s7, s15, s20
	s_mul_i32 s10, s15, s20
	s_add_i32 s11, s7, s2
	s_delay_alu instid0(SALU_CYCLE_1) | instskip(NEXT) | instid1(VALU_DEP_1)
	s_lshl_b64 s[10:11], s[10:11], 3
	v_mad_u64_u32 v[6:7], null, v1, s19, v[5:6]
	s_add_u32 s2, s16, s10
	s_addc_u32 s7, s17, s11
	s_delay_alu instid0(VALU_DEP_1) | instskip(NEXT) | instid1(VALU_DEP_1)
	v_mov_b32_e32 v5, v6
	v_lshlrev_b64 v[4:5], 3, v[4:5]
	s_delay_alu instid0(VALU_DEP_1) | instskip(NEXT) | instid1(VALU_DEP_1)
	v_add_co_u32 v4, s2, s2, v4
	v_add_co_ci_u32_e64 v5, s2, s7, v5, s2
	s_delay_alu instid0(VALU_DEP_2) | instskip(NEXT) | instid1(VALU_DEP_1)
	v_add_co_u32 v4, s2, v4, v0
	v_add_co_ci_u32_e64 v5, s2, 0, v5, s2
	global_load_b64 v[4:5], v[4:5], off
	s_waitcnt vmcnt(0)
	v_xor_b32_e32 v5, 0x80000000, v5
	ds_store_b64 v2, v[4:5]
.LBB107_3:
	s_or_b32 exec_lo, exec_lo, s3
	s_add_i32 s2, s6, -1
	s_delay_alu instid0(SALU_CYCLE_1) | instskip(NEXT) | instid1(SALU_CYCLE_1)
	s_ashr_i32 s3, s2, 31
	s_lshr_b32 s3, s3, 28
	s_delay_alu instid0(SALU_CYCLE_1) | instskip(NEXT) | instid1(SALU_CYCLE_1)
	s_add_i32 s2, s2, s3
	s_and_b32 s3, s2, -16
	s_ashr_i32 s2, s2, 4
	s_sub_i32 s3, s6, s3
	s_cmp_ge_i32 s14, s2
	s_cselect_b32 s2, s3, 16
	s_lshl_b32 s6, s14, 4
	v_cmp_gt_i32_e64 s2, s2, v3
	s_ashr_i32 s7, s6, 31
	s_delay_alu instid0(VALU_DEP_1) | instskip(NEXT) | instid1(SALU_CYCLE_1)
	s_and_b32 s2, vcc_lo, s2
	s_and_saveexec_b32 s3, s2
	s_cbranch_execz .LBB107_5
; %bb.4:
	v_mad_u64_u32 v[4:5], null, v1, s24, 0
	s_mul_i32 s11, s15, s27
	s_mul_hi_u32 s12, s15, s26
	s_mul_i32 s10, s15, s26
	s_add_i32 s11, s12, s11
	s_delay_alu instid0(SALU_CYCLE_1) | instskip(NEXT) | instid1(VALU_DEP_1)
	s_lshl_b64 s[10:11], s[10:11], 3
	v_mad_u64_u32 v[6:7], null, v1, s25, v[5:6]
	s_add_u32 s12, s22, s10
	s_addc_u32 s13, s23, s11
	s_lshl_b64 s[10:11], s[6:7], 3
	s_delay_alu instid0(SALU_CYCLE_1) | instskip(SKIP_1) | instid1(VALU_DEP_1)
	s_add_u32 s10, s12, s10
	s_addc_u32 s11, s13, s11
	v_dual_mov_b32 v5, v6 :: v_dual_add_nc_u32 v6, 0x800, v2
	s_delay_alu instid0(VALU_DEP_1) | instskip(NEXT) | instid1(VALU_DEP_1)
	v_lshlrev_b64 v[4:5], 3, v[4:5]
	v_add_co_u32 v4, vcc_lo, s10, v4
	s_delay_alu instid0(VALU_DEP_2) | instskip(NEXT) | instid1(VALU_DEP_2)
	v_add_co_ci_u32_e32 v5, vcc_lo, s11, v5, vcc_lo
	v_add_co_u32 v4, vcc_lo, v4, v0
	s_delay_alu instid0(VALU_DEP_2)
	v_add_co_ci_u32_e32 v5, vcc_lo, 0, v5, vcc_lo
	global_load_b64 v[4:5], v[4:5], off
	s_waitcnt vmcnt(0)
	ds_store_b64 v6, v[4:5]
.LBB107_5:
	s_or_b32 exec_lo, exec_lo, s3
	v_cmp_eq_u32_e32 vcc_lo, v1, v3
	s_cmpk_eq_i32 s5, 0x84
	s_cselect_b32 s3, -1, 0
	s_delay_alu instid0(SALU_CYCLE_1) | instskip(NEXT) | instid1(SALU_CYCLE_1)
	s_and_b32 s5, vcc_lo, s3
	s_and_saveexec_b32 s3, s5
	s_cbranch_execz .LBB107_7
; %bb.6:
	v_dual_mov_b32 v4, 1.0 :: v_dual_mov_b32 v5, 0
	ds_store_b64 v2, v[4:5]
.LBB107_7:
	s_or_b32 exec_lo, exec_lo, s3
	s_cmpk_lg_i32 s4, 0x79
	s_cbranch_scc0 .LBB107_9
; %bb.8:
	v_cmp_lt_u32_e32 vcc_lo, v3, v1
	s_and_b32 s3, vcc_lo, exec_lo
	s_cbranch_execz .LBB107_10
	s_branch .LBB107_11
.LBB107_9:
	s_mov_b32 s3, 0
.LBB107_10:
	v_cmp_gt_u32_e32 vcc_lo, v3, v1
	s_and_not1_b32 s3, s3, exec_lo
	s_and_b32 s4, vcc_lo, exec_lo
	s_delay_alu instid0(SALU_CYCLE_1)
	s_or_b32 s3, s3, s4
.LBB107_11:
	s_delay_alu instid0(SALU_CYCLE_1)
	s_and_saveexec_b32 s4, s3
	s_cbranch_execz .LBB107_13
; %bb.12:
	v_mov_b32_e32 v3, 0
	s_delay_alu instid0(VALU_DEP_1)
	v_mov_b32_e32 v4, v3
	ds_store_b64 v2, v[3:4]
.LBB107_13:
	s_or_b32 exec_lo, exec_lo, s4
	s_waitcnt lgkmcnt(0)
	s_barrier
	buffer_gl0_inv
	s_and_saveexec_b32 s3, s2
	s_cbranch_execz .LBB107_15
; %bb.14:
	v_lshlrev_b32_e32 v58, 3, v1
	v_add_nc_u32_e32 v62, 0x800, v0
	s_load_b64 s[0:1], s[0:1], 0x60
	ds_load_2addr_b64 v[2:5], v58 offset1:16
	ds_load_2addr_b64 v[6:9], v62 offset1:16
	ds_load_2addr_b64 v[10:13], v58 offset0:32 offset1:48
	ds_load_2addr_b64 v[14:17], v62 offset0:32 offset1:48
	;; [unrolled: 1-line block ×14, first 2 shown]
	s_waitcnt lgkmcnt(0)
	v_dual_mul_f32 v67, v4, v9 :: v_dual_mul_f32 v66, v2, v7
	v_dual_mul_f32 v69, v12, v17 :: v_dual_mul_f32 v68, v10, v15
	v_mul_f32_e32 v71, v20, v25
	s_delay_alu instid0(VALU_DEP_3) | instskip(SKIP_3) | instid1(VALU_DEP_4)
	v_dual_fmac_f32 v67, v5, v8 :: v_dual_fmac_f32 v66, v3, v6
	v_mul_f32_e32 v3, v3, v7
	v_dual_mul_f32 v70, v18, v23 :: v_dual_mul_f32 v73, v28, v33
	v_dual_mul_f32 v76, v42, v47 :: v_dual_mul_f32 v5, v5, v9
	v_dual_mul_f32 v7, v52, v57 :: v_dual_add_f32 v66, 0, v66
	s_delay_alu instid0(VALU_DEP_4)
	v_fma_f32 v2, v2, v6, -v3
	v_mul_f32_e32 v3, v11, v15
	v_fmac_f32_e32 v68, v11, v14
	v_dual_mul_f32 v78, v50, v55 :: v_dual_fmac_f32 v69, v13, v16
	v_add_f32_e32 v9, v66, v67
	v_fma_f32 v4, v4, v8, -v5
	v_add_f32_e32 v2, 0, v2
	v_mul_f32_e32 v6, v13, v17
	s_delay_alu instid0(VALU_DEP_4) | instskip(SKIP_2) | instid1(VALU_DEP_3)
	v_dual_fmac_f32 v70, v19, v22 :: v_dual_add_f32 v5, v9, v68
	v_fma_f32 v3, v10, v14, -v3
	v_dual_mul_f32 v72, v26, v31 :: v_dual_mul_f32 v75, v36, v41
	v_dual_add_f32 v2, v2, v4 :: v_dual_add_f32 v5, v5, v69
	v_dual_mul_f32 v4, v19, v23 :: v_dual_fmac_f32 v71, v21, v24
	v_fma_f32 v6, v12, v16, -v6
	s_delay_alu instid0(VALU_DEP_3) | instskip(SKIP_3) | instid1(VALU_DEP_4)
	v_dual_add_f32 v2, v2, v3 :: v_dual_add_f32 v5, v5, v70
	v_dual_mul_f32 v74, v34, v39 :: v_dual_mul_f32 v77, v44, v49
	v_dual_mul_f32 v3, v21, v25 :: v_dual_fmac_f32 v72, v27, v30
	v_fma_f32 v4, v18, v22, -v4
	v_dual_add_f32 v5, v5, v71 :: v_dual_add_f32 v2, v2, v6
	v_dual_mul_f32 v6, v27, v31 :: v_dual_fmac_f32 v73, v29, v32
	s_delay_alu instid0(VALU_DEP_4) | instskip(NEXT) | instid1(VALU_DEP_3)
	v_fma_f32 v3, v20, v24, -v3
	v_dual_add_f32 v5, v5, v72 :: v_dual_fmac_f32 v74, v35, v38
	s_delay_alu instid0(VALU_DEP_4) | instskip(SKIP_2) | instid1(VALU_DEP_4)
	v_add_f32_e32 v2, v2, v4
	v_mul_f32_e32 v4, v29, v33
	v_fma_f32 v6, v26, v30, -v6
	v_add_f32_e32 v5, v5, v73
	s_delay_alu instid0(VALU_DEP_4) | instskip(SKIP_3) | instid1(VALU_DEP_4)
	v_dual_fmac_f32 v75, v37, v40 :: v_dual_add_f32 v2, v2, v3
	v_mul_f32_e32 v3, v35, v39
	v_fma_f32 v4, v28, v32, -v4
	v_dual_fmac_f32 v76, v43, v46 :: v_dual_fmac_f32 v77, v45, v48
	v_add_f32_e32 v2, v2, v6
	v_add_f32_e32 v5, v5, v74
	v_mul_f32_e32 v6, v37, v41
	v_fma_f32 v3, v34, v38, -v3
	v_mul_f32_e32 v8, v53, v57
	s_delay_alu instid0(VALU_DEP_4) | instskip(SKIP_3) | instid1(VALU_DEP_4)
	v_dual_add_f32 v2, v2, v4 :: v_dual_add_f32 v5, v5, v75
	v_mul_f32_e32 v4, v43, v47
	v_fma_f32 v6, v36, v40, -v6
	v_mul_f32_e32 v10, v61, v65
	v_dual_add_f32 v2, v2, v3 :: v_dual_mul_f32 v3, v45, v49
	v_dual_add_f32 v5, v5, v76 :: v_dual_fmac_f32 v78, v51, v54
	v_fma_f32 v4, v42, v46, -v4
	s_delay_alu instid0(VALU_DEP_3) | instskip(NEXT) | instid1(VALU_DEP_3)
	v_dual_add_f32 v2, v2, v6 :: v_dual_fmac_f32 v7, v53, v56
	v_add_f32_e32 v5, v5, v77
	v_fma_f32 v3, v44, v48, -v3
	s_delay_alu instid0(VALU_DEP_3) | instskip(NEXT) | instid1(VALU_DEP_3)
	v_dual_mul_f32 v9, v60, v65 :: v_dual_add_f32 v2, v2, v4
	v_dual_mul_f32 v4, v51, v55 :: v_dual_add_f32 v5, v5, v78
	s_delay_alu instid0(VALU_DEP_2) | instskip(SKIP_1) | instid1(VALU_DEP_2)
	v_dual_mul_f32 v6, v58, v63 :: v_dual_fmac_f32 v9, v61, v64
	s_mul_i32 s1, s15, s1
	v_fma_f32 v4, v50, v54, -v4
	s_delay_alu instid0(VALU_DEP_2) | instskip(SKIP_4) | instid1(VALU_DEP_2)
	v_dual_add_f32 v5, v5, v7 :: v_dual_fmac_f32 v6, v59, v62
	v_add_f32_e32 v7, v2, v3
	v_mad_u64_u32 v[2:3], null, v1, s30, 0
	s_mul_hi_u32 s2, s15, s0
	s_mul_i32 s0, s15, s0
	v_add_f32_e32 v4, v7, v4
	v_fma_f32 v7, v52, v56, -v8
	s_add_i32 s1, s2, s1
	s_delay_alu instid0(SALU_CYCLE_1) | instskip(NEXT) | instid1(VALU_DEP_1)
	s_lshl_b64 s[0:1], s[0:1], 3
	v_dual_add_f32 v7, v4, v7 :: v_dual_add_f32 v6, v5, v6
	v_mad_u64_u32 v[4:5], null, v1, s31, v[3:4]
	v_fma_f32 v5, v60, v64, -v10
	s_add_u32 s2, s28, s0
	s_delay_alu instid0(VALU_DEP_3) | instskip(SKIP_3) | instid1(VALU_DEP_4)
	v_add_f32_e32 v6, v6, v9
	v_mul_f32_e32 v8, v59, v63
	s_addc_u32 s3, s29, s1
	s_lshl_b64 s[0:1], s[6:7], 3
	v_mov_b32_e32 v3, v4
	s_add_u32 s0, s2, s0
	v_fma_f32 v8, v58, v62, -v8
	s_addc_u32 s1, s3, s1
	s_delay_alu instid0(VALU_DEP_1) | instskip(NEXT) | instid1(VALU_DEP_1)
	v_dual_mul_f32 v4, s8, v6 :: v_dual_add_f32 v1, v7, v8
	v_add_f32_e32 v5, v1, v5
	v_lshlrev_b64 v[1:2], 3, v[2:3]
	s_delay_alu instid0(VALU_DEP_2) | instskip(NEXT) | instid1(VALU_DEP_2)
	v_dual_mul_f32 v3, s9, v6 :: v_dual_fmac_f32 v4, s9, v5
	v_add_co_u32 v1, vcc_lo, s0, v1
	s_delay_alu instid0(VALU_DEP_3) | instskip(NEXT) | instid1(VALU_DEP_3)
	v_add_co_ci_u32_e32 v2, vcc_lo, s1, v2, vcc_lo
	v_fma_f32 v3, s8, v5, -v3
	s_delay_alu instid0(VALU_DEP_3) | instskip(NEXT) | instid1(VALU_DEP_3)
	v_add_co_u32 v0, vcc_lo, v1, v0
	v_add_co_ci_u32_e32 v1, vcc_lo, 0, v2, vcc_lo
	global_store_b64 v[0:1], v[3:4], off
.LBB107_15:
	s_nop 0
	s_sendmsg sendmsg(MSG_DEALLOC_VGPRS)
	s_endpgm
	.section	.rodata,"a",@progbits
	.p2align	6, 0x0
	.amdhsa_kernel _ZL23rocblas_trmm_rTx_kernelILi16ELb1E19rocblas_complex_numIfES1_KS1_S1_Ev13rocblas_fill_17rocblas_diagonal_iiT2_lPT3_llS7_llPT4_lli
		.amdhsa_group_segment_fixed_size 4096
		.amdhsa_private_segment_fixed_size 0
		.amdhsa_kernarg_size 108
		.amdhsa_user_sgpr_count 14
		.amdhsa_user_sgpr_dispatch_ptr 0
		.amdhsa_user_sgpr_queue_ptr 0
		.amdhsa_user_sgpr_kernarg_segment_ptr 1
		.amdhsa_user_sgpr_dispatch_id 0
		.amdhsa_user_sgpr_private_segment_size 0
		.amdhsa_wavefront_size32 1
		.amdhsa_uses_dynamic_stack 0
		.amdhsa_enable_private_segment 0
		.amdhsa_system_sgpr_workgroup_id_x 1
		.amdhsa_system_sgpr_workgroup_id_y 0
		.amdhsa_system_sgpr_workgroup_id_z 1
		.amdhsa_system_sgpr_workgroup_info 0
		.amdhsa_system_vgpr_workitem_id 1
		.amdhsa_next_free_vgpr 79
		.amdhsa_next_free_sgpr 32
		.amdhsa_reserve_vcc 1
		.amdhsa_float_round_mode_32 0
		.amdhsa_float_round_mode_16_64 0
		.amdhsa_float_denorm_mode_32 3
		.amdhsa_float_denorm_mode_16_64 3
		.amdhsa_dx10_clamp 1
		.amdhsa_ieee_mode 1
		.amdhsa_fp16_overflow 0
		.amdhsa_workgroup_processor_mode 1
		.amdhsa_memory_ordered 1
		.amdhsa_forward_progress 0
		.amdhsa_shared_vgpr_count 0
		.amdhsa_exception_fp_ieee_invalid_op 0
		.amdhsa_exception_fp_denorm_src 0
		.amdhsa_exception_fp_ieee_div_zero 0
		.amdhsa_exception_fp_ieee_overflow 0
		.amdhsa_exception_fp_ieee_underflow 0
		.amdhsa_exception_fp_ieee_inexact 0
		.amdhsa_exception_int_div_zero 0
	.end_amdhsa_kernel
	.section	.text._ZL23rocblas_trmm_rTx_kernelILi16ELb1E19rocblas_complex_numIfES1_KS1_S1_Ev13rocblas_fill_17rocblas_diagonal_iiT2_lPT3_llS7_llPT4_lli,"axG",@progbits,_ZL23rocblas_trmm_rTx_kernelILi16ELb1E19rocblas_complex_numIfES1_KS1_S1_Ev13rocblas_fill_17rocblas_diagonal_iiT2_lPT3_llS7_llPT4_lli,comdat
.Lfunc_end107:
	.size	_ZL23rocblas_trmm_rTx_kernelILi16ELb1E19rocblas_complex_numIfES1_KS1_S1_Ev13rocblas_fill_17rocblas_diagonal_iiT2_lPT3_llS7_llPT4_lli, .Lfunc_end107-_ZL23rocblas_trmm_rTx_kernelILi16ELb1E19rocblas_complex_numIfES1_KS1_S1_Ev13rocblas_fill_17rocblas_diagonal_iiT2_lPT3_llS7_llPT4_lli
                                        ; -- End function
	.section	.AMDGPU.csdata,"",@progbits
; Kernel info:
; codeLenInByte = 1472
; NumSgprs: 34
; NumVgprs: 79
; ScratchSize: 0
; MemoryBound: 0
; FloatMode: 240
; IeeeMode: 1
; LDSByteSize: 4096 bytes/workgroup (compile time only)
; SGPRBlocks: 4
; VGPRBlocks: 9
; NumSGPRsForWavesPerEU: 34
; NumVGPRsForWavesPerEU: 79
; Occupancy: 16
; WaveLimiterHint : 0
; COMPUTE_PGM_RSRC2:SCRATCH_EN: 0
; COMPUTE_PGM_RSRC2:USER_SGPR: 14
; COMPUTE_PGM_RSRC2:TRAP_HANDLER: 0
; COMPUTE_PGM_RSRC2:TGID_X_EN: 1
; COMPUTE_PGM_RSRC2:TGID_Y_EN: 0
; COMPUTE_PGM_RSRC2:TGID_Z_EN: 1
; COMPUTE_PGM_RSRC2:TIDIG_COMP_CNT: 1
	.section	.text._ZL30rocblas_trmm_outofplace_kernelI19rocblas_complex_numIdELi32ELi2ELb1ELb0ELb0ELb0EPKS1_S2_S1_Ev17rocblas_diagonal_iiT6_lPT7_lllS7_lllPT8_llli,"axG",@progbits,_ZL30rocblas_trmm_outofplace_kernelI19rocblas_complex_numIdELi32ELi2ELb1ELb0ELb0ELb0EPKS1_S2_S1_Ev17rocblas_diagonal_iiT6_lPT7_lllS7_lllPT8_llli,comdat
	.globl	_ZL30rocblas_trmm_outofplace_kernelI19rocblas_complex_numIdELi32ELi2ELb1ELb0ELb0ELb0EPKS1_S2_S1_Ev17rocblas_diagonal_iiT6_lPT7_lllS7_lllPT8_llli ; -- Begin function _ZL30rocblas_trmm_outofplace_kernelI19rocblas_complex_numIdELi32ELi2ELb1ELb0ELb0ELb0EPKS1_S2_S1_Ev17rocblas_diagonal_iiT6_lPT7_lllS7_lllPT8_llli
	.p2align	8
	.type	_ZL30rocblas_trmm_outofplace_kernelI19rocblas_complex_numIdELi32ELi2ELb1ELb0ELb0ELb0EPKS1_S2_S1_Ev17rocblas_diagonal_iiT6_lPT7_lllS7_lllPT8_llli,@function
_ZL30rocblas_trmm_outofplace_kernelI19rocblas_complex_numIdELi32ELi2ELb1ELb0ELb0ELb0EPKS1_S2_S1_Ev17rocblas_diagonal_iiT6_lPT7_lllS7_lllPT8_llli: ; @_ZL30rocblas_trmm_outofplace_kernelI19rocblas_complex_numIdELi32ELi2ELb1ELb0ELb0ELb0EPKS1_S2_S1_Ev17rocblas_diagonal_iiT6_lPT7_lllS7_lllPT8_llli
; %bb.0:
	s_load_b512 s[16:31], s[0:1], 0x10
	s_waitcnt lgkmcnt(0)
	s_mul_i32 s3, s15, s19
	s_mul_hi_u32 s4, s15, s18
	s_mul_i32 s2, s15, s18
	s_add_i32 s3, s4, s3
	s_delay_alu instid0(SALU_CYCLE_1) | instskip(NEXT) | instid1(SALU_CYCLE_1)
	s_lshl_b64 s[2:3], s[2:3], 4
	s_add_u32 s2, s16, s2
	s_addc_u32 s3, s17, s3
	s_load_b128 s[16:19], s[2:3], 0x0
	s_waitcnt lgkmcnt(0)
	v_cmp_eq_f64_e64 s2, s[16:17], 0
	v_cmp_eq_f64_e64 s3, s[18:19], 0
	s_delay_alu instid0(VALU_DEP_1) | instskip(NEXT) | instid1(SALU_CYCLE_1)
	s_and_b32 s2, s2, s3
	s_and_b32 vcc_lo, exec_lo, s2
	s_cbranch_vccnz .LBB108_63
; %bb.1:
	s_load_b128 s[8:11], s[0:1], 0x0
	s_waitcnt lgkmcnt(0)
	s_add_i32 s2, s10, -1
	s_delay_alu instid0(SALU_CYCLE_1) | instskip(NEXT) | instid1(SALU_CYCLE_1)
	s_ashr_i32 s3, s2, 31
	s_lshr_b32 s3, s3, 27
	s_delay_alu instid0(SALU_CYCLE_1) | instskip(NEXT) | instid1(SALU_CYCLE_1)
	s_add_i32 s2, s2, s3
	s_ashr_i32 s11, s2, 5
	s_delay_alu instid0(SALU_CYCLE_1)
	s_cmp_gt_i32 s14, s11
	s_cbranch_scc1 .LBB108_63
; %bb.2:
	s_clause 0x2
	s_load_b128 s[44:47], s[0:1], 0x70
	s_load_b32 s33, s[0:1], 0x8c
	s_load_b256 s[36:43], s[0:1], 0x50
	v_and_b32_e32 v55, 0x3ff, v0
	v_bfe_u32 v54, v0, 10, 10
	v_mov_b32_e32 v0, 0
	s_mov_b32 s12, s9
	s_delay_alu instid0(VALU_DEP_2) | instskip(SKIP_2) | instid1(VALU_DEP_2)
	v_lshl_add_u32 v23, v54, 4, 0x100
	v_lshlrev_b32_e32 v1, 9, v54
	v_lshl_add_u32 v20, s14, 5, v54
	v_add_nc_u32_e32 v58, 0x4000, v1
	s_waitcnt lgkmcnt(0)
	s_mul_i32 s1, s15, s47
	s_mul_hi_u32 s2, s15, s46
	s_mul_i32 s0, s15, s46
	s_add_i32 s1, s2, s1
	s_mul_i32 s4, s39, s15
	s_lshl_b64 s[0:1], s[0:1], 4
	s_mul_hi_u32 s5, s38, s15
	s_add_u32 s2, s40, s0
	s_addc_u32 s3, s41, s1
	s_lshl_b64 s[0:1], s[42:43], 4
	s_delay_alu instid0(SALU_CYCLE_1)
	s_add_u32 s42, s2, s0
	s_addc_u32 s43, s3, s1
	s_lshl_b32 s46, s13, 5
	s_cmp_gt_i32 s13, -1
	v_add_nc_u32_e32 v4, s46, v55
	s_cselect_b32 s47, -1, 0
	s_cmpk_eq_i32 s8, 0x84
	s_cselect_b32 s48, -1, 0
	s_ashr_i32 s13, s9, 31
	s_ashr_i32 s49, s10, 31
	s_lshl_b64 s[34:35], s[24:25], 9
	s_add_u32 s40, s9, -16
	s_addc_u32 s41, s13, -1
	s_add_i32 s5, s5, s4
	s_mul_i32 s4, s38, s15
	s_lshl_b64 s[6:7], s[30:31], 4
	s_lshl_b64 s[4:5], s[4:5], 4
	v_add_nc_u32_e32 v8, 16, v4
	s_add_u32 s4, s4, s6
	s_addc_u32 s5, s5, s7
	s_add_u32 s8, s28, s4
	s_addc_u32 s30, s29, s5
	s_mul_i32 s4, s27, s15
	s_mul_hi_u32 s5, s26, s15
	s_lshl_b64 s[6:7], s[22:23], 4
	s_add_i32 s5, s5, s4
	s_mul_i32 s4, s26, s15
	v_cmp_le_i32_e64 s0, s9, v4
	v_cmp_gt_i32_e64 s1, s9, v4
	v_cmp_gt_i32_e64 s3, s9, v8
	s_lshl_b64 s[28:29], s[36:37], 4
	s_lshl_b32 s9, s33, 5
	s_lshl_b64 s[4:5], s[4:5], 4
	s_add_u32 s6, s20, s6
	s_addc_u32 s7, s21, s7
	s_add_u32 s4, s6, s4
	s_addc_u32 s5, s7, s5
	v_ashrrev_i32_e32 v5, 31, v4
	v_mad_u64_u32 v[14:15], null, s24, v23, s[4:5]
	v_lshlrev_b32_e32 v56, 4, v55
	v_add_co_u32 v6, vcc_lo, v4, 16
	s_delay_alu instid0(VALU_DEP_4) | instskip(NEXT) | instid1(VALU_DEP_3)
	v_add_co_ci_u32_e32 v7, vcc_lo, 0, v5, vcc_lo
	v_add_nc_u32_e32 v57, v56, v1
	v_mad_u64_u32 v[1:2], null, s24, v54, 0
	v_sub_co_u32 v10, vcc_lo, v4, v54
	v_subrev_co_ci_u32_e32 v11, vcc_lo, 0, v5, vcc_lo
	v_cmp_le_i64_e64 s2, s[12:13], v[6:7]
	s_delay_alu instid0(VALU_DEP_3)
	v_add_co_u32 v12, vcc_lo, v10, 16
	v_mad_u64_u32 v[18:19], null, s25, v54, v[2:3]
	v_mov_b32_e32 v3, v15
	v_add_co_ci_u32_e32 v13, vcc_lo, 0, v11, vcc_lo
	v_add_co_u32 v16, vcc_lo, v10, -16
	v_add_co_ci_u32_e32 v17, vcc_lo, -1, v11, vcc_lo
	v_mov_b32_e32 v2, v18
	v_add_co_u32 v18, s6, s8, v56
	s_delay_alu instid0(VALU_DEP_1) | instskip(NEXT) | instid1(VALU_DEP_3)
	v_add_co_ci_u32_e64 v19, null, s30, 0, s6
	v_lshlrev_b64 v[1:2], 4, v[1:2]
	s_delay_alu instid0(VALU_DEP_3) | instskip(NEXT) | instid1(VALU_DEP_3)
	v_add_co_u32 v18, vcc_lo, 0x100, v18
	v_add_co_ci_u32_e32 v19, vcc_lo, 0, v19, vcc_lo
	v_add_nc_u32_e32 v59, 0x100, v57
	s_delay_alu instid0(VALU_DEP_4) | instskip(SKIP_2) | instid1(VALU_DEP_3)
	v_add_co_u32 v1, vcc_lo, s4, v1
	v_add_co_ci_u32_e32 v2, vcc_lo, s5, v2, vcc_lo
	v_add_nc_u32_e32 v60, 0x2000, v57
	v_add_co_u32 v24, vcc_lo, 0x100, v1
	v_mov_b32_e32 v1, 0x3ff00000
	v_mad_u64_u32 v[21:22], null, s25, v23, v[3:4]
	v_lshlrev_b64 v[22:23], 4, v[4:5]
	v_add_nc_u32_e32 v62, 0x2100, v57
	v_ashrrev_i32_e32 v9, 31, v8
	v_add_co_ci_u32_e32 v25, vcc_lo, 0, v2, vcc_lo
	v_mov_b32_e32 v15, v21
	v_add_nc_u32_e32 v61, v58, v56
	s_delay_alu instid0(VALU_DEP_1)
	v_add_nc_u32_e32 v63, 0x100, v61
	v_add_nc_u32_e32 v64, 0x2000, v61
	;; [unrolled: 1-line block ×3, first 2 shown]
	s_branch .LBB108_4
.LBB108_3:                              ;   in Loop: Header=BB108_4 Depth=1
	s_or_b32 exec_lo, exec_lo, s4
	v_add_nc_u32_e32 v20, s9, v20
	s_add_i32 s14, s33, s14
	s_delay_alu instid0(SALU_CYCLE_1)
	s_cmp_le_i32 s14, s11
	s_cbranch_scc0 .LBB108_63
.LBB108_4:                              ; =>This Loop Header: Depth=1
                                        ;     Child Loop BB108_7 Depth 2
	v_mov_b32_e32 v42, 0
	v_lshl_add_u32 v66, s14, 5, v54
	v_mov_b32_e32 v43, 0
	s_delay_alu instid0(VALU_DEP_3)
	v_mov_b32_e32 v34, v42
	v_mov_b32_e32 v36, v42
	;; [unrolled: 1-line block ×3, first 2 shown]
	v_ashrrev_i32_e32 v67, 31, v66
	v_mov_b32_e32 v39, v43
	v_dual_mov_b32 v45, v43 :: v_dual_mov_b32 v44, v42
	v_mov_b32_e32 v35, v43
	v_dual_mov_b32 v37, v43 :: v_dual_mov_b32 v40, v42
	;; [unrolled: 2-line block ×3, first 2 shown]
	v_dual_mov_b32 v47, v43 :: v_dual_mov_b32 v46, v42
	s_and_not1_b32 vcc_lo, exec_lo, s47
	s_mov_b64 s[20:21], 0
	s_cbranch_vccnz .LBB108_55
; %bb.5:                                ;   in Loop: Header=BB108_4 Depth=1
	v_ashrrev_i32_e32 v21, 31, v20
	v_mad_u64_u32 v[26:27], null, s28, v20, v[18:19]
	v_mul_lo_u32 v34, s29, v20
	v_mov_b32_e32 v46, 0
	s_delay_alu instid0(VALU_DEP_4) | instskip(SKIP_3) | instid1(VALU_DEP_4)
	v_lshlrev_b64 v[2:3], 4, v[20:21]
	v_mul_lo_u32 v21, s28, v21
	v_mov_b32_e32 v47, 0
	v_dual_mov_b32 v33, v25 :: v_dual_mov_b32 v32, v24
	v_add_co_u32 v30, vcc_lo, 0x100, v2
	v_add_co_ci_u32_e32 v28, vcc_lo, 0, v3, vcc_lo
	v_sub_co_u32 v2, vcc_lo, s10, v66
	s_delay_alu instid0(VALU_DEP_3) | instskip(NEXT) | instid1(VALU_DEP_3)
	v_mul_lo_u32 v36, s37, v30
	v_mul_lo_u32 v35, s36, v28
	v_mad_u64_u32 v[28:29], null, s36, v30, v[18:19]
	v_sub_co_ci_u32_e32 v3, vcc_lo, s49, v67, vcc_lo
	v_dual_mov_b32 v31, v15 :: v_dual_mov_b32 v30, v14
	v_add3_u32 v27, v34, v27, v21
	s_delay_alu instid0(VALU_DEP_3)
	v_cmp_lt_i64_e32 vcc_lo, 0, v[2:3]
	v_cmp_lt_i64_e64 s4, 16, v[2:3]
	v_add3_u32 v29, v36, v29, v35
	v_dual_mov_b32 v49, v47 :: v_dual_mov_b32 v48, v46
	v_dual_mov_b32 v40, v46 :: v_dual_mov_b32 v41, v47
	;; [unrolled: 1-line block ×7, first 2 shown]
	s_branch .LBB108_7
.LBB108_6:                              ;   in Loop: Header=BB108_7 Depth=2
	s_or_b32 exec_lo, exec_lo, s5
	s_waitcnt lgkmcnt(0)
	s_waitcnt_vscnt null, 0x0
	s_barrier
	buffer_gl0_inv
	ds_load_b128 v[50:53], v58
	ds_load_b128 v[68:71], v58 offset:16
	ds_load_b128 v[72:75], v58 offset:32
	;; [unrolled: 1-line block ×3, first 2 shown]
	ds_load_b128 v[80:83], v56
	v_add_co_u32 v26, s5, 0x200, v26
	s_delay_alu instid0(VALU_DEP_1) | instskip(SKIP_1) | instid1(VALU_DEP_1)
	v_add_co_ci_u32_e64 v27, s5, 0, v27, s5
	v_add_co_u32 v32, s5, v32, s34
	v_add_co_ci_u32_e64 v33, s5, s35, v33, s5
	v_add_co_u32 v30, s5, v30, s34
	s_delay_alu instid0(VALU_DEP_1)
	v_add_co_ci_u32_e64 v31, s5, s35, v31, s5
	v_add_co_u32 v28, s5, 0x200, v28
	s_add_u32 s20, s20, 32
	v_add_co_ci_u32_e64 v29, s5, 0, v29, s5
	s_addc_u32 s21, s21, 0
	s_sub_i32 s6, s20, 32
	s_waitcnt lgkmcnt(0)
	v_mul_f64 v[2:3], v[52:53], v[82:83]
	v_mul_f64 v[84:85], v[50:51], v[82:83]
	s_cmp_ge_i32 s6, s46
	s_delay_alu instid0(VALU_DEP_2) | instskip(NEXT) | instid1(VALU_DEP_2)
	v_fma_f64 v[2:3], v[50:51], v[80:81], -v[2:3]
	v_fma_f64 v[84:85], v[52:53], v[80:81], v[84:85]
	s_delay_alu instid0(VALU_DEP_2) | instskip(NEXT) | instid1(VALU_DEP_2)
	v_add_f64 v[2:3], v[42:43], v[2:3]
	v_add_f64 v[84:85], v[44:45], v[84:85]
	ds_load_b128 v[42:45], v56 offset:256
	s_waitcnt lgkmcnt(0)
	v_mul_f64 v[86:87], v[52:53], v[44:45]
	s_delay_alu instid0(VALU_DEP_1) | instskip(SKIP_1) | instid1(VALU_DEP_1)
	v_fma_f64 v[86:87], v[50:51], v[42:43], -v[86:87]
	v_mul_f64 v[50:51], v[50:51], v[44:45]
	v_fma_f64 v[50:51], v[52:53], v[42:43], v[50:51]
	s_delay_alu instid0(VALU_DEP_3) | instskip(NEXT) | instid1(VALU_DEP_2)
	v_add_f64 v[52:53], v[34:35], v[86:87]
	v_add_f64 v[50:51], v[36:37], v[50:51]
	ds_load_b128 v[34:37], v58 offset:8192
	s_waitcnt lgkmcnt(0)
	v_mul_f64 v[86:87], v[36:37], v[82:83]
	v_mul_f64 v[82:83], v[34:35], v[82:83]
	s_delay_alu instid0(VALU_DEP_2) | instskip(NEXT) | instid1(VALU_DEP_2)
	v_fma_f64 v[86:87], v[34:35], v[80:81], -v[86:87]
	v_fma_f64 v[80:81], v[36:37], v[80:81], v[82:83]
	s_delay_alu instid0(VALU_DEP_2) | instskip(SKIP_1) | instid1(VALU_DEP_3)
	v_add_f64 v[82:83], v[38:39], v[86:87]
	v_mul_f64 v[38:39], v[36:37], v[44:45]
	v_add_f64 v[80:81], v[40:41], v[80:81]
	s_delay_alu instid0(VALU_DEP_2) | instskip(SKIP_1) | instid1(VALU_DEP_2)
	v_fma_f64 v[38:39], v[34:35], v[42:43], -v[38:39]
	v_mul_f64 v[34:35], v[34:35], v[44:45]
	v_add_f64 v[48:49], v[48:49], v[38:39]
	s_delay_alu instid0(VALU_DEP_2) | instskip(NEXT) | instid1(VALU_DEP_1)
	v_fma_f64 v[34:35], v[36:37], v[42:43], v[34:35]
	v_add_f64 v[46:47], v[46:47], v[34:35]
	ds_load_b128 v[34:37], v56 offset:512
	s_waitcnt lgkmcnt(0)
	v_mul_f64 v[38:39], v[70:71], v[36:37]
	v_mul_f64 v[40:41], v[68:69], v[36:37]
	s_delay_alu instid0(VALU_DEP_2) | instskip(NEXT) | instid1(VALU_DEP_2)
	v_fma_f64 v[38:39], v[68:69], v[34:35], -v[38:39]
	v_fma_f64 v[40:41], v[70:71], v[34:35], v[40:41]
	s_delay_alu instid0(VALU_DEP_2) | instskip(NEXT) | instid1(VALU_DEP_2)
	v_add_f64 v[2:3], v[2:3], v[38:39]
	v_add_f64 v[84:85], v[84:85], v[40:41]
	ds_load_b128 v[38:41], v56 offset:768
	s_waitcnt lgkmcnt(0)
	v_mul_f64 v[42:43], v[70:71], v[40:41]
	v_mul_f64 v[44:45], v[68:69], v[40:41]
	s_delay_alu instid0(VALU_DEP_2) | instskip(NEXT) | instid1(VALU_DEP_2)
	v_fma_f64 v[42:43], v[68:69], v[38:39], -v[42:43]
	v_fma_f64 v[44:45], v[70:71], v[38:39], v[44:45]
	s_delay_alu instid0(VALU_DEP_2) | instskip(NEXT) | instid1(VALU_DEP_2)
	v_add_f64 v[52:53], v[52:53], v[42:43]
	v_add_f64 v[50:51], v[50:51], v[44:45]
	ds_load_b128 v[42:45], v58 offset:8208
	s_waitcnt lgkmcnt(0)
	v_mul_f64 v[68:69], v[44:45], v[36:37]
	v_mul_f64 v[36:37], v[42:43], v[36:37]
	s_delay_alu instid0(VALU_DEP_2) | instskip(NEXT) | instid1(VALU_DEP_2)
	v_fma_f64 v[68:69], v[42:43], v[34:35], -v[68:69]
	v_fma_f64 v[34:35], v[44:45], v[34:35], v[36:37]
	v_mul_f64 v[36:37], v[42:43], v[40:41]
	s_delay_alu instid0(VALU_DEP_3) | instskip(NEXT) | instid1(VALU_DEP_3)
	v_add_f64 v[68:69], v[82:83], v[68:69]
	v_add_f64 v[70:71], v[80:81], v[34:35]
	v_mul_f64 v[34:35], v[44:45], v[40:41]
	s_delay_alu instid0(VALU_DEP_4) | instskip(NEXT) | instid1(VALU_DEP_2)
	v_fma_f64 v[36:37], v[44:45], v[38:39], v[36:37]
	v_fma_f64 v[34:35], v[42:43], v[38:39], -v[34:35]
	s_delay_alu instid0(VALU_DEP_2) | instskip(NEXT) | instid1(VALU_DEP_2)
	v_add_f64 v[46:47], v[46:47], v[36:37]
	v_add_f64 v[48:49], v[48:49], v[34:35]
	ds_load_b128 v[34:37], v56 offset:1024
	s_waitcnt lgkmcnt(0)
	v_mul_f64 v[38:39], v[74:75], v[36:37]
	v_mul_f64 v[40:41], v[72:73], v[36:37]
	s_delay_alu instid0(VALU_DEP_2) | instskip(NEXT) | instid1(VALU_DEP_2)
	v_fma_f64 v[38:39], v[72:73], v[34:35], -v[38:39]
	v_fma_f64 v[40:41], v[74:75], v[34:35], v[40:41]
	s_delay_alu instid0(VALU_DEP_2) | instskip(NEXT) | instid1(VALU_DEP_2)
	v_add_f64 v[2:3], v[2:3], v[38:39]
	v_add_f64 v[80:81], v[84:85], v[40:41]
	ds_load_b128 v[38:41], v56 offset:1280
	s_waitcnt lgkmcnt(0)
	v_mul_f64 v[42:43], v[74:75], v[40:41]
	v_mul_f64 v[44:45], v[72:73], v[40:41]
	s_delay_alu instid0(VALU_DEP_2) | instskip(NEXT) | instid1(VALU_DEP_2)
	v_fma_f64 v[42:43], v[72:73], v[38:39], -v[42:43]
	v_fma_f64 v[44:45], v[74:75], v[38:39], v[44:45]
	s_delay_alu instid0(VALU_DEP_2) | instskip(NEXT) | instid1(VALU_DEP_2)
	v_add_f64 v[52:53], v[52:53], v[42:43]
	v_add_f64 v[50:51], v[50:51], v[44:45]
	ds_load_b128 v[42:45], v58 offset:8224
	s_waitcnt lgkmcnt(0)
	v_mul_f64 v[72:73], v[44:45], v[36:37]
	v_mul_f64 v[36:37], v[42:43], v[36:37]
	s_delay_alu instid0(VALU_DEP_2) | instskip(NEXT) | instid1(VALU_DEP_2)
	v_fma_f64 v[72:73], v[42:43], v[34:35], -v[72:73]
	v_fma_f64 v[34:35], v[44:45], v[34:35], v[36:37]
	v_mul_f64 v[36:37], v[42:43], v[40:41]
	s_delay_alu instid0(VALU_DEP_3) | instskip(NEXT) | instid1(VALU_DEP_3)
	v_add_f64 v[68:69], v[68:69], v[72:73]
	v_add_f64 v[70:71], v[70:71], v[34:35]
	v_mul_f64 v[34:35], v[44:45], v[40:41]
	s_delay_alu instid0(VALU_DEP_4) | instskip(NEXT) | instid1(VALU_DEP_2)
	v_fma_f64 v[36:37], v[44:45], v[38:39], v[36:37]
	v_fma_f64 v[34:35], v[42:43], v[38:39], -v[34:35]
	s_delay_alu instid0(VALU_DEP_2) | instskip(NEXT) | instid1(VALU_DEP_2)
	v_add_f64 v[46:47], v[46:47], v[36:37]
	;; [unrolled: 38-line block ×3, first 2 shown]
	v_add_f64 v[48:49], v[48:49], v[34:35]
	ds_load_b128 v[34:37], v58 offset:64
	ds_load_b128 v[38:41], v56 offset:2048
	s_waitcnt lgkmcnt(0)
	v_mul_f64 v[42:43], v[36:37], v[40:41]
	v_mul_f64 v[44:45], v[34:35], v[40:41]
	s_delay_alu instid0(VALU_DEP_2) | instskip(NEXT) | instid1(VALU_DEP_2)
	v_fma_f64 v[42:43], v[34:35], v[38:39], -v[42:43]
	v_fma_f64 v[44:45], v[36:37], v[38:39], v[44:45]
	s_delay_alu instid0(VALU_DEP_2) | instskip(NEXT) | instid1(VALU_DEP_2)
	v_add_f64 v[2:3], v[2:3], v[42:43]
	v_add_f64 v[72:73], v[72:73], v[44:45]
	ds_load_b128 v[42:45], v56 offset:2304
	s_waitcnt lgkmcnt(0)
	v_mul_f64 v[74:75], v[36:37], v[44:45]
	s_delay_alu instid0(VALU_DEP_1) | instskip(SKIP_1) | instid1(VALU_DEP_2)
	v_fma_f64 v[74:75], v[34:35], v[42:43], -v[74:75]
	v_mul_f64 v[34:35], v[34:35], v[44:45]
	v_add_f64 v[52:53], v[52:53], v[74:75]
	s_delay_alu instid0(VALU_DEP_2) | instskip(NEXT) | instid1(VALU_DEP_1)
	v_fma_f64 v[34:35], v[36:37], v[42:43], v[34:35]
	v_add_f64 v[50:51], v[50:51], v[34:35]
	ds_load_b128 v[34:37], v58 offset:8256
	s_waitcnt lgkmcnt(0)
	v_mul_f64 v[74:75], v[36:37], v[40:41]
	v_mul_f64 v[40:41], v[34:35], v[40:41]
	s_delay_alu instid0(VALU_DEP_2) | instskip(NEXT) | instid1(VALU_DEP_2)
	v_fma_f64 v[74:75], v[34:35], v[38:39], -v[74:75]
	v_fma_f64 v[38:39], v[36:37], v[38:39], v[40:41]
	s_delay_alu instid0(VALU_DEP_2) | instskip(NEXT) | instid1(VALU_DEP_2)
	v_add_f64 v[68:69], v[68:69], v[74:75]
	v_add_f64 v[70:71], v[70:71], v[38:39]
	v_mul_f64 v[38:39], v[36:37], v[44:45]
	s_delay_alu instid0(VALU_DEP_1) | instskip(SKIP_1) | instid1(VALU_DEP_2)
	v_fma_f64 v[38:39], v[34:35], v[42:43], -v[38:39]
	v_mul_f64 v[34:35], v[34:35], v[44:45]
	v_add_f64 v[48:49], v[48:49], v[38:39]
	s_delay_alu instid0(VALU_DEP_2) | instskip(NEXT) | instid1(VALU_DEP_1)
	v_fma_f64 v[34:35], v[36:37], v[42:43], v[34:35]
	v_add_f64 v[46:47], v[46:47], v[34:35]
	ds_load_b128 v[34:37], v58 offset:80
	ds_load_b128 v[38:41], v56 offset:2560
	s_waitcnt lgkmcnt(0)
	v_mul_f64 v[42:43], v[36:37], v[40:41]
	v_mul_f64 v[44:45], v[34:35], v[40:41]
	s_delay_alu instid0(VALU_DEP_2) | instskip(NEXT) | instid1(VALU_DEP_2)
	v_fma_f64 v[42:43], v[34:35], v[38:39], -v[42:43]
	v_fma_f64 v[44:45], v[36:37], v[38:39], v[44:45]
	s_delay_alu instid0(VALU_DEP_2) | instskip(NEXT) | instid1(VALU_DEP_2)
	v_add_f64 v[2:3], v[2:3], v[42:43]
	v_add_f64 v[72:73], v[72:73], v[44:45]
	ds_load_b128 v[42:45], v56 offset:2816
	s_waitcnt lgkmcnt(0)
	v_mul_f64 v[74:75], v[36:37], v[44:45]
	s_delay_alu instid0(VALU_DEP_1) | instskip(SKIP_1) | instid1(VALU_DEP_2)
	v_fma_f64 v[74:75], v[34:35], v[42:43], -v[74:75]
	v_mul_f64 v[34:35], v[34:35], v[44:45]
	v_add_f64 v[52:53], v[52:53], v[74:75]
	s_delay_alu instid0(VALU_DEP_2) | instskip(NEXT) | instid1(VALU_DEP_1)
	v_fma_f64 v[34:35], v[36:37], v[42:43], v[34:35]
	v_add_f64 v[50:51], v[50:51], v[34:35]
	ds_load_b128 v[34:37], v58 offset:8272
	s_waitcnt lgkmcnt(0)
	v_mul_f64 v[74:75], v[36:37], v[40:41]
	v_mul_f64 v[40:41], v[34:35], v[40:41]
	s_delay_alu instid0(VALU_DEP_2) | instskip(NEXT) | instid1(VALU_DEP_2)
	v_fma_f64 v[74:75], v[34:35], v[38:39], -v[74:75]
	v_fma_f64 v[38:39], v[36:37], v[38:39], v[40:41]
	s_delay_alu instid0(VALU_DEP_2) | instskip(NEXT) | instid1(VALU_DEP_2)
	v_add_f64 v[68:69], v[68:69], v[74:75]
	v_add_f64 v[70:71], v[70:71], v[38:39]
	v_mul_f64 v[38:39], v[36:37], v[44:45]
	s_delay_alu instid0(VALU_DEP_1) | instskip(SKIP_1) | instid1(VALU_DEP_2)
	v_fma_f64 v[38:39], v[34:35], v[42:43], -v[38:39]
	v_mul_f64 v[34:35], v[34:35], v[44:45]
	v_add_f64 v[48:49], v[48:49], v[38:39]
	s_delay_alu instid0(VALU_DEP_2) | instskip(NEXT) | instid1(VALU_DEP_1)
	v_fma_f64 v[34:35], v[36:37], v[42:43], v[34:35]
	;; [unrolled: 39-line block ×26, first 2 shown]
	v_add_f64 v[46:47], v[46:47], v[34:35]
	ds_load_b128 v[34:37], v58 offset:480
	ds_load_b128 v[38:41], v56 offset:15360
	s_waitcnt lgkmcnt(0)
	v_mul_f64 v[42:43], v[36:37], v[40:41]
	v_mul_f64 v[44:45], v[34:35], v[40:41]
	s_delay_alu instid0(VALU_DEP_2) | instskip(NEXT) | instid1(VALU_DEP_2)
	v_fma_f64 v[42:43], v[34:35], v[38:39], -v[42:43]
	v_fma_f64 v[44:45], v[36:37], v[38:39], v[44:45]
	s_delay_alu instid0(VALU_DEP_2) | instskip(NEXT) | instid1(VALU_DEP_2)
	v_add_f64 v[74:75], v[2:3], v[42:43]
	v_add_f64 v[72:73], v[72:73], v[44:45]
	ds_load_b128 v[42:45], v56 offset:15616
	s_waitcnt lgkmcnt(0)
	v_mul_f64 v[2:3], v[36:37], v[44:45]
	s_delay_alu instid0(VALU_DEP_1) | instskip(SKIP_1) | instid1(VALU_DEP_2)
	v_fma_f64 v[2:3], v[34:35], v[42:43], -v[2:3]
	v_mul_f64 v[34:35], v[34:35], v[44:45]
	v_add_f64 v[52:53], v[52:53], v[2:3]
	s_delay_alu instid0(VALU_DEP_2) | instskip(NEXT) | instid1(VALU_DEP_1)
	v_fma_f64 v[34:35], v[36:37], v[42:43], v[34:35]
	v_add_f64 v[76:77], v[50:51], v[34:35]
	ds_load_b128 v[34:37], v58 offset:8672
	s_waitcnt lgkmcnt(0)
	v_mul_f64 v[2:3], v[36:37], v[40:41]
	v_mul_f64 v[40:41], v[34:35], v[40:41]
	s_delay_alu instid0(VALU_DEP_2) | instskip(NEXT) | instid1(VALU_DEP_2)
	v_fma_f64 v[2:3], v[34:35], v[38:39], -v[2:3]
	v_fma_f64 v[38:39], v[36:37], v[38:39], v[40:41]
	s_delay_alu instid0(VALU_DEP_2) | instskip(SKIP_1) | instid1(VALU_DEP_3)
	v_add_f64 v[78:79], v[68:69], v[2:3]
	v_mul_f64 v[2:3], v[36:37], v[44:45]
	v_add_f64 v[80:81], v[70:71], v[38:39]
	s_delay_alu instid0(VALU_DEP_2) | instskip(SKIP_1) | instid1(VALU_DEP_2)
	v_fma_f64 v[2:3], v[34:35], v[42:43], -v[2:3]
	v_mul_f64 v[34:35], v[34:35], v[44:45]
	v_add_f64 v[2:3], v[48:49], v[2:3]
	s_delay_alu instid0(VALU_DEP_2) | instskip(NEXT) | instid1(VALU_DEP_1)
	v_fma_f64 v[34:35], v[36:37], v[42:43], v[34:35]
	v_add_f64 v[46:47], v[46:47], v[34:35]
	ds_load_b128 v[34:37], v58 offset:496
	ds_load_b128 v[38:41], v56 offset:15872
	;; [unrolled: 1-line block ×3, first 2 shown]
	s_waitcnt lgkmcnt(1)
	v_mul_f64 v[42:43], v[36:37], v[40:41]
	s_waitcnt lgkmcnt(0)
	v_mul_f64 v[68:69], v[36:37], v[50:51]
	v_mul_f64 v[44:45], v[34:35], v[40:41]
	s_delay_alu instid0(VALU_DEP_3) | instskip(NEXT) | instid1(VALU_DEP_3)
	v_fma_f64 v[42:43], v[34:35], v[38:39], -v[42:43]
	v_fma_f64 v[68:69], v[34:35], v[48:49], -v[68:69]
	v_mul_f64 v[34:35], v[34:35], v[50:51]
	s_delay_alu instid0(VALU_DEP_4) | instskip(NEXT) | instid1(VALU_DEP_4)
	v_fma_f64 v[44:45], v[36:37], v[38:39], v[44:45]
	v_add_f64 v[42:43], v[74:75], v[42:43]
	s_delay_alu instid0(VALU_DEP_3)
	v_fma_f64 v[36:37], v[36:37], v[48:49], v[34:35]
	v_add_f64 v[34:35], v[52:53], v[68:69]
	ds_load_b128 v[68:71], v58 offset:8688
	v_add_f64 v[44:45], v[72:73], v[44:45]
	s_waitcnt lgkmcnt(0)
	s_barrier
	buffer_gl0_inv
	v_mul_f64 v[52:53], v[70:71], v[40:41]
	v_mul_f64 v[40:41], v[68:69], v[40:41]
	v_add_f64 v[36:37], v[76:77], v[36:37]
	s_delay_alu instid0(VALU_DEP_3) | instskip(NEXT) | instid1(VALU_DEP_3)
	v_fma_f64 v[52:53], v[68:69], v[38:39], -v[52:53]
	v_fma_f64 v[40:41], v[70:71], v[38:39], v[40:41]
	s_delay_alu instid0(VALU_DEP_2) | instskip(SKIP_2) | instid1(VALU_DEP_4)
	v_add_f64 v[38:39], v[78:79], v[52:53]
	v_mul_f64 v[52:53], v[70:71], v[50:51]
	v_mul_f64 v[50:51], v[68:69], v[50:51]
	v_add_f64 v[40:41], v[80:81], v[40:41]
	s_delay_alu instid0(VALU_DEP_3) | instskip(NEXT) | instid1(VALU_DEP_3)
	v_fma_f64 v[52:53], v[68:69], v[48:49], -v[52:53]
	v_fma_f64 v[50:51], v[70:71], v[48:49], v[50:51]
	s_delay_alu instid0(VALU_DEP_2) | instskip(NEXT) | instid1(VALU_DEP_2)
	v_add_f64 v[48:49], v[2:3], v[52:53]
	v_add_f64 v[46:47], v[46:47], v[50:51]
	s_cbranch_scc1 .LBB108_55
.LBB108_7:                              ;   Parent Loop BB108_4 Depth=1
                                        ; =>  This Inner Loop Header: Depth=2
	v_add_co_u32 v50, s5, v54, s20
	s_delay_alu instid0(VALU_DEP_1) | instskip(SKIP_1) | instid1(VALU_DEP_2)
	v_add_co_ci_u32_e64 v51, null, 0, s21, s5
	v_cmp_eq_u64_e64 s7, s[20:21], v[10:11]
	v_cmp_le_i64_e64 s6, s[12:13], v[50:51]
	v_cmp_gt_i64_e64 s5, v[50:51], v[4:5]
	s_delay_alu instid0(VALU_DEP_3) | instskip(NEXT) | instid1(VALU_DEP_1)
	s_and_b32 s22, s48, s7
	s_or_b32 s7, s6, s5
	s_delay_alu instid0(SALU_CYCLE_1) | instskip(SKIP_1) | instid1(VALU_DEP_1)
	s_or_b32 s8, s7, s22
	v_add_co_u32 v52, s7, v32, v22
	v_add_co_ci_u32_e64 v53, s7, v33, v23, s7
	s_or_b32 s7, s0, s8
	s_delay_alu instid0(SALU_CYCLE_1) | instskip(NEXT) | instid1(SALU_CYCLE_1)
	s_xor_b32 s7, s7, -1
	s_and_saveexec_b32 s8, s7
	s_delay_alu instid0(SALU_CYCLE_1)
	s_xor_b32 s7, exec_lo, s8
	s_cbranch_execz .LBB108_9
; %bb.8:                                ;   in Loop: Header=BB108_7 Depth=2
	global_load_b128 v[68:71], v[52:53], off offset:-256
	s_waitcnt vmcnt(0)
	ds_store_2addr_b64 v57, v[68:69], v[70:71] offset1:1
.LBB108_9:                              ;   in Loop: Header=BB108_7 Depth=2
	s_or_saveexec_b32 s7, s7
	s_xor_b32 s15, s22, -1
	s_xor_b32 exec_lo, exec_lo, s7
	s_cbranch_execz .LBB108_15
; %bb.10:                               ;   in Loop: Header=BB108_7 Depth=2
	s_and_saveexec_b32 s8, s15
	s_delay_alu instid0(SALU_CYCLE_1)
	s_xor_b32 s8, exec_lo, s8
	s_cbranch_execz .LBB108_12
; %bb.11:                               ;   in Loop: Header=BB108_7 Depth=2
	v_mov_b32_e32 v68, v0
	v_mov_b32_e32 v69, v0
	;; [unrolled: 1-line block ×4, first 2 shown]
	ds_store_b128 v57, v[68:71]
.LBB108_12:                             ;   in Loop: Header=BB108_7 Depth=2
	s_and_not1_saveexec_b32 s8, s8
	s_cbranch_execz .LBB108_14
; %bb.13:                               ;   in Loop: Header=BB108_7 Depth=2
	v_mov_b32_e32 v2, v0
	v_mov_b32_e32 v3, v0
	ds_store_b128 v57, v[0:3]
.LBB108_14:                             ;   in Loop: Header=BB108_7 Depth=2
	s_or_b32 exec_lo, exec_lo, s8
.LBB108_15:                             ;   in Loop: Header=BB108_7 Depth=2
	s_delay_alu instid0(SALU_CYCLE_1) | instskip(SKIP_2) | instid1(VALU_DEP_2)
	s_or_b32 exec_lo, exec_lo, s7
	v_cmp_eq_u64_e64 s7, s[20:21], v[12:13]
	v_cmp_lt_i64_e64 s8, v[6:7], v[50:51]
	s_and_b32 s7, s48, s7
	s_delay_alu instid0(VALU_DEP_1) | instskip(NEXT) | instid1(SALU_CYCLE_1)
	s_or_b32 s6, s6, s8
	s_or_b32 s6, s6, s7
	s_delay_alu instid0(SALU_CYCLE_1) | instskip(NEXT) | instid1(SALU_CYCLE_1)
	s_or_b32 s6, s2, s6
	s_xor_b32 s6, s6, -1
	s_delay_alu instid0(SALU_CYCLE_1) | instskip(NEXT) | instid1(SALU_CYCLE_1)
	s_and_saveexec_b32 s8, s6
	s_xor_b32 s6, exec_lo, s8
	s_cbranch_execz .LBB108_17
; %bb.16:                               ;   in Loop: Header=BB108_7 Depth=2
	global_load_b128 v[68:71], v[52:53], off
	s_waitcnt vmcnt(0)
	ds_store_2addr_b64 v59, v[68:69], v[70:71] offset1:1
.LBB108_17:                             ;   in Loop: Header=BB108_7 Depth=2
	s_and_not1_saveexec_b32 s6, s6
	s_cbranch_execz .LBB108_23
; %bb.18:                               ;   in Loop: Header=BB108_7 Depth=2
	s_xor_b32 s7, s7, -1
	s_delay_alu instid0(SALU_CYCLE_1) | instskip(NEXT) | instid1(SALU_CYCLE_1)
	s_and_saveexec_b32 s8, s7
	s_xor_b32 s7, exec_lo, s8
	s_cbranch_execz .LBB108_20
; %bb.19:                               ;   in Loop: Header=BB108_7 Depth=2
	v_mov_b32_e32 v68, v0
	v_mov_b32_e32 v69, v0
	;; [unrolled: 1-line block ×4, first 2 shown]
	ds_store_b128 v59, v[68:71]
.LBB108_20:                             ;   in Loop: Header=BB108_7 Depth=2
	s_and_not1_saveexec_b32 s7, s7
	s_cbranch_execz .LBB108_22
; %bb.21:                               ;   in Loop: Header=BB108_7 Depth=2
	v_mov_b32_e32 v2, v0
	v_mov_b32_e32 v3, v0
	ds_store_b128 v59, v[0:3]
.LBB108_22:                             ;   in Loop: Header=BB108_7 Depth=2
	s_or_b32 exec_lo, exec_lo, s7
.LBB108_23:                             ;   in Loop: Header=BB108_7 Depth=2
	s_delay_alu instid0(SALU_CYCLE_1) | instskip(SKIP_1) | instid1(VALU_DEP_1)
	s_or_b32 exec_lo, exec_lo, s6
	v_add_co_u32 v2, s6, v50, 16
	v_add_co_ci_u32_e64 v3, s6, 0, v51, s6
	v_cmp_eq_u64_e64 s7, s[20:21], v[16:17]
	s_delay_alu instid0(VALU_DEP_2) | instskip(SKIP_1) | instid1(VALU_DEP_3)
	v_cmp_le_i64_e64 s6, s[12:13], v[2:3]
	v_cmp_gt_i64_e64 s8, v[2:3], v[4:5]
	s_and_b32 s23, s48, s7
	s_delay_alu instid0(VALU_DEP_1) | instskip(NEXT) | instid1(SALU_CYCLE_1)
	s_or_b32 s7, s6, s8
	s_or_b32 s7, s7, s23
	s_delay_alu instid0(SALU_CYCLE_1) | instskip(NEXT) | instid1(SALU_CYCLE_1)
	s_or_b32 s7, s0, s7
	s_xor_b32 s7, s7, -1
	s_delay_alu instid0(SALU_CYCLE_1) | instskip(NEXT) | instid1(SALU_CYCLE_1)
	s_and_saveexec_b32 s8, s7
	s_xor_b32 s8, exec_lo, s8
	s_cbranch_execz .LBB108_25
; %bb.24:                               ;   in Loop: Header=BB108_7 Depth=2
	v_add_co_u32 v2, s7, v30, v22
	s_delay_alu instid0(VALU_DEP_1)
	v_add_co_ci_u32_e64 v3, s7, v31, v23, s7
	global_load_b128 v[50:53], v[2:3], off
	s_waitcnt vmcnt(0)
	ds_store_2addr_b64 v60, v[50:51], v[52:53] offset1:1
.LBB108_25:                             ;   in Loop: Header=BB108_7 Depth=2
	s_and_not1_saveexec_b32 s7, s8
	s_cbranch_execz .LBB108_31
; %bb.26:                               ;   in Loop: Header=BB108_7 Depth=2
	s_xor_b32 s8, s23, -1
	s_delay_alu instid0(SALU_CYCLE_1) | instskip(NEXT) | instid1(SALU_CYCLE_1)
	s_and_saveexec_b32 s23, s8
	s_xor_b32 s8, exec_lo, s23
	s_cbranch_execz .LBB108_28
; %bb.27:                               ;   in Loop: Header=BB108_7 Depth=2
	v_mov_b32_e32 v50, v0
	v_mov_b32_e32 v51, v0
	;; [unrolled: 1-line block ×4, first 2 shown]
	ds_store_b128 v60, v[50:53]
.LBB108_28:                             ;   in Loop: Header=BB108_7 Depth=2
	s_and_not1_saveexec_b32 s8, s8
	s_cbranch_execz .LBB108_30
; %bb.29:                               ;   in Loop: Header=BB108_7 Depth=2
	v_mov_b32_e32 v2, v0
	v_mov_b32_e32 v3, v0
	ds_store_b128 v60, v[0:3]
.LBB108_30:                             ;   in Loop: Header=BB108_7 Depth=2
	s_or_b32 exec_lo, exec_lo, s8
.LBB108_31:                             ;   in Loop: Header=BB108_7 Depth=2
	s_delay_alu instid0(SALU_CYCLE_1) | instskip(SKIP_1) | instid1(SALU_CYCLE_1)
	s_or_b32 exec_lo, exec_lo, s7
	s_or_b32 s5, s6, s5
	s_or_b32 s5, s5, s22
	s_delay_alu instid0(SALU_CYCLE_1) | instskip(NEXT) | instid1(SALU_CYCLE_1)
	s_or_b32 s5, s2, s5
	s_xor_b32 s5, s5, -1
	s_delay_alu instid0(SALU_CYCLE_1) | instskip(NEXT) | instid1(SALU_CYCLE_1)
	s_and_saveexec_b32 s6, s5
	s_xor_b32 s6, exec_lo, s6
	s_cbranch_execz .LBB108_33
; %bb.32:                               ;   in Loop: Header=BB108_7 Depth=2
	v_add_co_u32 v2, s5, v30, v22
	s_delay_alu instid0(VALU_DEP_1)
	v_add_co_ci_u32_e64 v3, s5, v31, v23, s5
	global_load_b128 v[50:53], v[2:3], off offset:256
	s_waitcnt vmcnt(0)
	ds_store_2addr_b64 v62, v[50:51], v[52:53] offset1:1
.LBB108_33:                             ;   in Loop: Header=BB108_7 Depth=2
	s_and_not1_saveexec_b32 s5, s6
	s_cbranch_execz .LBB108_39
; %bb.34:                               ;   in Loop: Header=BB108_7 Depth=2
	s_and_saveexec_b32 s6, s15
	s_delay_alu instid0(SALU_CYCLE_1)
	s_xor_b32 s6, exec_lo, s6
	s_cbranch_execz .LBB108_36
; %bb.35:                               ;   in Loop: Header=BB108_7 Depth=2
	v_mov_b32_e32 v50, v0
	v_mov_b32_e32 v51, v0
	;; [unrolled: 1-line block ×4, first 2 shown]
	ds_store_b128 v62, v[50:53]
.LBB108_36:                             ;   in Loop: Header=BB108_7 Depth=2
	s_and_not1_saveexec_b32 s6, s6
	s_cbranch_execz .LBB108_38
; %bb.37:                               ;   in Loop: Header=BB108_7 Depth=2
	v_mov_b32_e32 v2, v0
	v_mov_b32_e32 v3, v0
	ds_store_b128 v62, v[0:3]
.LBB108_38:                             ;   in Loop: Header=BB108_7 Depth=2
	s_or_b32 exec_lo, exec_lo, s6
.LBB108_39:                             ;   in Loop: Header=BB108_7 Depth=2
	s_delay_alu instid0(SALU_CYCLE_1) | instskip(SKIP_1) | instid1(VALU_DEP_1)
	s_or_b32 exec_lo, exec_lo, s5
	v_add_co_u32 v2, s5, v55, s20
	v_add_co_ci_u32_e64 v3, null, 0, s21, s5
	s_delay_alu instid0(VALU_DEP_1) | instskip(NEXT) | instid1(VALU_DEP_1)
	v_cmp_gt_i64_e64 s5, s[12:13], v[2:3]
	s_and_b32 s6, vcc_lo, s5
	s_delay_alu instid0(SALU_CYCLE_1) | instskip(NEXT) | instid1(SALU_CYCLE_1)
	s_xor_b32 s6, s6, -1
	s_and_saveexec_b32 s7, s6
	s_delay_alu instid0(SALU_CYCLE_1)
	s_xor_b32 s6, exec_lo, s7
	s_cbranch_execz .LBB108_41
; %bb.40:                               ;   in Loop: Header=BB108_7 Depth=2
	v_mov_b32_e32 v50, v0
	v_mov_b32_e32 v51, v0
	;; [unrolled: 1-line block ×4, first 2 shown]
	ds_store_b128 v61, v[50:53]
.LBB108_41:                             ;   in Loop: Header=BB108_7 Depth=2
	s_and_not1_saveexec_b32 s6, s6
	s_cbranch_execz .LBB108_43
; %bb.42:                               ;   in Loop: Header=BB108_7 Depth=2
	global_load_b128 v[50:53], v[26:27], off offset:-256
	s_waitcnt vmcnt(0)
	ds_store_2addr_b64 v61, v[50:51], v[52:53] offset1:1
.LBB108_43:                             ;   in Loop: Header=BB108_7 Depth=2
	s_or_b32 exec_lo, exec_lo, s6
	v_cmp_gt_i64_e64 s6, s[40:41], v[2:3]
	s_delay_alu instid0(VALU_DEP_1) | instskip(NEXT) | instid1(SALU_CYCLE_1)
	s_and_b32 s7, vcc_lo, s6
	s_xor_b32 s7, s7, -1
	s_delay_alu instid0(SALU_CYCLE_1) | instskip(NEXT) | instid1(SALU_CYCLE_1)
	s_and_saveexec_b32 s8, s7
	s_xor_b32 s7, exec_lo, s8
	s_cbranch_execz .LBB108_45
; %bb.44:                               ;   in Loop: Header=BB108_7 Depth=2
	v_mov_b32_e32 v50, v0
	v_mov_b32_e32 v51, v0
	;; [unrolled: 1-line block ×4, first 2 shown]
	ds_store_b128 v63, v[50:53]
.LBB108_45:                             ;   in Loop: Header=BB108_7 Depth=2
	s_and_not1_saveexec_b32 s7, s7
	s_cbranch_execz .LBB108_47
; %bb.46:                               ;   in Loop: Header=BB108_7 Depth=2
	global_load_b128 v[50:53], v[26:27], off
	s_waitcnt vmcnt(0)
	ds_store_2addr_b64 v63, v[50:51], v[52:53] offset1:1
.LBB108_47:                             ;   in Loop: Header=BB108_7 Depth=2
	s_or_b32 exec_lo, exec_lo, s7
	s_and_b32 s5, s4, s5
	s_delay_alu instid0(SALU_CYCLE_1) | instskip(NEXT) | instid1(SALU_CYCLE_1)
	s_xor_b32 s5, s5, -1
	s_and_saveexec_b32 s7, s5
	s_delay_alu instid0(SALU_CYCLE_1)
	s_xor_b32 s5, exec_lo, s7
	s_cbranch_execz .LBB108_49
; %bb.48:                               ;   in Loop: Header=BB108_7 Depth=2
	v_mov_b32_e32 v50, v0
	v_mov_b32_e32 v51, v0
	v_mov_b32_e32 v52, v0
	v_mov_b32_e32 v53, v0
	ds_store_b128 v64, v[50:53]
.LBB108_49:                             ;   in Loop: Header=BB108_7 Depth=2
	s_and_not1_saveexec_b32 s5, s5
	s_cbranch_execz .LBB108_51
; %bb.50:                               ;   in Loop: Header=BB108_7 Depth=2
	global_load_b128 v[50:53], v[28:29], off offset:-256
	s_waitcnt vmcnt(0)
	ds_store_2addr_b64 v64, v[50:51], v[52:53] offset1:1
.LBB108_51:                             ;   in Loop: Header=BB108_7 Depth=2
	s_or_b32 exec_lo, exec_lo, s5
	s_and_b32 s5, s4, s6
	s_delay_alu instid0(SALU_CYCLE_1) | instskip(NEXT) | instid1(SALU_CYCLE_1)
	s_xor_b32 s5, s5, -1
	s_and_saveexec_b32 s6, s5
	s_delay_alu instid0(SALU_CYCLE_1)
	s_xor_b32 s5, exec_lo, s6
	s_cbranch_execz .LBB108_53
; %bb.52:                               ;   in Loop: Header=BB108_7 Depth=2
	v_mov_b32_e32 v50, v0
	v_mov_b32_e32 v51, v0
	;; [unrolled: 1-line block ×4, first 2 shown]
	ds_store_b128 v65, v[50:53]
.LBB108_53:                             ;   in Loop: Header=BB108_7 Depth=2
	s_and_not1_saveexec_b32 s5, s5
	s_cbranch_execz .LBB108_6
; %bb.54:                               ;   in Loop: Header=BB108_7 Depth=2
	global_load_b128 v[50:53], v[28:29], off
	s_waitcnt vmcnt(0)
	ds_store_2addr_b64 v65, v[50:51], v[52:53] offset1:1
	s_branch .LBB108_6
.LBB108_55:                             ;   in Loop: Header=BB108_4 Depth=1
	v_mul_lo_u32 v21, v67, s44
	v_mul_lo_u32 v26, v66, s45
	v_mad_u64_u32 v[2:3], null, v66, s44, 0
	v_cmp_gt_i32_e32 vcc_lo, s10, v66
	s_delay_alu instid0(VALU_DEP_2) | instskip(NEXT) | instid1(VALU_DEP_1)
	v_add3_u32 v3, v3, v26, v21
	v_lshlrev_b64 v[2:3], 4, v[2:3]
	s_delay_alu instid0(VALU_DEP_1) | instskip(NEXT) | instid1(VALU_DEP_1)
	v_add_co_u32 v2, s4, s42, v2
	v_add_co_ci_u32_e64 v3, s4, s43, v3, s4
	s_and_b32 s4, s1, vcc_lo
	s_delay_alu instid0(SALU_CYCLE_1)
	s_and_saveexec_b32 s5, s4
	s_cbranch_execz .LBB108_57
; %bb.56:                               ;   in Loop: Header=BB108_4 Depth=1
	v_add_co_u32 v30, s4, v2, v22
	s_delay_alu instid0(VALU_DEP_1)
	v_add_co_ci_u32_e64 v31, s4, v3, v23, s4
	v_mul_f64 v[32:33], s[18:19], v[44:45]
	v_mul_f64 v[44:45], s[16:17], v[44:45]
	global_load_b128 v[26:29], v[30:31], off
	v_fma_f64 v[32:33], s[16:17], v[42:43], -v[32:33]
	v_fma_f64 v[42:43], s[18:19], v[42:43], v[44:45]
	s_waitcnt vmcnt(0)
	s_delay_alu instid0(VALU_DEP_2) | instskip(NEXT) | instid1(VALU_DEP_2)
	v_add_f64 v[26:27], v[26:27], v[32:33]
	v_add_f64 v[28:29], v[28:29], v[42:43]
	global_store_b128 v[30:31], v[26:29], off
.LBB108_57:                             ;   in Loop: Header=BB108_4 Depth=1
	s_or_b32 exec_lo, exec_lo, s5
	s_and_b32 s5, s3, vcc_lo
	s_delay_alu instid0(SALU_CYCLE_1)
	s_and_saveexec_b32 s4, s5
	s_cbranch_execz .LBB108_59
; %bb.58:                               ;   in Loop: Header=BB108_4 Depth=1
	v_lshlrev_b64 v[26:27], 4, v[8:9]
	v_mul_f64 v[30:31], s[18:19], v[36:37]
	v_mul_f64 v[32:33], s[16:17], v[36:37]
	s_delay_alu instid0(VALU_DEP_3) | instskip(NEXT) | instid1(VALU_DEP_4)
	v_add_co_u32 v2, vcc_lo, v2, v26
	v_add_co_ci_u32_e32 v3, vcc_lo, v3, v27, vcc_lo
	global_load_b128 v[26:29], v[2:3], off
	v_fma_f64 v[30:31], s[16:17], v[34:35], -v[30:31]
	v_fma_f64 v[32:33], s[18:19], v[34:35], v[32:33]
	s_waitcnt vmcnt(0)
	s_delay_alu instid0(VALU_DEP_2) | instskip(NEXT) | instid1(VALU_DEP_2)
	v_add_f64 v[26:27], v[26:27], v[30:31]
	v_add_f64 v[28:29], v[28:29], v[32:33]
	global_store_b128 v[2:3], v[26:29], off
.LBB108_59:                             ;   in Loop: Header=BB108_4 Depth=1
	s_or_b32 exec_lo, exec_lo, s4
	v_add_nc_u32_e32 v21, 16, v66
	s_delay_alu instid0(VALU_DEP_1) | instskip(SKIP_3) | instid1(VALU_DEP_4)
	v_ashrrev_i32_e32 v26, 31, v21
	v_mul_lo_u32 v27, v21, s45
	v_mad_u64_u32 v[2:3], null, v21, s44, 0
	v_cmp_gt_i32_e32 vcc_lo, s10, v21
	v_mul_lo_u32 v26, v26, s44
	s_delay_alu instid0(VALU_DEP_1) | instskip(NEXT) | instid1(VALU_DEP_1)
	v_add3_u32 v3, v3, v27, v26
	v_lshlrev_b64 v[2:3], 4, v[2:3]
	s_delay_alu instid0(VALU_DEP_1) | instskip(NEXT) | instid1(VALU_DEP_1)
	v_add_co_u32 v2, s4, s42, v2
	v_add_co_ci_u32_e64 v3, s4, s43, v3, s4
	s_and_b32 s4, s1, vcc_lo
	s_delay_alu instid0(SALU_CYCLE_1)
	s_and_saveexec_b32 s5, s4
	s_cbranch_execz .LBB108_61
; %bb.60:                               ;   in Loop: Header=BB108_4 Depth=1
	v_add_co_u32 v30, s4, v2, v22
	s_delay_alu instid0(VALU_DEP_1)
	v_add_co_ci_u32_e64 v31, s4, v3, v23, s4
	v_mul_f64 v[32:33], s[18:19], v[40:41]
	v_mul_f64 v[34:35], s[16:17], v[40:41]
	global_load_b128 v[26:29], v[30:31], off
	v_fma_f64 v[32:33], s[16:17], v[38:39], -v[32:33]
	v_fma_f64 v[34:35], s[18:19], v[38:39], v[34:35]
	s_waitcnt vmcnt(0)
	s_delay_alu instid0(VALU_DEP_2) | instskip(NEXT) | instid1(VALU_DEP_2)
	v_add_f64 v[26:27], v[26:27], v[32:33]
	v_add_f64 v[28:29], v[28:29], v[34:35]
	global_store_b128 v[30:31], v[26:29], off
.LBB108_61:                             ;   in Loop: Header=BB108_4 Depth=1
	s_or_b32 exec_lo, exec_lo, s5
	s_and_b32 s5, s3, vcc_lo
	s_delay_alu instid0(SALU_CYCLE_1)
	s_and_saveexec_b32 s4, s5
	s_cbranch_execz .LBB108_3
; %bb.62:                               ;   in Loop: Header=BB108_4 Depth=1
	v_lshlrev_b64 v[26:27], 4, v[8:9]
	v_mul_f64 v[30:31], s[18:19], v[46:47]
	v_mul_f64 v[32:33], s[16:17], v[46:47]
	s_delay_alu instid0(VALU_DEP_3) | instskip(NEXT) | instid1(VALU_DEP_4)
	v_add_co_u32 v2, vcc_lo, v2, v26
	v_add_co_ci_u32_e32 v3, vcc_lo, v3, v27, vcc_lo
	global_load_b128 v[26:29], v[2:3], off
	v_fma_f64 v[30:31], s[16:17], v[48:49], -v[30:31]
	v_fma_f64 v[32:33], s[18:19], v[48:49], v[32:33]
	s_waitcnt vmcnt(0)
	s_delay_alu instid0(VALU_DEP_2) | instskip(NEXT) | instid1(VALU_DEP_2)
	v_add_f64 v[26:27], v[26:27], v[30:31]
	v_add_f64 v[28:29], v[28:29], v[32:33]
	global_store_b128 v[2:3], v[26:29], off
	s_branch .LBB108_3
.LBB108_63:
	s_nop 0
	s_sendmsg sendmsg(MSG_DEALLOC_VGPRS)
	s_endpgm
	.section	.rodata,"a",@progbits
	.p2align	6, 0x0
	.amdhsa_kernel _ZL30rocblas_trmm_outofplace_kernelI19rocblas_complex_numIdELi32ELi2ELb1ELb0ELb0ELb0EPKS1_S2_S1_Ev17rocblas_diagonal_iiT6_lPT7_lllS7_lllPT8_llli
		.amdhsa_group_segment_fixed_size 32768
		.amdhsa_private_segment_fixed_size 0
		.amdhsa_kernarg_size 392
		.amdhsa_user_sgpr_count 13
		.amdhsa_user_sgpr_dispatch_ptr 0
		.amdhsa_user_sgpr_queue_ptr 0
		.amdhsa_user_sgpr_kernarg_segment_ptr 1
		.amdhsa_user_sgpr_dispatch_id 0
		.amdhsa_user_sgpr_private_segment_size 0
		.amdhsa_wavefront_size32 1
		.amdhsa_uses_dynamic_stack 0
		.amdhsa_enable_private_segment 0
		.amdhsa_system_sgpr_workgroup_id_x 1
		.amdhsa_system_sgpr_workgroup_id_y 1
		.amdhsa_system_sgpr_workgroup_id_z 1
		.amdhsa_system_sgpr_workgroup_info 0
		.amdhsa_system_vgpr_workitem_id 1
		.amdhsa_next_free_vgpr 88
		.amdhsa_next_free_sgpr 50
		.amdhsa_reserve_vcc 1
		.amdhsa_float_round_mode_32 0
		.amdhsa_float_round_mode_16_64 0
		.amdhsa_float_denorm_mode_32 3
		.amdhsa_float_denorm_mode_16_64 3
		.amdhsa_dx10_clamp 1
		.amdhsa_ieee_mode 1
		.amdhsa_fp16_overflow 0
		.amdhsa_workgroup_processor_mode 1
		.amdhsa_memory_ordered 1
		.amdhsa_forward_progress 0
		.amdhsa_shared_vgpr_count 0
		.amdhsa_exception_fp_ieee_invalid_op 0
		.amdhsa_exception_fp_denorm_src 0
		.amdhsa_exception_fp_ieee_div_zero 0
		.amdhsa_exception_fp_ieee_overflow 0
		.amdhsa_exception_fp_ieee_underflow 0
		.amdhsa_exception_fp_ieee_inexact 0
		.amdhsa_exception_int_div_zero 0
	.end_amdhsa_kernel
	.section	.text._ZL30rocblas_trmm_outofplace_kernelI19rocblas_complex_numIdELi32ELi2ELb1ELb0ELb0ELb0EPKS1_S2_S1_Ev17rocblas_diagonal_iiT6_lPT7_lllS7_lllPT8_llli,"axG",@progbits,_ZL30rocblas_trmm_outofplace_kernelI19rocblas_complex_numIdELi32ELi2ELb1ELb0ELb0ELb0EPKS1_S2_S1_Ev17rocblas_diagonal_iiT6_lPT7_lllS7_lllPT8_llli,comdat
.Lfunc_end108:
	.size	_ZL30rocblas_trmm_outofplace_kernelI19rocblas_complex_numIdELi32ELi2ELb1ELb0ELb0ELb0EPKS1_S2_S1_Ev17rocblas_diagonal_iiT6_lPT7_lllS7_lllPT8_llli, .Lfunc_end108-_ZL30rocblas_trmm_outofplace_kernelI19rocblas_complex_numIdELi32ELi2ELb1ELb0ELb0ELb0EPKS1_S2_S1_Ev17rocblas_diagonal_iiT6_lPT7_lllS7_lllPT8_llli
                                        ; -- End function
	.section	.AMDGPU.csdata,"",@progbits
; Kernel info:
; codeLenInByte = 11504
; NumSgprs: 52
; NumVgprs: 88
; ScratchSize: 0
; MemoryBound: 0
; FloatMode: 240
; IeeeMode: 1
; LDSByteSize: 32768 bytes/workgroup (compile time only)
; SGPRBlocks: 6
; VGPRBlocks: 10
; NumSGPRsForWavesPerEU: 52
; NumVGPRsForWavesPerEU: 88
; Occupancy: 16
; WaveLimiterHint : 0
; COMPUTE_PGM_RSRC2:SCRATCH_EN: 0
; COMPUTE_PGM_RSRC2:USER_SGPR: 13
; COMPUTE_PGM_RSRC2:TRAP_HANDLER: 0
; COMPUTE_PGM_RSRC2:TGID_X_EN: 1
; COMPUTE_PGM_RSRC2:TGID_Y_EN: 1
; COMPUTE_PGM_RSRC2:TGID_Z_EN: 1
; COMPUTE_PGM_RSRC2:TIDIG_COMP_CNT: 1
	.section	.text._ZL30rocblas_trmm_outofplace_kernelI19rocblas_complex_numIdELi32ELi2ELb1ELb0ELb0ELb0ES1_KS1_S1_Ev17rocblas_diagonal_iiT6_lPT7_lllS6_lllPT8_llli,"axG",@progbits,_ZL30rocblas_trmm_outofplace_kernelI19rocblas_complex_numIdELi32ELi2ELb1ELb0ELb0ELb0ES1_KS1_S1_Ev17rocblas_diagonal_iiT6_lPT7_lllS6_lllPT8_llli,comdat
	.globl	_ZL30rocblas_trmm_outofplace_kernelI19rocblas_complex_numIdELi32ELi2ELb1ELb0ELb0ELb0ES1_KS1_S1_Ev17rocblas_diagonal_iiT6_lPT7_lllS6_lllPT8_llli ; -- Begin function _ZL30rocblas_trmm_outofplace_kernelI19rocblas_complex_numIdELi32ELi2ELb1ELb0ELb0ELb0ES1_KS1_S1_Ev17rocblas_diagonal_iiT6_lPT7_lllS6_lllPT8_llli
	.p2align	8
	.type	_ZL30rocblas_trmm_outofplace_kernelI19rocblas_complex_numIdELi32ELi2ELb1ELb0ELb0ELb0ES1_KS1_S1_Ev17rocblas_diagonal_iiT6_lPT7_lllS6_lllPT8_llli,@function
_ZL30rocblas_trmm_outofplace_kernelI19rocblas_complex_numIdELi32ELi2ELb1ELb0ELb0ELb0ES1_KS1_S1_Ev17rocblas_diagonal_iiT6_lPT7_lllS6_lllPT8_llli: ; @_ZL30rocblas_trmm_outofplace_kernelI19rocblas_complex_numIdELi32ELi2ELb1ELb0ELb0ELb0ES1_KS1_S1_Ev17rocblas_diagonal_iiT6_lPT7_lllS6_lllPT8_llli
; %bb.0:
	s_load_b128 s[44:47], s[0:1], 0x10
	s_waitcnt lgkmcnt(0)
	v_cmp_eq_f64_e64 s2, s[44:45], 0
	v_cmp_eq_f64_e64 s3, s[46:47], 0
	s_delay_alu instid0(VALU_DEP_1) | instskip(NEXT) | instid1(SALU_CYCLE_1)
	s_and_b32 s2, s2, s3
	s_and_b32 vcc_lo, exec_lo, s2
	s_cbranch_vccnz .LBB109_63
; %bb.1:
	s_load_b128 s[8:11], s[0:1], 0x0
	s_waitcnt lgkmcnt(0)
	s_add_i32 s2, s10, -1
	s_delay_alu instid0(SALU_CYCLE_1) | instskip(NEXT) | instid1(SALU_CYCLE_1)
	s_ashr_i32 s3, s2, 31
	s_lshr_b32 s3, s3, 27
	s_delay_alu instid0(SALU_CYCLE_1) | instskip(NEXT) | instid1(SALU_CYCLE_1)
	s_add_i32 s2, s2, s3
	s_ashr_i32 s11, s2, 5
	s_delay_alu instid0(SALU_CYCLE_1)
	s_cmp_gt_i32 s14, s11
	s_cbranch_scc1 .LBB109_63
; %bb.2:
	s_clause 0x2
	s_load_b256 s[36:43], s[0:1], 0x68
	s_load_b512 s[16:31], s[0:1], 0x28
	s_load_b32 s33, s[0:1], 0x94
	v_and_b32_e32 v55, 0x3ff, v0
	v_bfe_u32 v54, v0, 10, 10
	v_mov_b32_e32 v0, 0
	s_mov_b32 s12, s9
	s_delay_alu instid0(VALU_DEP_2) | instskip(SKIP_2) | instid1(VALU_DEP_2)
	v_lshl_add_u32 v23, v54, 4, 0x100
	v_lshlrev_b32_e32 v1, 9, v54
	v_lshl_add_u32 v20, s14, 5, v54
	v_add_nc_u32_e32 v58, 0x4000, v1
	s_waitcnt lgkmcnt(0)
	s_mul_i32 s1, s15, s43
	s_mul_hi_u32 s2, s15, s42
	s_mul_i32 s0, s15, s42
	s_add_i32 s1, s2, s1
	s_mul_i32 s4, s31, s15
	s_lshl_b64 s[0:1], s[0:1], 4
	s_mul_hi_u32 s5, s30, s15
	s_add_u32 s2, s36, s0
	s_addc_u32 s3, s37, s1
	s_lshl_b64 s[0:1], s[38:39], 4
	s_delay_alu instid0(SALU_CYCLE_1)
	s_add_u32 s38, s2, s0
	s_addc_u32 s39, s3, s1
	s_lshl_b32 s42, s13, 5
	s_cmp_gt_i32 s13, -1
	v_add_nc_u32_e32 v4, s42, v55
	s_cselect_b32 s43, -1, 0
	s_cmpk_eq_i32 s8, 0x84
	s_cselect_b32 s48, -1, 0
	s_ashr_i32 s13, s9, 31
	s_ashr_i32 s49, s10, 31
	s_lshl_b64 s[34:35], s[20:21], 9
	s_add_u32 s36, s9, -16
	s_addc_u32 s37, s13, -1
	s_add_i32 s5, s5, s4
	s_mul_i32 s4, s30, s15
	s_lshl_b64 s[6:7], s[26:27], 4
	s_lshl_b64 s[4:5], s[4:5], 4
	v_add_nc_u32_e32 v8, 16, v4
	s_add_u32 s4, s4, s6
	s_addc_u32 s5, s5, s7
	s_add_u32 s8, s24, s4
	s_addc_u32 s26, s25, s5
	s_mul_i32 s4, s23, s15
	s_mul_hi_u32 s5, s22, s15
	s_lshl_b64 s[6:7], s[18:19], 4
	s_add_i32 s5, s5, s4
	s_mul_i32 s4, s22, s15
	v_cmp_le_i32_e64 s0, s9, v4
	v_cmp_gt_i32_e64 s1, s9, v4
	v_cmp_gt_i32_e64 s3, s9, v8
	s_lshl_b64 s[24:25], s[28:29], 4
	s_lshl_b32 s9, s33, 5
	s_lshl_b64 s[4:5], s[4:5], 4
	s_add_u32 s6, s16, s6
	s_addc_u32 s7, s17, s7
	s_add_u32 s4, s6, s4
	s_addc_u32 s5, s7, s5
	v_ashrrev_i32_e32 v5, 31, v4
	v_mad_u64_u32 v[14:15], null, s20, v23, s[4:5]
	v_lshlrev_b32_e32 v56, 4, v55
	v_add_co_u32 v6, vcc_lo, v4, 16
	s_delay_alu instid0(VALU_DEP_4) | instskip(NEXT) | instid1(VALU_DEP_3)
	v_add_co_ci_u32_e32 v7, vcc_lo, 0, v5, vcc_lo
	v_add_nc_u32_e32 v57, v56, v1
	v_mad_u64_u32 v[1:2], null, s20, v54, 0
	v_sub_co_u32 v10, vcc_lo, v4, v54
	v_subrev_co_ci_u32_e32 v11, vcc_lo, 0, v5, vcc_lo
	v_cmp_le_i64_e64 s2, s[12:13], v[6:7]
	s_delay_alu instid0(VALU_DEP_3)
	v_add_co_u32 v12, vcc_lo, v10, 16
	v_mad_u64_u32 v[18:19], null, s21, v54, v[2:3]
	v_mov_b32_e32 v3, v15
	v_add_co_ci_u32_e32 v13, vcc_lo, 0, v11, vcc_lo
	v_add_co_u32 v16, vcc_lo, v10, -16
	v_add_co_ci_u32_e32 v17, vcc_lo, -1, v11, vcc_lo
	v_mov_b32_e32 v2, v18
	v_add_co_u32 v18, s6, s8, v56
	s_delay_alu instid0(VALU_DEP_1) | instskip(NEXT) | instid1(VALU_DEP_3)
	v_add_co_ci_u32_e64 v19, null, s26, 0, s6
	v_lshlrev_b64 v[1:2], 4, v[1:2]
	s_delay_alu instid0(VALU_DEP_3) | instskip(NEXT) | instid1(VALU_DEP_3)
	v_add_co_u32 v18, vcc_lo, 0x100, v18
	v_add_co_ci_u32_e32 v19, vcc_lo, 0, v19, vcc_lo
	v_add_nc_u32_e32 v59, 0x100, v57
	s_delay_alu instid0(VALU_DEP_4) | instskip(SKIP_2) | instid1(VALU_DEP_3)
	v_add_co_u32 v1, vcc_lo, s4, v1
	v_add_co_ci_u32_e32 v2, vcc_lo, s5, v2, vcc_lo
	v_add_nc_u32_e32 v60, 0x2000, v57
	v_add_co_u32 v24, vcc_lo, 0x100, v1
	v_mov_b32_e32 v1, 0x3ff00000
	v_mad_u64_u32 v[21:22], null, s21, v23, v[3:4]
	v_lshlrev_b64 v[22:23], 4, v[4:5]
	v_add_nc_u32_e32 v62, 0x2100, v57
	v_ashrrev_i32_e32 v9, 31, v8
	v_add_co_ci_u32_e32 v25, vcc_lo, 0, v2, vcc_lo
	v_mov_b32_e32 v15, v21
	v_add_nc_u32_e32 v61, v58, v56
	s_delay_alu instid0(VALU_DEP_1)
	v_add_nc_u32_e32 v63, 0x100, v61
	v_add_nc_u32_e32 v64, 0x2000, v61
	;; [unrolled: 1-line block ×3, first 2 shown]
	s_branch .LBB109_4
.LBB109_3:                              ;   in Loop: Header=BB109_4 Depth=1
	s_or_b32 exec_lo, exec_lo, s4
	v_add_nc_u32_e32 v20, s9, v20
	s_add_i32 s14, s33, s14
	s_delay_alu instid0(SALU_CYCLE_1)
	s_cmp_le_i32 s14, s11
	s_cbranch_scc0 .LBB109_63
.LBB109_4:                              ; =>This Loop Header: Depth=1
                                        ;     Child Loop BB109_7 Depth 2
	v_mov_b32_e32 v42, 0
	v_lshl_add_u32 v66, s14, 5, v54
	v_mov_b32_e32 v43, 0
	s_delay_alu instid0(VALU_DEP_3)
	v_mov_b32_e32 v34, v42
	v_mov_b32_e32 v36, v42
	;; [unrolled: 1-line block ×3, first 2 shown]
	v_ashrrev_i32_e32 v67, 31, v66
	v_mov_b32_e32 v39, v43
	v_dual_mov_b32 v45, v43 :: v_dual_mov_b32 v44, v42
	v_mov_b32_e32 v35, v43
	v_dual_mov_b32 v37, v43 :: v_dual_mov_b32 v40, v42
	v_mov_b32_e32 v41, v43
	v_dual_mov_b32 v49, v43 :: v_dual_mov_b32 v48, v42
	v_dual_mov_b32 v47, v43 :: v_dual_mov_b32 v46, v42
	s_and_not1_b32 vcc_lo, exec_lo, s43
	s_mov_b64 s[16:17], 0
	s_cbranch_vccnz .LBB109_55
; %bb.5:                                ;   in Loop: Header=BB109_4 Depth=1
	v_ashrrev_i32_e32 v21, 31, v20
	v_mad_u64_u32 v[26:27], null, s24, v20, v[18:19]
	v_mul_lo_u32 v34, s25, v20
	v_mov_b32_e32 v46, 0
	s_delay_alu instid0(VALU_DEP_4) | instskip(SKIP_3) | instid1(VALU_DEP_4)
	v_lshlrev_b64 v[2:3], 4, v[20:21]
	v_mul_lo_u32 v21, s24, v21
	v_mov_b32_e32 v47, 0
	v_dual_mov_b32 v33, v25 :: v_dual_mov_b32 v32, v24
	v_add_co_u32 v30, vcc_lo, 0x100, v2
	v_add_co_ci_u32_e32 v28, vcc_lo, 0, v3, vcc_lo
	v_sub_co_u32 v2, vcc_lo, s10, v66
	s_delay_alu instid0(VALU_DEP_3) | instskip(NEXT) | instid1(VALU_DEP_3)
	v_mul_lo_u32 v36, s29, v30
	v_mul_lo_u32 v35, s28, v28
	v_mad_u64_u32 v[28:29], null, s28, v30, v[18:19]
	v_sub_co_ci_u32_e32 v3, vcc_lo, s49, v67, vcc_lo
	v_dual_mov_b32 v31, v15 :: v_dual_mov_b32 v30, v14
	v_add3_u32 v27, v34, v27, v21
	s_delay_alu instid0(VALU_DEP_3)
	v_cmp_lt_i64_e32 vcc_lo, 0, v[2:3]
	v_cmp_lt_i64_e64 s4, 16, v[2:3]
	v_add3_u32 v29, v36, v29, v35
	v_dual_mov_b32 v49, v47 :: v_dual_mov_b32 v48, v46
	v_dual_mov_b32 v40, v46 :: v_dual_mov_b32 v41, v47
	;; [unrolled: 1-line block ×7, first 2 shown]
	s_branch .LBB109_7
.LBB109_6:                              ;   in Loop: Header=BB109_7 Depth=2
	s_or_b32 exec_lo, exec_lo, s5
	s_waitcnt lgkmcnt(0)
	s_waitcnt_vscnt null, 0x0
	s_barrier
	buffer_gl0_inv
	ds_load_b128 v[50:53], v58
	ds_load_b128 v[68:71], v58 offset:16
	ds_load_b128 v[72:75], v58 offset:32
	;; [unrolled: 1-line block ×3, first 2 shown]
	ds_load_b128 v[80:83], v56
	v_add_co_u32 v26, s5, 0x200, v26
	s_delay_alu instid0(VALU_DEP_1) | instskip(SKIP_1) | instid1(VALU_DEP_1)
	v_add_co_ci_u32_e64 v27, s5, 0, v27, s5
	v_add_co_u32 v32, s5, v32, s34
	v_add_co_ci_u32_e64 v33, s5, s35, v33, s5
	v_add_co_u32 v30, s5, v30, s34
	s_delay_alu instid0(VALU_DEP_1)
	v_add_co_ci_u32_e64 v31, s5, s35, v31, s5
	v_add_co_u32 v28, s5, 0x200, v28
	s_add_u32 s16, s16, 32
	v_add_co_ci_u32_e64 v29, s5, 0, v29, s5
	s_addc_u32 s17, s17, 0
	s_sub_i32 s6, s16, 32
	s_waitcnt lgkmcnt(0)
	v_mul_f64 v[2:3], v[52:53], v[82:83]
	v_mul_f64 v[84:85], v[50:51], v[82:83]
	s_cmp_ge_i32 s6, s42
	s_delay_alu instid0(VALU_DEP_2) | instskip(NEXT) | instid1(VALU_DEP_2)
	v_fma_f64 v[2:3], v[50:51], v[80:81], -v[2:3]
	v_fma_f64 v[84:85], v[52:53], v[80:81], v[84:85]
	s_delay_alu instid0(VALU_DEP_2) | instskip(NEXT) | instid1(VALU_DEP_2)
	v_add_f64 v[2:3], v[42:43], v[2:3]
	v_add_f64 v[84:85], v[44:45], v[84:85]
	ds_load_b128 v[42:45], v56 offset:256
	s_waitcnt lgkmcnt(0)
	v_mul_f64 v[86:87], v[52:53], v[44:45]
	s_delay_alu instid0(VALU_DEP_1) | instskip(SKIP_1) | instid1(VALU_DEP_1)
	v_fma_f64 v[86:87], v[50:51], v[42:43], -v[86:87]
	v_mul_f64 v[50:51], v[50:51], v[44:45]
	v_fma_f64 v[50:51], v[52:53], v[42:43], v[50:51]
	s_delay_alu instid0(VALU_DEP_3) | instskip(NEXT) | instid1(VALU_DEP_2)
	v_add_f64 v[52:53], v[34:35], v[86:87]
	v_add_f64 v[50:51], v[36:37], v[50:51]
	ds_load_b128 v[34:37], v58 offset:8192
	s_waitcnt lgkmcnt(0)
	v_mul_f64 v[86:87], v[36:37], v[82:83]
	v_mul_f64 v[82:83], v[34:35], v[82:83]
	s_delay_alu instid0(VALU_DEP_2) | instskip(NEXT) | instid1(VALU_DEP_2)
	v_fma_f64 v[86:87], v[34:35], v[80:81], -v[86:87]
	v_fma_f64 v[80:81], v[36:37], v[80:81], v[82:83]
	s_delay_alu instid0(VALU_DEP_2) | instskip(SKIP_1) | instid1(VALU_DEP_3)
	v_add_f64 v[82:83], v[38:39], v[86:87]
	v_mul_f64 v[38:39], v[36:37], v[44:45]
	v_add_f64 v[80:81], v[40:41], v[80:81]
	s_delay_alu instid0(VALU_DEP_2) | instskip(SKIP_1) | instid1(VALU_DEP_2)
	v_fma_f64 v[38:39], v[34:35], v[42:43], -v[38:39]
	v_mul_f64 v[34:35], v[34:35], v[44:45]
	v_add_f64 v[48:49], v[48:49], v[38:39]
	s_delay_alu instid0(VALU_DEP_2) | instskip(NEXT) | instid1(VALU_DEP_1)
	v_fma_f64 v[34:35], v[36:37], v[42:43], v[34:35]
	v_add_f64 v[46:47], v[46:47], v[34:35]
	ds_load_b128 v[34:37], v56 offset:512
	s_waitcnt lgkmcnt(0)
	v_mul_f64 v[38:39], v[70:71], v[36:37]
	v_mul_f64 v[40:41], v[68:69], v[36:37]
	s_delay_alu instid0(VALU_DEP_2) | instskip(NEXT) | instid1(VALU_DEP_2)
	v_fma_f64 v[38:39], v[68:69], v[34:35], -v[38:39]
	v_fma_f64 v[40:41], v[70:71], v[34:35], v[40:41]
	s_delay_alu instid0(VALU_DEP_2) | instskip(NEXT) | instid1(VALU_DEP_2)
	v_add_f64 v[2:3], v[2:3], v[38:39]
	v_add_f64 v[84:85], v[84:85], v[40:41]
	ds_load_b128 v[38:41], v56 offset:768
	s_waitcnt lgkmcnt(0)
	v_mul_f64 v[42:43], v[70:71], v[40:41]
	v_mul_f64 v[44:45], v[68:69], v[40:41]
	s_delay_alu instid0(VALU_DEP_2) | instskip(NEXT) | instid1(VALU_DEP_2)
	v_fma_f64 v[42:43], v[68:69], v[38:39], -v[42:43]
	v_fma_f64 v[44:45], v[70:71], v[38:39], v[44:45]
	s_delay_alu instid0(VALU_DEP_2) | instskip(NEXT) | instid1(VALU_DEP_2)
	v_add_f64 v[52:53], v[52:53], v[42:43]
	v_add_f64 v[50:51], v[50:51], v[44:45]
	ds_load_b128 v[42:45], v58 offset:8208
	s_waitcnt lgkmcnt(0)
	v_mul_f64 v[68:69], v[44:45], v[36:37]
	v_mul_f64 v[36:37], v[42:43], v[36:37]
	s_delay_alu instid0(VALU_DEP_2) | instskip(NEXT) | instid1(VALU_DEP_2)
	v_fma_f64 v[68:69], v[42:43], v[34:35], -v[68:69]
	v_fma_f64 v[34:35], v[44:45], v[34:35], v[36:37]
	v_mul_f64 v[36:37], v[42:43], v[40:41]
	s_delay_alu instid0(VALU_DEP_3) | instskip(NEXT) | instid1(VALU_DEP_3)
	v_add_f64 v[68:69], v[82:83], v[68:69]
	v_add_f64 v[70:71], v[80:81], v[34:35]
	v_mul_f64 v[34:35], v[44:45], v[40:41]
	s_delay_alu instid0(VALU_DEP_4) | instskip(NEXT) | instid1(VALU_DEP_2)
	v_fma_f64 v[36:37], v[44:45], v[38:39], v[36:37]
	v_fma_f64 v[34:35], v[42:43], v[38:39], -v[34:35]
	s_delay_alu instid0(VALU_DEP_2) | instskip(NEXT) | instid1(VALU_DEP_2)
	v_add_f64 v[46:47], v[46:47], v[36:37]
	v_add_f64 v[48:49], v[48:49], v[34:35]
	ds_load_b128 v[34:37], v56 offset:1024
	s_waitcnt lgkmcnt(0)
	v_mul_f64 v[38:39], v[74:75], v[36:37]
	v_mul_f64 v[40:41], v[72:73], v[36:37]
	s_delay_alu instid0(VALU_DEP_2) | instskip(NEXT) | instid1(VALU_DEP_2)
	v_fma_f64 v[38:39], v[72:73], v[34:35], -v[38:39]
	v_fma_f64 v[40:41], v[74:75], v[34:35], v[40:41]
	s_delay_alu instid0(VALU_DEP_2) | instskip(NEXT) | instid1(VALU_DEP_2)
	v_add_f64 v[2:3], v[2:3], v[38:39]
	v_add_f64 v[80:81], v[84:85], v[40:41]
	ds_load_b128 v[38:41], v56 offset:1280
	s_waitcnt lgkmcnt(0)
	v_mul_f64 v[42:43], v[74:75], v[40:41]
	v_mul_f64 v[44:45], v[72:73], v[40:41]
	s_delay_alu instid0(VALU_DEP_2) | instskip(NEXT) | instid1(VALU_DEP_2)
	v_fma_f64 v[42:43], v[72:73], v[38:39], -v[42:43]
	v_fma_f64 v[44:45], v[74:75], v[38:39], v[44:45]
	s_delay_alu instid0(VALU_DEP_2) | instskip(NEXT) | instid1(VALU_DEP_2)
	v_add_f64 v[52:53], v[52:53], v[42:43]
	v_add_f64 v[50:51], v[50:51], v[44:45]
	ds_load_b128 v[42:45], v58 offset:8224
	s_waitcnt lgkmcnt(0)
	v_mul_f64 v[72:73], v[44:45], v[36:37]
	v_mul_f64 v[36:37], v[42:43], v[36:37]
	s_delay_alu instid0(VALU_DEP_2) | instskip(NEXT) | instid1(VALU_DEP_2)
	v_fma_f64 v[72:73], v[42:43], v[34:35], -v[72:73]
	v_fma_f64 v[34:35], v[44:45], v[34:35], v[36:37]
	v_mul_f64 v[36:37], v[42:43], v[40:41]
	s_delay_alu instid0(VALU_DEP_3) | instskip(NEXT) | instid1(VALU_DEP_3)
	v_add_f64 v[68:69], v[68:69], v[72:73]
	v_add_f64 v[70:71], v[70:71], v[34:35]
	v_mul_f64 v[34:35], v[44:45], v[40:41]
	s_delay_alu instid0(VALU_DEP_4) | instskip(NEXT) | instid1(VALU_DEP_2)
	v_fma_f64 v[36:37], v[44:45], v[38:39], v[36:37]
	v_fma_f64 v[34:35], v[42:43], v[38:39], -v[34:35]
	s_delay_alu instid0(VALU_DEP_2) | instskip(NEXT) | instid1(VALU_DEP_2)
	v_add_f64 v[46:47], v[46:47], v[36:37]
	;; [unrolled: 38-line block ×3, first 2 shown]
	v_add_f64 v[48:49], v[48:49], v[34:35]
	ds_load_b128 v[34:37], v58 offset:64
	ds_load_b128 v[38:41], v56 offset:2048
	s_waitcnt lgkmcnt(0)
	v_mul_f64 v[42:43], v[36:37], v[40:41]
	v_mul_f64 v[44:45], v[34:35], v[40:41]
	s_delay_alu instid0(VALU_DEP_2) | instskip(NEXT) | instid1(VALU_DEP_2)
	v_fma_f64 v[42:43], v[34:35], v[38:39], -v[42:43]
	v_fma_f64 v[44:45], v[36:37], v[38:39], v[44:45]
	s_delay_alu instid0(VALU_DEP_2) | instskip(NEXT) | instid1(VALU_DEP_2)
	v_add_f64 v[2:3], v[2:3], v[42:43]
	v_add_f64 v[72:73], v[72:73], v[44:45]
	ds_load_b128 v[42:45], v56 offset:2304
	s_waitcnt lgkmcnt(0)
	v_mul_f64 v[74:75], v[36:37], v[44:45]
	s_delay_alu instid0(VALU_DEP_1) | instskip(SKIP_1) | instid1(VALU_DEP_2)
	v_fma_f64 v[74:75], v[34:35], v[42:43], -v[74:75]
	v_mul_f64 v[34:35], v[34:35], v[44:45]
	v_add_f64 v[52:53], v[52:53], v[74:75]
	s_delay_alu instid0(VALU_DEP_2) | instskip(NEXT) | instid1(VALU_DEP_1)
	v_fma_f64 v[34:35], v[36:37], v[42:43], v[34:35]
	v_add_f64 v[50:51], v[50:51], v[34:35]
	ds_load_b128 v[34:37], v58 offset:8256
	s_waitcnt lgkmcnt(0)
	v_mul_f64 v[74:75], v[36:37], v[40:41]
	v_mul_f64 v[40:41], v[34:35], v[40:41]
	s_delay_alu instid0(VALU_DEP_2) | instskip(NEXT) | instid1(VALU_DEP_2)
	v_fma_f64 v[74:75], v[34:35], v[38:39], -v[74:75]
	v_fma_f64 v[38:39], v[36:37], v[38:39], v[40:41]
	s_delay_alu instid0(VALU_DEP_2) | instskip(NEXT) | instid1(VALU_DEP_2)
	v_add_f64 v[68:69], v[68:69], v[74:75]
	v_add_f64 v[70:71], v[70:71], v[38:39]
	v_mul_f64 v[38:39], v[36:37], v[44:45]
	s_delay_alu instid0(VALU_DEP_1) | instskip(SKIP_1) | instid1(VALU_DEP_2)
	v_fma_f64 v[38:39], v[34:35], v[42:43], -v[38:39]
	v_mul_f64 v[34:35], v[34:35], v[44:45]
	v_add_f64 v[48:49], v[48:49], v[38:39]
	s_delay_alu instid0(VALU_DEP_2) | instskip(NEXT) | instid1(VALU_DEP_1)
	v_fma_f64 v[34:35], v[36:37], v[42:43], v[34:35]
	v_add_f64 v[46:47], v[46:47], v[34:35]
	ds_load_b128 v[34:37], v58 offset:80
	ds_load_b128 v[38:41], v56 offset:2560
	s_waitcnt lgkmcnt(0)
	v_mul_f64 v[42:43], v[36:37], v[40:41]
	v_mul_f64 v[44:45], v[34:35], v[40:41]
	s_delay_alu instid0(VALU_DEP_2) | instskip(NEXT) | instid1(VALU_DEP_2)
	v_fma_f64 v[42:43], v[34:35], v[38:39], -v[42:43]
	v_fma_f64 v[44:45], v[36:37], v[38:39], v[44:45]
	s_delay_alu instid0(VALU_DEP_2) | instskip(NEXT) | instid1(VALU_DEP_2)
	v_add_f64 v[2:3], v[2:3], v[42:43]
	v_add_f64 v[72:73], v[72:73], v[44:45]
	ds_load_b128 v[42:45], v56 offset:2816
	s_waitcnt lgkmcnt(0)
	v_mul_f64 v[74:75], v[36:37], v[44:45]
	s_delay_alu instid0(VALU_DEP_1) | instskip(SKIP_1) | instid1(VALU_DEP_2)
	v_fma_f64 v[74:75], v[34:35], v[42:43], -v[74:75]
	v_mul_f64 v[34:35], v[34:35], v[44:45]
	v_add_f64 v[52:53], v[52:53], v[74:75]
	s_delay_alu instid0(VALU_DEP_2) | instskip(NEXT) | instid1(VALU_DEP_1)
	v_fma_f64 v[34:35], v[36:37], v[42:43], v[34:35]
	v_add_f64 v[50:51], v[50:51], v[34:35]
	ds_load_b128 v[34:37], v58 offset:8272
	s_waitcnt lgkmcnt(0)
	v_mul_f64 v[74:75], v[36:37], v[40:41]
	v_mul_f64 v[40:41], v[34:35], v[40:41]
	s_delay_alu instid0(VALU_DEP_2) | instskip(NEXT) | instid1(VALU_DEP_2)
	v_fma_f64 v[74:75], v[34:35], v[38:39], -v[74:75]
	v_fma_f64 v[38:39], v[36:37], v[38:39], v[40:41]
	s_delay_alu instid0(VALU_DEP_2) | instskip(NEXT) | instid1(VALU_DEP_2)
	v_add_f64 v[68:69], v[68:69], v[74:75]
	v_add_f64 v[70:71], v[70:71], v[38:39]
	v_mul_f64 v[38:39], v[36:37], v[44:45]
	s_delay_alu instid0(VALU_DEP_1) | instskip(SKIP_1) | instid1(VALU_DEP_2)
	v_fma_f64 v[38:39], v[34:35], v[42:43], -v[38:39]
	v_mul_f64 v[34:35], v[34:35], v[44:45]
	v_add_f64 v[48:49], v[48:49], v[38:39]
	s_delay_alu instid0(VALU_DEP_2) | instskip(NEXT) | instid1(VALU_DEP_1)
	v_fma_f64 v[34:35], v[36:37], v[42:43], v[34:35]
	;; [unrolled: 39-line block ×26, first 2 shown]
	v_add_f64 v[46:47], v[46:47], v[34:35]
	ds_load_b128 v[34:37], v58 offset:480
	ds_load_b128 v[38:41], v56 offset:15360
	s_waitcnt lgkmcnt(0)
	v_mul_f64 v[42:43], v[36:37], v[40:41]
	v_mul_f64 v[44:45], v[34:35], v[40:41]
	s_delay_alu instid0(VALU_DEP_2) | instskip(NEXT) | instid1(VALU_DEP_2)
	v_fma_f64 v[42:43], v[34:35], v[38:39], -v[42:43]
	v_fma_f64 v[44:45], v[36:37], v[38:39], v[44:45]
	s_delay_alu instid0(VALU_DEP_2) | instskip(NEXT) | instid1(VALU_DEP_2)
	v_add_f64 v[74:75], v[2:3], v[42:43]
	v_add_f64 v[72:73], v[72:73], v[44:45]
	ds_load_b128 v[42:45], v56 offset:15616
	s_waitcnt lgkmcnt(0)
	v_mul_f64 v[2:3], v[36:37], v[44:45]
	s_delay_alu instid0(VALU_DEP_1) | instskip(SKIP_1) | instid1(VALU_DEP_2)
	v_fma_f64 v[2:3], v[34:35], v[42:43], -v[2:3]
	v_mul_f64 v[34:35], v[34:35], v[44:45]
	v_add_f64 v[52:53], v[52:53], v[2:3]
	s_delay_alu instid0(VALU_DEP_2) | instskip(NEXT) | instid1(VALU_DEP_1)
	v_fma_f64 v[34:35], v[36:37], v[42:43], v[34:35]
	v_add_f64 v[76:77], v[50:51], v[34:35]
	ds_load_b128 v[34:37], v58 offset:8672
	s_waitcnt lgkmcnt(0)
	v_mul_f64 v[2:3], v[36:37], v[40:41]
	v_mul_f64 v[40:41], v[34:35], v[40:41]
	s_delay_alu instid0(VALU_DEP_2) | instskip(NEXT) | instid1(VALU_DEP_2)
	v_fma_f64 v[2:3], v[34:35], v[38:39], -v[2:3]
	v_fma_f64 v[38:39], v[36:37], v[38:39], v[40:41]
	s_delay_alu instid0(VALU_DEP_2) | instskip(SKIP_1) | instid1(VALU_DEP_3)
	v_add_f64 v[78:79], v[68:69], v[2:3]
	v_mul_f64 v[2:3], v[36:37], v[44:45]
	v_add_f64 v[80:81], v[70:71], v[38:39]
	s_delay_alu instid0(VALU_DEP_2) | instskip(SKIP_1) | instid1(VALU_DEP_2)
	v_fma_f64 v[2:3], v[34:35], v[42:43], -v[2:3]
	v_mul_f64 v[34:35], v[34:35], v[44:45]
	v_add_f64 v[2:3], v[48:49], v[2:3]
	s_delay_alu instid0(VALU_DEP_2) | instskip(NEXT) | instid1(VALU_DEP_1)
	v_fma_f64 v[34:35], v[36:37], v[42:43], v[34:35]
	v_add_f64 v[46:47], v[46:47], v[34:35]
	ds_load_b128 v[34:37], v58 offset:496
	ds_load_b128 v[38:41], v56 offset:15872
	;; [unrolled: 1-line block ×3, first 2 shown]
	s_waitcnt lgkmcnt(1)
	v_mul_f64 v[42:43], v[36:37], v[40:41]
	s_waitcnt lgkmcnt(0)
	v_mul_f64 v[68:69], v[36:37], v[50:51]
	v_mul_f64 v[44:45], v[34:35], v[40:41]
	s_delay_alu instid0(VALU_DEP_3) | instskip(NEXT) | instid1(VALU_DEP_3)
	v_fma_f64 v[42:43], v[34:35], v[38:39], -v[42:43]
	v_fma_f64 v[68:69], v[34:35], v[48:49], -v[68:69]
	v_mul_f64 v[34:35], v[34:35], v[50:51]
	s_delay_alu instid0(VALU_DEP_4) | instskip(NEXT) | instid1(VALU_DEP_4)
	v_fma_f64 v[44:45], v[36:37], v[38:39], v[44:45]
	v_add_f64 v[42:43], v[74:75], v[42:43]
	s_delay_alu instid0(VALU_DEP_3)
	v_fma_f64 v[36:37], v[36:37], v[48:49], v[34:35]
	v_add_f64 v[34:35], v[52:53], v[68:69]
	ds_load_b128 v[68:71], v58 offset:8688
	v_add_f64 v[44:45], v[72:73], v[44:45]
	s_waitcnt lgkmcnt(0)
	s_barrier
	buffer_gl0_inv
	v_mul_f64 v[52:53], v[70:71], v[40:41]
	v_mul_f64 v[40:41], v[68:69], v[40:41]
	v_add_f64 v[36:37], v[76:77], v[36:37]
	s_delay_alu instid0(VALU_DEP_3) | instskip(NEXT) | instid1(VALU_DEP_3)
	v_fma_f64 v[52:53], v[68:69], v[38:39], -v[52:53]
	v_fma_f64 v[40:41], v[70:71], v[38:39], v[40:41]
	s_delay_alu instid0(VALU_DEP_2) | instskip(SKIP_2) | instid1(VALU_DEP_4)
	v_add_f64 v[38:39], v[78:79], v[52:53]
	v_mul_f64 v[52:53], v[70:71], v[50:51]
	v_mul_f64 v[50:51], v[68:69], v[50:51]
	v_add_f64 v[40:41], v[80:81], v[40:41]
	s_delay_alu instid0(VALU_DEP_3) | instskip(NEXT) | instid1(VALU_DEP_3)
	v_fma_f64 v[52:53], v[68:69], v[48:49], -v[52:53]
	v_fma_f64 v[50:51], v[70:71], v[48:49], v[50:51]
	s_delay_alu instid0(VALU_DEP_2) | instskip(NEXT) | instid1(VALU_DEP_2)
	v_add_f64 v[48:49], v[2:3], v[52:53]
	v_add_f64 v[46:47], v[46:47], v[50:51]
	s_cbranch_scc1 .LBB109_55
.LBB109_7:                              ;   Parent Loop BB109_4 Depth=1
                                        ; =>  This Inner Loop Header: Depth=2
	v_add_co_u32 v50, s5, v54, s16
	s_delay_alu instid0(VALU_DEP_1) | instskip(SKIP_1) | instid1(VALU_DEP_2)
	v_add_co_ci_u32_e64 v51, null, 0, s17, s5
	v_cmp_eq_u64_e64 s7, s[16:17], v[10:11]
	v_cmp_le_i64_e64 s6, s[12:13], v[50:51]
	v_cmp_gt_i64_e64 s5, v[50:51], v[4:5]
	s_delay_alu instid0(VALU_DEP_3) | instskip(NEXT) | instid1(VALU_DEP_1)
	s_and_b32 s18, s48, s7
	s_or_b32 s7, s6, s5
	s_delay_alu instid0(SALU_CYCLE_1) | instskip(SKIP_1) | instid1(VALU_DEP_1)
	s_or_b32 s8, s7, s18
	v_add_co_u32 v52, s7, v32, v22
	v_add_co_ci_u32_e64 v53, s7, v33, v23, s7
	s_or_b32 s7, s0, s8
	s_delay_alu instid0(SALU_CYCLE_1) | instskip(NEXT) | instid1(SALU_CYCLE_1)
	s_xor_b32 s7, s7, -1
	s_and_saveexec_b32 s8, s7
	s_delay_alu instid0(SALU_CYCLE_1)
	s_xor_b32 s7, exec_lo, s8
	s_cbranch_execz .LBB109_9
; %bb.8:                                ;   in Loop: Header=BB109_7 Depth=2
	global_load_b128 v[68:71], v[52:53], off offset:-256
	s_waitcnt vmcnt(0)
	ds_store_2addr_b64 v57, v[68:69], v[70:71] offset1:1
.LBB109_9:                              ;   in Loop: Header=BB109_7 Depth=2
	s_or_saveexec_b32 s7, s7
	s_xor_b32 s15, s18, -1
	s_xor_b32 exec_lo, exec_lo, s7
	s_cbranch_execz .LBB109_15
; %bb.10:                               ;   in Loop: Header=BB109_7 Depth=2
	s_and_saveexec_b32 s8, s15
	s_delay_alu instid0(SALU_CYCLE_1)
	s_xor_b32 s8, exec_lo, s8
	s_cbranch_execz .LBB109_12
; %bb.11:                               ;   in Loop: Header=BB109_7 Depth=2
	v_mov_b32_e32 v68, v0
	v_mov_b32_e32 v69, v0
	;; [unrolled: 1-line block ×4, first 2 shown]
	ds_store_b128 v57, v[68:71]
.LBB109_12:                             ;   in Loop: Header=BB109_7 Depth=2
	s_and_not1_saveexec_b32 s8, s8
	s_cbranch_execz .LBB109_14
; %bb.13:                               ;   in Loop: Header=BB109_7 Depth=2
	v_mov_b32_e32 v2, v0
	v_mov_b32_e32 v3, v0
	ds_store_b128 v57, v[0:3]
.LBB109_14:                             ;   in Loop: Header=BB109_7 Depth=2
	s_or_b32 exec_lo, exec_lo, s8
.LBB109_15:                             ;   in Loop: Header=BB109_7 Depth=2
	s_delay_alu instid0(SALU_CYCLE_1) | instskip(SKIP_2) | instid1(VALU_DEP_2)
	s_or_b32 exec_lo, exec_lo, s7
	v_cmp_eq_u64_e64 s7, s[16:17], v[12:13]
	v_cmp_lt_i64_e64 s8, v[6:7], v[50:51]
	s_and_b32 s7, s48, s7
	s_delay_alu instid0(VALU_DEP_1) | instskip(NEXT) | instid1(SALU_CYCLE_1)
	s_or_b32 s6, s6, s8
	s_or_b32 s6, s6, s7
	s_delay_alu instid0(SALU_CYCLE_1) | instskip(NEXT) | instid1(SALU_CYCLE_1)
	s_or_b32 s6, s2, s6
	s_xor_b32 s6, s6, -1
	s_delay_alu instid0(SALU_CYCLE_1) | instskip(NEXT) | instid1(SALU_CYCLE_1)
	s_and_saveexec_b32 s8, s6
	s_xor_b32 s6, exec_lo, s8
	s_cbranch_execz .LBB109_17
; %bb.16:                               ;   in Loop: Header=BB109_7 Depth=2
	global_load_b128 v[68:71], v[52:53], off
	s_waitcnt vmcnt(0)
	ds_store_2addr_b64 v59, v[68:69], v[70:71] offset1:1
.LBB109_17:                             ;   in Loop: Header=BB109_7 Depth=2
	s_and_not1_saveexec_b32 s6, s6
	s_cbranch_execz .LBB109_23
; %bb.18:                               ;   in Loop: Header=BB109_7 Depth=2
	s_xor_b32 s7, s7, -1
	s_delay_alu instid0(SALU_CYCLE_1) | instskip(NEXT) | instid1(SALU_CYCLE_1)
	s_and_saveexec_b32 s8, s7
	s_xor_b32 s7, exec_lo, s8
	s_cbranch_execz .LBB109_20
; %bb.19:                               ;   in Loop: Header=BB109_7 Depth=2
	v_mov_b32_e32 v68, v0
	v_mov_b32_e32 v69, v0
	;; [unrolled: 1-line block ×4, first 2 shown]
	ds_store_b128 v59, v[68:71]
.LBB109_20:                             ;   in Loop: Header=BB109_7 Depth=2
	s_and_not1_saveexec_b32 s7, s7
	s_cbranch_execz .LBB109_22
; %bb.21:                               ;   in Loop: Header=BB109_7 Depth=2
	v_mov_b32_e32 v2, v0
	v_mov_b32_e32 v3, v0
	ds_store_b128 v59, v[0:3]
.LBB109_22:                             ;   in Loop: Header=BB109_7 Depth=2
	s_or_b32 exec_lo, exec_lo, s7
.LBB109_23:                             ;   in Loop: Header=BB109_7 Depth=2
	s_delay_alu instid0(SALU_CYCLE_1) | instskip(SKIP_1) | instid1(VALU_DEP_1)
	s_or_b32 exec_lo, exec_lo, s6
	v_add_co_u32 v2, s6, v50, 16
	v_add_co_ci_u32_e64 v3, s6, 0, v51, s6
	v_cmp_eq_u64_e64 s7, s[16:17], v[16:17]
	s_delay_alu instid0(VALU_DEP_2) | instskip(SKIP_1) | instid1(VALU_DEP_3)
	v_cmp_le_i64_e64 s6, s[12:13], v[2:3]
	v_cmp_gt_i64_e64 s8, v[2:3], v[4:5]
	s_and_b32 s19, s48, s7
	s_delay_alu instid0(VALU_DEP_1) | instskip(NEXT) | instid1(SALU_CYCLE_1)
	s_or_b32 s7, s6, s8
	s_or_b32 s7, s7, s19
	s_delay_alu instid0(SALU_CYCLE_1) | instskip(NEXT) | instid1(SALU_CYCLE_1)
	s_or_b32 s7, s0, s7
	s_xor_b32 s7, s7, -1
	s_delay_alu instid0(SALU_CYCLE_1) | instskip(NEXT) | instid1(SALU_CYCLE_1)
	s_and_saveexec_b32 s8, s7
	s_xor_b32 s8, exec_lo, s8
	s_cbranch_execz .LBB109_25
; %bb.24:                               ;   in Loop: Header=BB109_7 Depth=2
	v_add_co_u32 v2, s7, v30, v22
	s_delay_alu instid0(VALU_DEP_1)
	v_add_co_ci_u32_e64 v3, s7, v31, v23, s7
	global_load_b128 v[50:53], v[2:3], off
	s_waitcnt vmcnt(0)
	ds_store_2addr_b64 v60, v[50:51], v[52:53] offset1:1
.LBB109_25:                             ;   in Loop: Header=BB109_7 Depth=2
	s_and_not1_saveexec_b32 s7, s8
	s_cbranch_execz .LBB109_31
; %bb.26:                               ;   in Loop: Header=BB109_7 Depth=2
	s_xor_b32 s8, s19, -1
	s_delay_alu instid0(SALU_CYCLE_1) | instskip(NEXT) | instid1(SALU_CYCLE_1)
	s_and_saveexec_b32 s19, s8
	s_xor_b32 s8, exec_lo, s19
	s_cbranch_execz .LBB109_28
; %bb.27:                               ;   in Loop: Header=BB109_7 Depth=2
	v_mov_b32_e32 v50, v0
	v_mov_b32_e32 v51, v0
	;; [unrolled: 1-line block ×4, first 2 shown]
	ds_store_b128 v60, v[50:53]
.LBB109_28:                             ;   in Loop: Header=BB109_7 Depth=2
	s_and_not1_saveexec_b32 s8, s8
	s_cbranch_execz .LBB109_30
; %bb.29:                               ;   in Loop: Header=BB109_7 Depth=2
	v_mov_b32_e32 v2, v0
	v_mov_b32_e32 v3, v0
	ds_store_b128 v60, v[0:3]
.LBB109_30:                             ;   in Loop: Header=BB109_7 Depth=2
	s_or_b32 exec_lo, exec_lo, s8
.LBB109_31:                             ;   in Loop: Header=BB109_7 Depth=2
	s_delay_alu instid0(SALU_CYCLE_1) | instskip(SKIP_1) | instid1(SALU_CYCLE_1)
	s_or_b32 exec_lo, exec_lo, s7
	s_or_b32 s5, s6, s5
	s_or_b32 s5, s5, s18
	s_delay_alu instid0(SALU_CYCLE_1) | instskip(NEXT) | instid1(SALU_CYCLE_1)
	s_or_b32 s5, s2, s5
	s_xor_b32 s5, s5, -1
	s_delay_alu instid0(SALU_CYCLE_1) | instskip(NEXT) | instid1(SALU_CYCLE_1)
	s_and_saveexec_b32 s6, s5
	s_xor_b32 s6, exec_lo, s6
	s_cbranch_execz .LBB109_33
; %bb.32:                               ;   in Loop: Header=BB109_7 Depth=2
	v_add_co_u32 v2, s5, v30, v22
	s_delay_alu instid0(VALU_DEP_1)
	v_add_co_ci_u32_e64 v3, s5, v31, v23, s5
	global_load_b128 v[50:53], v[2:3], off offset:256
	s_waitcnt vmcnt(0)
	ds_store_2addr_b64 v62, v[50:51], v[52:53] offset1:1
.LBB109_33:                             ;   in Loop: Header=BB109_7 Depth=2
	s_and_not1_saveexec_b32 s5, s6
	s_cbranch_execz .LBB109_39
; %bb.34:                               ;   in Loop: Header=BB109_7 Depth=2
	s_and_saveexec_b32 s6, s15
	s_delay_alu instid0(SALU_CYCLE_1)
	s_xor_b32 s6, exec_lo, s6
	s_cbranch_execz .LBB109_36
; %bb.35:                               ;   in Loop: Header=BB109_7 Depth=2
	v_mov_b32_e32 v50, v0
	v_mov_b32_e32 v51, v0
	;; [unrolled: 1-line block ×4, first 2 shown]
	ds_store_b128 v62, v[50:53]
.LBB109_36:                             ;   in Loop: Header=BB109_7 Depth=2
	s_and_not1_saveexec_b32 s6, s6
	s_cbranch_execz .LBB109_38
; %bb.37:                               ;   in Loop: Header=BB109_7 Depth=2
	v_mov_b32_e32 v2, v0
	v_mov_b32_e32 v3, v0
	ds_store_b128 v62, v[0:3]
.LBB109_38:                             ;   in Loop: Header=BB109_7 Depth=2
	s_or_b32 exec_lo, exec_lo, s6
.LBB109_39:                             ;   in Loop: Header=BB109_7 Depth=2
	s_delay_alu instid0(SALU_CYCLE_1) | instskip(SKIP_1) | instid1(VALU_DEP_1)
	s_or_b32 exec_lo, exec_lo, s5
	v_add_co_u32 v2, s5, v55, s16
	v_add_co_ci_u32_e64 v3, null, 0, s17, s5
	s_delay_alu instid0(VALU_DEP_1) | instskip(NEXT) | instid1(VALU_DEP_1)
	v_cmp_gt_i64_e64 s5, s[12:13], v[2:3]
	s_and_b32 s6, vcc_lo, s5
	s_delay_alu instid0(SALU_CYCLE_1) | instskip(NEXT) | instid1(SALU_CYCLE_1)
	s_xor_b32 s6, s6, -1
	s_and_saveexec_b32 s7, s6
	s_delay_alu instid0(SALU_CYCLE_1)
	s_xor_b32 s6, exec_lo, s7
	s_cbranch_execz .LBB109_41
; %bb.40:                               ;   in Loop: Header=BB109_7 Depth=2
	v_mov_b32_e32 v50, v0
	v_mov_b32_e32 v51, v0
	;; [unrolled: 1-line block ×4, first 2 shown]
	ds_store_b128 v61, v[50:53]
.LBB109_41:                             ;   in Loop: Header=BB109_7 Depth=2
	s_and_not1_saveexec_b32 s6, s6
	s_cbranch_execz .LBB109_43
; %bb.42:                               ;   in Loop: Header=BB109_7 Depth=2
	global_load_b128 v[50:53], v[26:27], off offset:-256
	s_waitcnt vmcnt(0)
	ds_store_2addr_b64 v61, v[50:51], v[52:53] offset1:1
.LBB109_43:                             ;   in Loop: Header=BB109_7 Depth=2
	s_or_b32 exec_lo, exec_lo, s6
	v_cmp_gt_i64_e64 s6, s[36:37], v[2:3]
	s_delay_alu instid0(VALU_DEP_1) | instskip(NEXT) | instid1(SALU_CYCLE_1)
	s_and_b32 s7, vcc_lo, s6
	s_xor_b32 s7, s7, -1
	s_delay_alu instid0(SALU_CYCLE_1) | instskip(NEXT) | instid1(SALU_CYCLE_1)
	s_and_saveexec_b32 s8, s7
	s_xor_b32 s7, exec_lo, s8
	s_cbranch_execz .LBB109_45
; %bb.44:                               ;   in Loop: Header=BB109_7 Depth=2
	v_mov_b32_e32 v50, v0
	v_mov_b32_e32 v51, v0
	;; [unrolled: 1-line block ×4, first 2 shown]
	ds_store_b128 v63, v[50:53]
.LBB109_45:                             ;   in Loop: Header=BB109_7 Depth=2
	s_and_not1_saveexec_b32 s7, s7
	s_cbranch_execz .LBB109_47
; %bb.46:                               ;   in Loop: Header=BB109_7 Depth=2
	global_load_b128 v[50:53], v[26:27], off
	s_waitcnt vmcnt(0)
	ds_store_2addr_b64 v63, v[50:51], v[52:53] offset1:1
.LBB109_47:                             ;   in Loop: Header=BB109_7 Depth=2
	s_or_b32 exec_lo, exec_lo, s7
	s_and_b32 s5, s4, s5
	s_delay_alu instid0(SALU_CYCLE_1) | instskip(NEXT) | instid1(SALU_CYCLE_1)
	s_xor_b32 s5, s5, -1
	s_and_saveexec_b32 s7, s5
	s_delay_alu instid0(SALU_CYCLE_1)
	s_xor_b32 s5, exec_lo, s7
	s_cbranch_execz .LBB109_49
; %bb.48:                               ;   in Loop: Header=BB109_7 Depth=2
	v_mov_b32_e32 v50, v0
	v_mov_b32_e32 v51, v0
	;; [unrolled: 1-line block ×4, first 2 shown]
	ds_store_b128 v64, v[50:53]
.LBB109_49:                             ;   in Loop: Header=BB109_7 Depth=2
	s_and_not1_saveexec_b32 s5, s5
	s_cbranch_execz .LBB109_51
; %bb.50:                               ;   in Loop: Header=BB109_7 Depth=2
	global_load_b128 v[50:53], v[28:29], off offset:-256
	s_waitcnt vmcnt(0)
	ds_store_2addr_b64 v64, v[50:51], v[52:53] offset1:1
.LBB109_51:                             ;   in Loop: Header=BB109_7 Depth=2
	s_or_b32 exec_lo, exec_lo, s5
	s_and_b32 s5, s4, s6
	s_delay_alu instid0(SALU_CYCLE_1) | instskip(NEXT) | instid1(SALU_CYCLE_1)
	s_xor_b32 s5, s5, -1
	s_and_saveexec_b32 s6, s5
	s_delay_alu instid0(SALU_CYCLE_1)
	s_xor_b32 s5, exec_lo, s6
	s_cbranch_execz .LBB109_53
; %bb.52:                               ;   in Loop: Header=BB109_7 Depth=2
	v_mov_b32_e32 v50, v0
	v_mov_b32_e32 v51, v0
	;; [unrolled: 1-line block ×4, first 2 shown]
	ds_store_b128 v65, v[50:53]
.LBB109_53:                             ;   in Loop: Header=BB109_7 Depth=2
	s_and_not1_saveexec_b32 s5, s5
	s_cbranch_execz .LBB109_6
; %bb.54:                               ;   in Loop: Header=BB109_7 Depth=2
	global_load_b128 v[50:53], v[28:29], off
	s_waitcnt vmcnt(0)
	ds_store_2addr_b64 v65, v[50:51], v[52:53] offset1:1
	s_branch .LBB109_6
.LBB109_55:                             ;   in Loop: Header=BB109_4 Depth=1
	v_mul_lo_u32 v21, v67, s40
	v_mul_lo_u32 v26, v66, s41
	v_mad_u64_u32 v[2:3], null, v66, s40, 0
	v_cmp_gt_i32_e32 vcc_lo, s10, v66
	s_delay_alu instid0(VALU_DEP_2) | instskip(NEXT) | instid1(VALU_DEP_1)
	v_add3_u32 v3, v3, v26, v21
	v_lshlrev_b64 v[2:3], 4, v[2:3]
	s_delay_alu instid0(VALU_DEP_1) | instskip(NEXT) | instid1(VALU_DEP_1)
	v_add_co_u32 v2, s4, s38, v2
	v_add_co_ci_u32_e64 v3, s4, s39, v3, s4
	s_and_b32 s4, s1, vcc_lo
	s_delay_alu instid0(SALU_CYCLE_1)
	s_and_saveexec_b32 s5, s4
	s_cbranch_execz .LBB109_57
; %bb.56:                               ;   in Loop: Header=BB109_4 Depth=1
	v_add_co_u32 v30, s4, v2, v22
	s_delay_alu instid0(VALU_DEP_1)
	v_add_co_ci_u32_e64 v31, s4, v3, v23, s4
	v_mul_f64 v[32:33], s[46:47], v[44:45]
	v_mul_f64 v[44:45], s[44:45], v[44:45]
	global_load_b128 v[26:29], v[30:31], off
	v_fma_f64 v[32:33], s[44:45], v[42:43], -v[32:33]
	v_fma_f64 v[42:43], s[46:47], v[42:43], v[44:45]
	s_waitcnt vmcnt(0)
	s_delay_alu instid0(VALU_DEP_2) | instskip(NEXT) | instid1(VALU_DEP_2)
	v_add_f64 v[26:27], v[26:27], v[32:33]
	v_add_f64 v[28:29], v[28:29], v[42:43]
	global_store_b128 v[30:31], v[26:29], off
.LBB109_57:                             ;   in Loop: Header=BB109_4 Depth=1
	s_or_b32 exec_lo, exec_lo, s5
	s_and_b32 s5, s3, vcc_lo
	s_delay_alu instid0(SALU_CYCLE_1)
	s_and_saveexec_b32 s4, s5
	s_cbranch_execz .LBB109_59
; %bb.58:                               ;   in Loop: Header=BB109_4 Depth=1
	v_lshlrev_b64 v[26:27], 4, v[8:9]
	v_mul_f64 v[30:31], s[46:47], v[36:37]
	v_mul_f64 v[32:33], s[44:45], v[36:37]
	s_delay_alu instid0(VALU_DEP_3) | instskip(NEXT) | instid1(VALU_DEP_4)
	v_add_co_u32 v2, vcc_lo, v2, v26
	v_add_co_ci_u32_e32 v3, vcc_lo, v3, v27, vcc_lo
	global_load_b128 v[26:29], v[2:3], off
	v_fma_f64 v[30:31], s[44:45], v[34:35], -v[30:31]
	v_fma_f64 v[32:33], s[46:47], v[34:35], v[32:33]
	s_waitcnt vmcnt(0)
	s_delay_alu instid0(VALU_DEP_2) | instskip(NEXT) | instid1(VALU_DEP_2)
	v_add_f64 v[26:27], v[26:27], v[30:31]
	v_add_f64 v[28:29], v[28:29], v[32:33]
	global_store_b128 v[2:3], v[26:29], off
.LBB109_59:                             ;   in Loop: Header=BB109_4 Depth=1
	s_or_b32 exec_lo, exec_lo, s4
	v_add_nc_u32_e32 v21, 16, v66
	s_delay_alu instid0(VALU_DEP_1) | instskip(SKIP_3) | instid1(VALU_DEP_4)
	v_ashrrev_i32_e32 v26, 31, v21
	v_mul_lo_u32 v27, v21, s41
	v_mad_u64_u32 v[2:3], null, v21, s40, 0
	v_cmp_gt_i32_e32 vcc_lo, s10, v21
	v_mul_lo_u32 v26, v26, s40
	s_delay_alu instid0(VALU_DEP_1) | instskip(NEXT) | instid1(VALU_DEP_1)
	v_add3_u32 v3, v3, v27, v26
	v_lshlrev_b64 v[2:3], 4, v[2:3]
	s_delay_alu instid0(VALU_DEP_1) | instskip(NEXT) | instid1(VALU_DEP_1)
	v_add_co_u32 v2, s4, s38, v2
	v_add_co_ci_u32_e64 v3, s4, s39, v3, s4
	s_and_b32 s4, s1, vcc_lo
	s_delay_alu instid0(SALU_CYCLE_1)
	s_and_saveexec_b32 s5, s4
	s_cbranch_execz .LBB109_61
; %bb.60:                               ;   in Loop: Header=BB109_4 Depth=1
	v_add_co_u32 v30, s4, v2, v22
	s_delay_alu instid0(VALU_DEP_1)
	v_add_co_ci_u32_e64 v31, s4, v3, v23, s4
	v_mul_f64 v[32:33], s[46:47], v[40:41]
	v_mul_f64 v[34:35], s[44:45], v[40:41]
	global_load_b128 v[26:29], v[30:31], off
	v_fma_f64 v[32:33], s[44:45], v[38:39], -v[32:33]
	v_fma_f64 v[34:35], s[46:47], v[38:39], v[34:35]
	s_waitcnt vmcnt(0)
	s_delay_alu instid0(VALU_DEP_2) | instskip(NEXT) | instid1(VALU_DEP_2)
	v_add_f64 v[26:27], v[26:27], v[32:33]
	v_add_f64 v[28:29], v[28:29], v[34:35]
	global_store_b128 v[30:31], v[26:29], off
.LBB109_61:                             ;   in Loop: Header=BB109_4 Depth=1
	s_or_b32 exec_lo, exec_lo, s5
	s_and_b32 s5, s3, vcc_lo
	s_delay_alu instid0(SALU_CYCLE_1)
	s_and_saveexec_b32 s4, s5
	s_cbranch_execz .LBB109_3
; %bb.62:                               ;   in Loop: Header=BB109_4 Depth=1
	v_lshlrev_b64 v[26:27], 4, v[8:9]
	v_mul_f64 v[30:31], s[46:47], v[46:47]
	v_mul_f64 v[32:33], s[44:45], v[46:47]
	s_delay_alu instid0(VALU_DEP_3) | instskip(NEXT) | instid1(VALU_DEP_4)
	v_add_co_u32 v2, vcc_lo, v2, v26
	v_add_co_ci_u32_e32 v3, vcc_lo, v3, v27, vcc_lo
	global_load_b128 v[26:29], v[2:3], off
	v_fma_f64 v[30:31], s[44:45], v[48:49], -v[30:31]
	v_fma_f64 v[32:33], s[46:47], v[48:49], v[32:33]
	s_waitcnt vmcnt(0)
	s_delay_alu instid0(VALU_DEP_2) | instskip(NEXT) | instid1(VALU_DEP_2)
	v_add_f64 v[26:27], v[26:27], v[30:31]
	v_add_f64 v[28:29], v[28:29], v[32:33]
	global_store_b128 v[2:3], v[26:29], off
	s_branch .LBB109_3
.LBB109_63:
	s_nop 0
	s_sendmsg sendmsg(MSG_DEALLOC_VGPRS)
	s_endpgm
	.section	.rodata,"a",@progbits
	.p2align	6, 0x0
	.amdhsa_kernel _ZL30rocblas_trmm_outofplace_kernelI19rocblas_complex_numIdELi32ELi2ELb1ELb0ELb0ELb0ES1_KS1_S1_Ev17rocblas_diagonal_iiT6_lPT7_lllS6_lllPT8_llli
		.amdhsa_group_segment_fixed_size 32768
		.amdhsa_private_segment_fixed_size 0
		.amdhsa_kernarg_size 400
		.amdhsa_user_sgpr_count 13
		.amdhsa_user_sgpr_dispatch_ptr 0
		.amdhsa_user_sgpr_queue_ptr 0
		.amdhsa_user_sgpr_kernarg_segment_ptr 1
		.amdhsa_user_sgpr_dispatch_id 0
		.amdhsa_user_sgpr_private_segment_size 0
		.amdhsa_wavefront_size32 1
		.amdhsa_uses_dynamic_stack 0
		.amdhsa_enable_private_segment 0
		.amdhsa_system_sgpr_workgroup_id_x 1
		.amdhsa_system_sgpr_workgroup_id_y 1
		.amdhsa_system_sgpr_workgroup_id_z 1
		.amdhsa_system_sgpr_workgroup_info 0
		.amdhsa_system_vgpr_workitem_id 1
		.amdhsa_next_free_vgpr 88
		.amdhsa_next_free_sgpr 50
		.amdhsa_reserve_vcc 1
		.amdhsa_float_round_mode_32 0
		.amdhsa_float_round_mode_16_64 0
		.amdhsa_float_denorm_mode_32 3
		.amdhsa_float_denorm_mode_16_64 3
		.amdhsa_dx10_clamp 1
		.amdhsa_ieee_mode 1
		.amdhsa_fp16_overflow 0
		.amdhsa_workgroup_processor_mode 1
		.amdhsa_memory_ordered 1
		.amdhsa_forward_progress 0
		.amdhsa_shared_vgpr_count 0
		.amdhsa_exception_fp_ieee_invalid_op 0
		.amdhsa_exception_fp_denorm_src 0
		.amdhsa_exception_fp_ieee_div_zero 0
		.amdhsa_exception_fp_ieee_overflow 0
		.amdhsa_exception_fp_ieee_underflow 0
		.amdhsa_exception_fp_ieee_inexact 0
		.amdhsa_exception_int_div_zero 0
	.end_amdhsa_kernel
	.section	.text._ZL30rocblas_trmm_outofplace_kernelI19rocblas_complex_numIdELi32ELi2ELb1ELb0ELb0ELb0ES1_KS1_S1_Ev17rocblas_diagonal_iiT6_lPT7_lllS6_lllPT8_llli,"axG",@progbits,_ZL30rocblas_trmm_outofplace_kernelI19rocblas_complex_numIdELi32ELi2ELb1ELb0ELb0ELb0ES1_KS1_S1_Ev17rocblas_diagonal_iiT6_lPT7_lllS6_lllPT8_llli,comdat
.Lfunc_end109:
	.size	_ZL30rocblas_trmm_outofplace_kernelI19rocblas_complex_numIdELi32ELi2ELb1ELb0ELb0ELb0ES1_KS1_S1_Ev17rocblas_diagonal_iiT6_lPT7_lllS6_lllPT8_llli, .Lfunc_end109-_ZL30rocblas_trmm_outofplace_kernelI19rocblas_complex_numIdELi32ELi2ELb1ELb0ELb0ELb0ES1_KS1_S1_Ev17rocblas_diagonal_iiT6_lPT7_lllS6_lllPT8_llli
                                        ; -- End function
	.section	.AMDGPU.csdata,"",@progbits
; Kernel info:
; codeLenInByte = 11460
; NumSgprs: 52
; NumVgprs: 88
; ScratchSize: 0
; MemoryBound: 0
; FloatMode: 240
; IeeeMode: 1
; LDSByteSize: 32768 bytes/workgroup (compile time only)
; SGPRBlocks: 6
; VGPRBlocks: 10
; NumSGPRsForWavesPerEU: 52
; NumVGPRsForWavesPerEU: 88
; Occupancy: 16
; WaveLimiterHint : 0
; COMPUTE_PGM_RSRC2:SCRATCH_EN: 0
; COMPUTE_PGM_RSRC2:USER_SGPR: 13
; COMPUTE_PGM_RSRC2:TRAP_HANDLER: 0
; COMPUTE_PGM_RSRC2:TGID_X_EN: 1
; COMPUTE_PGM_RSRC2:TGID_Y_EN: 1
; COMPUTE_PGM_RSRC2:TGID_Z_EN: 1
; COMPUTE_PGM_RSRC2:TIDIG_COMP_CNT: 1
	.section	.text._ZL30rocblas_trmm_outofplace_kernelI19rocblas_complex_numIdELi32ELi2ELb1ELb1ELb0ELb0EPKS1_S2_S1_Ev17rocblas_diagonal_iiT6_lPT7_lllS7_lllPT8_llli,"axG",@progbits,_ZL30rocblas_trmm_outofplace_kernelI19rocblas_complex_numIdELi32ELi2ELb1ELb1ELb0ELb0EPKS1_S2_S1_Ev17rocblas_diagonal_iiT6_lPT7_lllS7_lllPT8_llli,comdat
	.globl	_ZL30rocblas_trmm_outofplace_kernelI19rocblas_complex_numIdELi32ELi2ELb1ELb1ELb0ELb0EPKS1_S2_S1_Ev17rocblas_diagonal_iiT6_lPT7_lllS7_lllPT8_llli ; -- Begin function _ZL30rocblas_trmm_outofplace_kernelI19rocblas_complex_numIdELi32ELi2ELb1ELb1ELb0ELb0EPKS1_S2_S1_Ev17rocblas_diagonal_iiT6_lPT7_lllS7_lllPT8_llli
	.p2align	8
	.type	_ZL30rocblas_trmm_outofplace_kernelI19rocblas_complex_numIdELi32ELi2ELb1ELb1ELb0ELb0EPKS1_S2_S1_Ev17rocblas_diagonal_iiT6_lPT7_lllS7_lllPT8_llli,@function
_ZL30rocblas_trmm_outofplace_kernelI19rocblas_complex_numIdELi32ELi2ELb1ELb1ELb0ELb0EPKS1_S2_S1_Ev17rocblas_diagonal_iiT6_lPT7_lllS7_lllPT8_llli: ; @_ZL30rocblas_trmm_outofplace_kernelI19rocblas_complex_numIdELi32ELi2ELb1ELb1ELb0ELb0EPKS1_S2_S1_Ev17rocblas_diagonal_iiT6_lPT7_lllS7_lllPT8_llli
; %bb.0:
	s_load_b512 s[16:31], s[0:1], 0x10
	s_waitcnt lgkmcnt(0)
	s_mul_i32 s3, s15, s19
	s_mul_hi_u32 s4, s15, s18
	s_mul_i32 s2, s15, s18
	s_add_i32 s3, s4, s3
	s_delay_alu instid0(SALU_CYCLE_1) | instskip(NEXT) | instid1(SALU_CYCLE_1)
	s_lshl_b64 s[2:3], s[2:3], 4
	s_add_u32 s2, s16, s2
	s_addc_u32 s3, s17, s3
	s_load_b128 s[16:19], s[2:3], 0x0
	s_waitcnt lgkmcnt(0)
	v_cmp_eq_f64_e64 s2, s[16:17], 0
	v_cmp_eq_f64_e64 s3, s[18:19], 0
	s_delay_alu instid0(VALU_DEP_1) | instskip(NEXT) | instid1(SALU_CYCLE_1)
	s_and_b32 s2, s2, s3
	s_and_b32 vcc_lo, exec_lo, s2
	s_cbranch_vccnz .LBB110_63
; %bb.1:
	s_load_b128 s[8:11], s[0:1], 0x0
	s_waitcnt lgkmcnt(0)
	s_add_i32 s2, s10, -1
	s_delay_alu instid0(SALU_CYCLE_1) | instskip(NEXT) | instid1(SALU_CYCLE_1)
	s_ashr_i32 s3, s2, 31
	s_lshr_b32 s3, s3, 27
	s_delay_alu instid0(SALU_CYCLE_1) | instskip(NEXT) | instid1(SALU_CYCLE_1)
	s_add_i32 s2, s2, s3
	s_ashr_i32 s11, s2, 5
	s_delay_alu instid0(SALU_CYCLE_1)
	s_cmp_gt_i32 s14, s11
	s_cbranch_scc1 .LBB110_63
; %bb.2:
	s_clause 0x2
	s_load_b128 s[44:47], s[0:1], 0x70
	s_load_b32 s33, s[0:1], 0x8c
	s_load_b256 s[36:43], s[0:1], 0x50
	v_bfe_u32 v54, v0, 10, 10
	v_and_b32_e32 v0, 0x3ff, v0
	s_mov_b32 s12, s9
	s_delay_alu instid0(VALU_DEP_2) | instskip(NEXT) | instid1(VALU_DEP_2)
	v_lshlrev_b32_e32 v1, 9, v54
	v_lshlrev_b32_e32 v55, 4, v0
	v_lshl_add_u32 v22, s14, 5, v54
	s_delay_alu instid0(VALU_DEP_3) | instskip(NEXT) | instid1(VALU_DEP_3)
	v_add_nc_u32_e32 v57, 0x4000, v1
	v_add_nc_u32_e32 v56, v55, v1
	s_delay_alu instid0(VALU_DEP_2)
	v_add_nc_u32_e32 v60, v57, v55
	s_waitcnt lgkmcnt(0)
	s_mul_i32 s1, s15, s47
	s_mul_hi_u32 s2, s15, s46
	s_mul_i32 s0, s15, s46
	s_add_i32 s1, s2, s1
	s_mul_i32 s4, s39, s15
	s_lshl_b64 s[0:1], s[0:1], 4
	s_mul_hi_u32 s5, s38, s15
	s_add_u32 s2, s40, s0
	s_addc_u32 s3, s41, s1
	s_lshl_b64 s[0:1], s[42:43], 4
	v_add_nc_u32_e32 v62, 0x100, v60
	s_add_u32 s42, s2, s0
	s_addc_u32 s43, s3, s1
	s_lshl_b32 s0, s13, 5
	v_add_nc_u32_e32 v63, 0x2000, v60
	v_add_nc_u32_e32 v4, s0, v54
	;; [unrolled: 1-line block ×3, first 2 shown]
	s_sub_i32 s46, s9, s0
	v_add_nc_u32_e32 v64, 0x2100, v60
	s_cmp_gt_i32 s46, 0
	v_ashrrev_i32_e32 v5, 31, v4
	v_ashrrev_i32_e32 v7, 31, v6
	s_cselect_b32 s47, -1, 0
	s_cmpk_eq_i32 s8, 0x84
	v_add_co_u32 v10, vcc_lo, v6, 16
	s_cselect_b32 s48, -1, 0
	s_ashr_i32 s13, s9, 31
	s_ashr_i32 s49, s10, 31
	s_lshl_b64 s[34:35], s[24:25], 9
	v_mul_lo_u32 v2, s24, v5
	v_mul_lo_u32 v3, s25, v4
	v_mad_u64_u32 v[0:1], null, s24, v4, 0
	s_add_u32 s40, s9, -16
	v_add_co_ci_u32_e32 v11, vcc_lo, 0, v7, vcc_lo
	s_addc_u32 s41, s13, -1
	s_add_i32 s5, s5, s4
	s_mul_i32 s4, s38, s15
	v_sub_co_u32 v12, vcc_lo, v6, v4
	s_lshl_b64 s[4:5], s[4:5], 4
	s_lshl_b64 s[6:7], s[30:31], 4
	v_sub_co_ci_u32_e32 v13, vcc_lo, v7, v5, vcc_lo
	s_add_u32 s4, s4, s6
	s_addc_u32 s5, s5, s7
	v_add_co_u32 v14, vcc_lo, v12, 16
	s_add_u32 s4, s4, s28
	v_add3_u32 v1, v1, v2, v3
	v_lshlrev_b64 v[2:3], 4, v[4:5]
	s_addc_u32 s5, s5, s29
	v_add_nc_u32_e32 v8, 16, v6
	v_add_co_ci_u32_e32 v15, vcc_lo, 0, v13, vcc_lo
	s_add_u32 s28, s4, 0x100
	v_add_co_u32 v16, vcc_lo, v12, -16
	s_addc_u32 s29, s5, 0
	s_mul_i32 s4, s27, s15
	s_mul_hi_u32 s5, s26, s15
	v_add_co_ci_u32_e32 v17, vcc_lo, -1, v13, vcc_lo
	s_add_i32 s5, s5, s4
	s_mul_i32 s4, s26, s15
	s_lshl_b64 s[6:7], s[22:23], 4
	v_add_co_u32 v2, vcc_lo, 0x100, v2
	v_cmp_le_i32_e64 s0, s9, v6
	v_cmp_gt_i32_e64 s2, s9, v6
	v_cmp_gt_i32_e64 s3, s9, v8
	s_lshl_b64 s[30:31], s[36:37], 4
	s_lshl_b32 s9, s33, 5
	s_lshl_b64 s[4:5], s[4:5], 4
	v_lshlrev_b64 v[0:1], 4, v[0:1]
	s_add_u32 s6, s20, s6
	v_add_co_ci_u32_e32 v3, vcc_lo, 0, v3, vcc_lo
	s_addc_u32 s7, s21, s7
	s_add_u32 s4, s6, s4
	s_addc_u32 s5, s7, s5
	s_delay_alu instid0(VALU_DEP_1)
	v_mul_lo_u32 v3, s24, v3
	v_mad_u64_u32 v[20:21], null, s24, v2, s[4:5]
	v_mul_lo_u32 v2, s25, v2
	v_add_co_u32 v0, vcc_lo, s4, v0
	v_add_co_ci_u32_e32 v1, vcc_lo, s5, v1, vcc_lo
	v_cmp_le_i64_e64 s1, s[12:13], v[10:11]
	s_delay_alu instid0(VALU_DEP_3)
	v_add_co_u32 v24, vcc_lo, 0x100, v0
	v_lshlrev_b64 v[18:19], 4, v[6:7]
	v_ashrrev_i32_e32 v9, 31, v8
	v_add_co_ci_u32_e32 v25, vcc_lo, 0, v1, vcc_lo
	v_mov_b32_e32 v1, 0x3ff00000
	v_add_nc_u32_e32 v58, 0x100, v56
	v_add_nc_u32_e32 v59, 0x2000, v56
	;; [unrolled: 1-line block ×3, first 2 shown]
	v_add3_u32 v21, v2, v21, v3
	v_mov_b32_e32 v0, 0
	s_branch .LBB110_4
.LBB110_3:                              ;   in Loop: Header=BB110_4 Depth=1
	s_or_b32 exec_lo, exec_lo, s4
	v_add_nc_u32_e32 v22, s9, v22
	s_add_i32 s14, s33, s14
	s_delay_alu instid0(SALU_CYCLE_1)
	s_cmp_le_i32 s14, s11
	s_cbranch_scc0 .LBB110_63
.LBB110_4:                              ; =>This Loop Header: Depth=1
                                        ;     Child Loop BB110_7 Depth 2
	v_mov_b32_e32 v42, 0
	v_lshl_add_u32 v65, s14, 5, v54
	v_mov_b32_e32 v43, 0
	s_delay_alu instid0(VALU_DEP_3)
	v_mov_b32_e32 v34, v42
	v_mov_b32_e32 v36, v42
	;; [unrolled: 1-line block ×3, first 2 shown]
	v_ashrrev_i32_e32 v66, 31, v65
	v_mov_b32_e32 v39, v43
	v_dual_mov_b32 v45, v43 :: v_dual_mov_b32 v44, v42
	v_mov_b32_e32 v35, v43
	v_dual_mov_b32 v37, v43 :: v_dual_mov_b32 v40, v42
	;; [unrolled: 2-line block ×3, first 2 shown]
	v_dual_mov_b32 v47, v43 :: v_dual_mov_b32 v46, v42
	s_and_not1_b32 vcc_lo, exec_lo, s47
	s_mov_b64 s[20:21], 0
	s_cbranch_vccnz .LBB110_55
; %bb.5:                                ;   in Loop: Header=BB110_4 Depth=1
	v_ashrrev_i32_e32 v23, 31, v22
	v_mad_u64_u32 v[26:27], null, s30, v22, s[28:29]
	v_mul_lo_u32 v34, s31, v22
	v_mov_b32_e32 v46, 0
	s_delay_alu instid0(VALU_DEP_4) | instskip(SKIP_3) | instid1(VALU_DEP_4)
	v_lshlrev_b64 v[2:3], 4, v[22:23]
	v_mul_lo_u32 v23, s30, v23
	v_mov_b32_e32 v47, 0
	v_dual_mov_b32 v33, v25 :: v_dual_mov_b32 v32, v24
	v_add_co_u32 v30, vcc_lo, 0x100, v2
	v_add_co_ci_u32_e32 v28, vcc_lo, 0, v3, vcc_lo
	v_sub_co_u32 v2, vcc_lo, s10, v65
	s_delay_alu instid0(VALU_DEP_3) | instskip(NEXT) | instid1(VALU_DEP_3)
	v_mul_lo_u32 v36, s37, v30
	v_mul_lo_u32 v35, s36, v28
	v_mad_u64_u32 v[28:29], null, s36, v30, s[28:29]
	v_sub_co_ci_u32_e32 v3, vcc_lo, s49, v66, vcc_lo
	v_dual_mov_b32 v31, v21 :: v_dual_mov_b32 v30, v20
	v_add3_u32 v27, v34, v27, v23
	s_delay_alu instid0(VALU_DEP_3)
	v_cmp_lt_i64_e32 vcc_lo, 0, v[2:3]
	v_cmp_lt_i64_e64 s4, 16, v[2:3]
	v_add3_u32 v29, v36, v29, v35
	v_dual_mov_b32 v49, v47 :: v_dual_mov_b32 v48, v46
	v_dual_mov_b32 v40, v46 :: v_dual_mov_b32 v41, v47
	;; [unrolled: 1-line block ×7, first 2 shown]
	s_branch .LBB110_7
.LBB110_6:                              ;   in Loop: Header=BB110_7 Depth=2
	s_or_b32 exec_lo, exec_lo, s6
	s_waitcnt lgkmcnt(0)
	s_waitcnt_vscnt null, 0x0
	s_barrier
	buffer_gl0_inv
	ds_load_b128 v[50:53], v57
	ds_load_b128 v[67:70], v57 offset:16
	ds_load_b128 v[71:74], v57 offset:32
	;; [unrolled: 1-line block ×3, first 2 shown]
	ds_load_b128 v[79:82], v55
	v_add_co_u32 v26, s5, 0x200, v26
	s_delay_alu instid0(VALU_DEP_1) | instskip(SKIP_1) | instid1(VALU_DEP_1)
	v_add_co_ci_u32_e64 v27, s5, 0, v27, s5
	v_add_co_u32 v32, s5, v32, s34
	v_add_co_ci_u32_e64 v33, s5, s35, v33, s5
	v_add_co_u32 v30, s5, v30, s34
	s_delay_alu instid0(VALU_DEP_1) | instskip(SKIP_1) | instid1(VALU_DEP_1)
	v_add_co_ci_u32_e64 v31, s5, s35, v31, s5
	v_add_co_u32 v28, s5, 0x200, v28
	v_add_co_ci_u32_e64 v29, s5, 0, v29, s5
	s_add_u32 s20, s20, 32
	s_addc_u32 s21, s21, 0
	s_cmp_ge_i32 s20, s46
	s_waitcnt lgkmcnt(0)
	v_mul_f64 v[2:3], v[52:53], v[81:82]
	v_mul_f64 v[83:84], v[50:51], v[81:82]
	s_delay_alu instid0(VALU_DEP_2) | instskip(NEXT) | instid1(VALU_DEP_2)
	v_fma_f64 v[2:3], v[50:51], v[79:80], -v[2:3]
	v_fma_f64 v[83:84], v[52:53], v[79:80], v[83:84]
	s_delay_alu instid0(VALU_DEP_2) | instskip(NEXT) | instid1(VALU_DEP_2)
	v_add_f64 v[2:3], v[42:43], v[2:3]
	v_add_f64 v[83:84], v[44:45], v[83:84]
	ds_load_b128 v[42:45], v55 offset:256
	s_waitcnt lgkmcnt(0)
	v_mul_f64 v[85:86], v[52:53], v[44:45]
	s_delay_alu instid0(VALU_DEP_1) | instskip(SKIP_1) | instid1(VALU_DEP_1)
	v_fma_f64 v[85:86], v[50:51], v[42:43], -v[85:86]
	v_mul_f64 v[50:51], v[50:51], v[44:45]
	v_fma_f64 v[50:51], v[52:53], v[42:43], v[50:51]
	s_delay_alu instid0(VALU_DEP_3) | instskip(NEXT) | instid1(VALU_DEP_2)
	v_add_f64 v[52:53], v[34:35], v[85:86]
	v_add_f64 v[50:51], v[36:37], v[50:51]
	ds_load_b128 v[34:37], v57 offset:8192
	s_waitcnt lgkmcnt(0)
	v_mul_f64 v[85:86], v[36:37], v[81:82]
	v_mul_f64 v[81:82], v[34:35], v[81:82]
	s_delay_alu instid0(VALU_DEP_2) | instskip(NEXT) | instid1(VALU_DEP_2)
	v_fma_f64 v[85:86], v[34:35], v[79:80], -v[85:86]
	v_fma_f64 v[79:80], v[36:37], v[79:80], v[81:82]
	s_delay_alu instid0(VALU_DEP_2) | instskip(SKIP_1) | instid1(VALU_DEP_3)
	v_add_f64 v[81:82], v[38:39], v[85:86]
	v_mul_f64 v[38:39], v[36:37], v[44:45]
	v_add_f64 v[79:80], v[40:41], v[79:80]
	s_delay_alu instid0(VALU_DEP_2) | instskip(SKIP_1) | instid1(VALU_DEP_2)
	v_fma_f64 v[38:39], v[34:35], v[42:43], -v[38:39]
	v_mul_f64 v[34:35], v[34:35], v[44:45]
	v_add_f64 v[48:49], v[48:49], v[38:39]
	s_delay_alu instid0(VALU_DEP_2) | instskip(NEXT) | instid1(VALU_DEP_1)
	v_fma_f64 v[34:35], v[36:37], v[42:43], v[34:35]
	v_add_f64 v[46:47], v[46:47], v[34:35]
	ds_load_b128 v[34:37], v55 offset:512
	s_waitcnt lgkmcnt(0)
	v_mul_f64 v[38:39], v[69:70], v[36:37]
	v_mul_f64 v[40:41], v[67:68], v[36:37]
	s_delay_alu instid0(VALU_DEP_2) | instskip(NEXT) | instid1(VALU_DEP_2)
	v_fma_f64 v[38:39], v[67:68], v[34:35], -v[38:39]
	v_fma_f64 v[40:41], v[69:70], v[34:35], v[40:41]
	s_delay_alu instid0(VALU_DEP_2) | instskip(NEXT) | instid1(VALU_DEP_2)
	v_add_f64 v[2:3], v[2:3], v[38:39]
	v_add_f64 v[83:84], v[83:84], v[40:41]
	ds_load_b128 v[38:41], v55 offset:768
	s_waitcnt lgkmcnt(0)
	v_mul_f64 v[42:43], v[69:70], v[40:41]
	v_mul_f64 v[44:45], v[67:68], v[40:41]
	s_delay_alu instid0(VALU_DEP_2) | instskip(NEXT) | instid1(VALU_DEP_2)
	v_fma_f64 v[42:43], v[67:68], v[38:39], -v[42:43]
	v_fma_f64 v[44:45], v[69:70], v[38:39], v[44:45]
	s_delay_alu instid0(VALU_DEP_2) | instskip(NEXT) | instid1(VALU_DEP_2)
	v_add_f64 v[52:53], v[52:53], v[42:43]
	v_add_f64 v[50:51], v[50:51], v[44:45]
	ds_load_b128 v[42:45], v57 offset:8208
	s_waitcnt lgkmcnt(0)
	v_mul_f64 v[67:68], v[44:45], v[36:37]
	v_mul_f64 v[36:37], v[42:43], v[36:37]
	s_delay_alu instid0(VALU_DEP_2) | instskip(NEXT) | instid1(VALU_DEP_2)
	v_fma_f64 v[67:68], v[42:43], v[34:35], -v[67:68]
	v_fma_f64 v[34:35], v[44:45], v[34:35], v[36:37]
	v_mul_f64 v[36:37], v[42:43], v[40:41]
	s_delay_alu instid0(VALU_DEP_3) | instskip(NEXT) | instid1(VALU_DEP_3)
	v_add_f64 v[67:68], v[81:82], v[67:68]
	v_add_f64 v[69:70], v[79:80], v[34:35]
	v_mul_f64 v[34:35], v[44:45], v[40:41]
	s_delay_alu instid0(VALU_DEP_4) | instskip(NEXT) | instid1(VALU_DEP_2)
	v_fma_f64 v[36:37], v[44:45], v[38:39], v[36:37]
	v_fma_f64 v[34:35], v[42:43], v[38:39], -v[34:35]
	s_delay_alu instid0(VALU_DEP_2) | instskip(NEXT) | instid1(VALU_DEP_2)
	v_add_f64 v[46:47], v[46:47], v[36:37]
	v_add_f64 v[48:49], v[48:49], v[34:35]
	ds_load_b128 v[34:37], v55 offset:1024
	s_waitcnt lgkmcnt(0)
	v_mul_f64 v[38:39], v[73:74], v[36:37]
	v_mul_f64 v[40:41], v[71:72], v[36:37]
	s_delay_alu instid0(VALU_DEP_2) | instskip(NEXT) | instid1(VALU_DEP_2)
	v_fma_f64 v[38:39], v[71:72], v[34:35], -v[38:39]
	v_fma_f64 v[40:41], v[73:74], v[34:35], v[40:41]
	s_delay_alu instid0(VALU_DEP_2) | instskip(NEXT) | instid1(VALU_DEP_2)
	v_add_f64 v[2:3], v[2:3], v[38:39]
	v_add_f64 v[79:80], v[83:84], v[40:41]
	ds_load_b128 v[38:41], v55 offset:1280
	s_waitcnt lgkmcnt(0)
	v_mul_f64 v[42:43], v[73:74], v[40:41]
	v_mul_f64 v[44:45], v[71:72], v[40:41]
	s_delay_alu instid0(VALU_DEP_2) | instskip(NEXT) | instid1(VALU_DEP_2)
	v_fma_f64 v[42:43], v[71:72], v[38:39], -v[42:43]
	v_fma_f64 v[44:45], v[73:74], v[38:39], v[44:45]
	s_delay_alu instid0(VALU_DEP_2) | instskip(NEXT) | instid1(VALU_DEP_2)
	v_add_f64 v[52:53], v[52:53], v[42:43]
	v_add_f64 v[50:51], v[50:51], v[44:45]
	ds_load_b128 v[42:45], v57 offset:8224
	s_waitcnt lgkmcnt(0)
	v_mul_f64 v[71:72], v[44:45], v[36:37]
	v_mul_f64 v[36:37], v[42:43], v[36:37]
	s_delay_alu instid0(VALU_DEP_2) | instskip(NEXT) | instid1(VALU_DEP_2)
	v_fma_f64 v[71:72], v[42:43], v[34:35], -v[71:72]
	v_fma_f64 v[34:35], v[44:45], v[34:35], v[36:37]
	v_mul_f64 v[36:37], v[42:43], v[40:41]
	s_delay_alu instid0(VALU_DEP_3) | instskip(NEXT) | instid1(VALU_DEP_3)
	v_add_f64 v[67:68], v[67:68], v[71:72]
	v_add_f64 v[69:70], v[69:70], v[34:35]
	v_mul_f64 v[34:35], v[44:45], v[40:41]
	s_delay_alu instid0(VALU_DEP_4) | instskip(NEXT) | instid1(VALU_DEP_2)
	v_fma_f64 v[36:37], v[44:45], v[38:39], v[36:37]
	v_fma_f64 v[34:35], v[42:43], v[38:39], -v[34:35]
	s_delay_alu instid0(VALU_DEP_2) | instskip(NEXT) | instid1(VALU_DEP_2)
	v_add_f64 v[46:47], v[46:47], v[36:37]
	;; [unrolled: 38-line block ×3, first 2 shown]
	v_add_f64 v[48:49], v[48:49], v[34:35]
	ds_load_b128 v[34:37], v57 offset:64
	ds_load_b128 v[38:41], v55 offset:2048
	s_waitcnt lgkmcnt(0)
	v_mul_f64 v[42:43], v[36:37], v[40:41]
	v_mul_f64 v[44:45], v[34:35], v[40:41]
	s_delay_alu instid0(VALU_DEP_2) | instskip(NEXT) | instid1(VALU_DEP_2)
	v_fma_f64 v[42:43], v[34:35], v[38:39], -v[42:43]
	v_fma_f64 v[44:45], v[36:37], v[38:39], v[44:45]
	s_delay_alu instid0(VALU_DEP_2) | instskip(NEXT) | instid1(VALU_DEP_2)
	v_add_f64 v[2:3], v[2:3], v[42:43]
	v_add_f64 v[71:72], v[71:72], v[44:45]
	ds_load_b128 v[42:45], v55 offset:2304
	s_waitcnt lgkmcnt(0)
	v_mul_f64 v[73:74], v[36:37], v[44:45]
	s_delay_alu instid0(VALU_DEP_1) | instskip(SKIP_1) | instid1(VALU_DEP_2)
	v_fma_f64 v[73:74], v[34:35], v[42:43], -v[73:74]
	v_mul_f64 v[34:35], v[34:35], v[44:45]
	v_add_f64 v[52:53], v[52:53], v[73:74]
	s_delay_alu instid0(VALU_DEP_2) | instskip(NEXT) | instid1(VALU_DEP_1)
	v_fma_f64 v[34:35], v[36:37], v[42:43], v[34:35]
	v_add_f64 v[50:51], v[50:51], v[34:35]
	ds_load_b128 v[34:37], v57 offset:8256
	s_waitcnt lgkmcnt(0)
	v_mul_f64 v[73:74], v[36:37], v[40:41]
	v_mul_f64 v[40:41], v[34:35], v[40:41]
	s_delay_alu instid0(VALU_DEP_2) | instskip(NEXT) | instid1(VALU_DEP_2)
	v_fma_f64 v[73:74], v[34:35], v[38:39], -v[73:74]
	v_fma_f64 v[38:39], v[36:37], v[38:39], v[40:41]
	s_delay_alu instid0(VALU_DEP_2) | instskip(NEXT) | instid1(VALU_DEP_2)
	v_add_f64 v[67:68], v[67:68], v[73:74]
	v_add_f64 v[69:70], v[69:70], v[38:39]
	v_mul_f64 v[38:39], v[36:37], v[44:45]
	s_delay_alu instid0(VALU_DEP_1) | instskip(SKIP_1) | instid1(VALU_DEP_2)
	v_fma_f64 v[38:39], v[34:35], v[42:43], -v[38:39]
	v_mul_f64 v[34:35], v[34:35], v[44:45]
	v_add_f64 v[48:49], v[48:49], v[38:39]
	s_delay_alu instid0(VALU_DEP_2) | instskip(NEXT) | instid1(VALU_DEP_1)
	v_fma_f64 v[34:35], v[36:37], v[42:43], v[34:35]
	v_add_f64 v[46:47], v[46:47], v[34:35]
	ds_load_b128 v[34:37], v57 offset:80
	ds_load_b128 v[38:41], v55 offset:2560
	s_waitcnt lgkmcnt(0)
	v_mul_f64 v[42:43], v[36:37], v[40:41]
	v_mul_f64 v[44:45], v[34:35], v[40:41]
	s_delay_alu instid0(VALU_DEP_2) | instskip(NEXT) | instid1(VALU_DEP_2)
	v_fma_f64 v[42:43], v[34:35], v[38:39], -v[42:43]
	v_fma_f64 v[44:45], v[36:37], v[38:39], v[44:45]
	s_delay_alu instid0(VALU_DEP_2) | instskip(NEXT) | instid1(VALU_DEP_2)
	v_add_f64 v[2:3], v[2:3], v[42:43]
	v_add_f64 v[71:72], v[71:72], v[44:45]
	ds_load_b128 v[42:45], v55 offset:2816
	s_waitcnt lgkmcnt(0)
	v_mul_f64 v[73:74], v[36:37], v[44:45]
	s_delay_alu instid0(VALU_DEP_1) | instskip(SKIP_1) | instid1(VALU_DEP_2)
	v_fma_f64 v[73:74], v[34:35], v[42:43], -v[73:74]
	v_mul_f64 v[34:35], v[34:35], v[44:45]
	v_add_f64 v[52:53], v[52:53], v[73:74]
	s_delay_alu instid0(VALU_DEP_2) | instskip(NEXT) | instid1(VALU_DEP_1)
	v_fma_f64 v[34:35], v[36:37], v[42:43], v[34:35]
	v_add_f64 v[50:51], v[50:51], v[34:35]
	ds_load_b128 v[34:37], v57 offset:8272
	s_waitcnt lgkmcnt(0)
	v_mul_f64 v[73:74], v[36:37], v[40:41]
	v_mul_f64 v[40:41], v[34:35], v[40:41]
	s_delay_alu instid0(VALU_DEP_2) | instskip(NEXT) | instid1(VALU_DEP_2)
	v_fma_f64 v[73:74], v[34:35], v[38:39], -v[73:74]
	v_fma_f64 v[38:39], v[36:37], v[38:39], v[40:41]
	s_delay_alu instid0(VALU_DEP_2) | instskip(NEXT) | instid1(VALU_DEP_2)
	v_add_f64 v[67:68], v[67:68], v[73:74]
	v_add_f64 v[69:70], v[69:70], v[38:39]
	v_mul_f64 v[38:39], v[36:37], v[44:45]
	s_delay_alu instid0(VALU_DEP_1) | instskip(SKIP_1) | instid1(VALU_DEP_2)
	v_fma_f64 v[38:39], v[34:35], v[42:43], -v[38:39]
	v_mul_f64 v[34:35], v[34:35], v[44:45]
	v_add_f64 v[48:49], v[48:49], v[38:39]
	s_delay_alu instid0(VALU_DEP_2) | instskip(NEXT) | instid1(VALU_DEP_1)
	v_fma_f64 v[34:35], v[36:37], v[42:43], v[34:35]
	v_add_f64 v[46:47], v[46:47], v[34:35]
	ds_load_b128 v[34:37], v57 offset:96
	ds_load_b128 v[38:41], v55 offset:3072
	s_waitcnt lgkmcnt(0)
	v_mul_f64 v[42:43], v[36:37], v[40:41]
	v_mul_f64 v[44:45], v[34:35], v[40:41]
	s_delay_alu instid0(VALU_DEP_2) | instskip(NEXT) | instid1(VALU_DEP_2)
	v_fma_f64 v[42:43], v[34:35], v[38:39], -v[42:43]
	v_fma_f64 v[44:45], v[36:37], v[38:39], v[44:45]
	s_delay_alu instid0(VALU_DEP_2) | instskip(NEXT) | instid1(VALU_DEP_2)
	v_add_f64 v[2:3], v[2:3], v[42:43]
	v_add_f64 v[71:72], v[71:72], v[44:45]
	ds_load_b128 v[42:45], v55 offset:3328
	s_waitcnt lgkmcnt(0)
	v_mul_f64 v[73:74], v[36:37], v[44:45]
	s_delay_alu instid0(VALU_DEP_1) | instskip(SKIP_1) | instid1(VALU_DEP_2)
	v_fma_f64 v[73:74], v[34:35], v[42:43], -v[73:74]
	v_mul_f64 v[34:35], v[34:35], v[44:45]
	v_add_f64 v[52:53], v[52:53], v[73:74]
	s_delay_alu instid0(VALU_DEP_2) | instskip(NEXT) | instid1(VALU_DEP_1)
	v_fma_f64 v[34:35], v[36:37], v[42:43], v[34:35]
	v_add_f64 v[50:51], v[50:51], v[34:35]
	ds_load_b128 v[34:37], v57 offset:8288
	s_waitcnt lgkmcnt(0)
	v_mul_f64 v[73:74], v[36:37], v[40:41]
	v_mul_f64 v[40:41], v[34:35], v[40:41]
	s_delay_alu instid0(VALU_DEP_2) | instskip(NEXT) | instid1(VALU_DEP_2)
	v_fma_f64 v[73:74], v[34:35], v[38:39], -v[73:74]
	v_fma_f64 v[38:39], v[36:37], v[38:39], v[40:41]
	s_delay_alu instid0(VALU_DEP_2) | instskip(NEXT) | instid1(VALU_DEP_2)
	v_add_f64 v[67:68], v[67:68], v[73:74]
	v_add_f64 v[69:70], v[69:70], v[38:39]
	v_mul_f64 v[38:39], v[36:37], v[44:45]
	s_delay_alu instid0(VALU_DEP_1) | instskip(SKIP_1) | instid1(VALU_DEP_2)
	v_fma_f64 v[38:39], v[34:35], v[42:43], -v[38:39]
	v_mul_f64 v[34:35], v[34:35], v[44:45]
	v_add_f64 v[48:49], v[48:49], v[38:39]
	s_delay_alu instid0(VALU_DEP_2) | instskip(NEXT) | instid1(VALU_DEP_1)
	v_fma_f64 v[34:35], v[36:37], v[42:43], v[34:35]
	v_add_f64 v[46:47], v[46:47], v[34:35]
	ds_load_b128 v[34:37], v57 offset:112
	ds_load_b128 v[38:41], v55 offset:3584
	s_waitcnt lgkmcnt(0)
	v_mul_f64 v[42:43], v[36:37], v[40:41]
	v_mul_f64 v[44:45], v[34:35], v[40:41]
	s_delay_alu instid0(VALU_DEP_2) | instskip(NEXT) | instid1(VALU_DEP_2)
	v_fma_f64 v[42:43], v[34:35], v[38:39], -v[42:43]
	v_fma_f64 v[44:45], v[36:37], v[38:39], v[44:45]
	s_delay_alu instid0(VALU_DEP_2) | instskip(NEXT) | instid1(VALU_DEP_2)
	v_add_f64 v[2:3], v[2:3], v[42:43]
	v_add_f64 v[71:72], v[71:72], v[44:45]
	ds_load_b128 v[42:45], v55 offset:3840
	s_waitcnt lgkmcnt(0)
	v_mul_f64 v[73:74], v[36:37], v[44:45]
	s_delay_alu instid0(VALU_DEP_1) | instskip(SKIP_1) | instid1(VALU_DEP_2)
	v_fma_f64 v[73:74], v[34:35], v[42:43], -v[73:74]
	v_mul_f64 v[34:35], v[34:35], v[44:45]
	v_add_f64 v[52:53], v[52:53], v[73:74]
	s_delay_alu instid0(VALU_DEP_2) | instskip(NEXT) | instid1(VALU_DEP_1)
	v_fma_f64 v[34:35], v[36:37], v[42:43], v[34:35]
	v_add_f64 v[50:51], v[50:51], v[34:35]
	ds_load_b128 v[34:37], v57 offset:8304
	s_waitcnt lgkmcnt(0)
	v_mul_f64 v[73:74], v[36:37], v[40:41]
	v_mul_f64 v[40:41], v[34:35], v[40:41]
	s_delay_alu instid0(VALU_DEP_2) | instskip(NEXT) | instid1(VALU_DEP_2)
	v_fma_f64 v[73:74], v[34:35], v[38:39], -v[73:74]
	v_fma_f64 v[38:39], v[36:37], v[38:39], v[40:41]
	s_delay_alu instid0(VALU_DEP_2) | instskip(NEXT) | instid1(VALU_DEP_2)
	v_add_f64 v[67:68], v[67:68], v[73:74]
	v_add_f64 v[69:70], v[69:70], v[38:39]
	v_mul_f64 v[38:39], v[36:37], v[44:45]
	s_delay_alu instid0(VALU_DEP_1) | instskip(SKIP_1) | instid1(VALU_DEP_2)
	v_fma_f64 v[38:39], v[34:35], v[42:43], -v[38:39]
	v_mul_f64 v[34:35], v[34:35], v[44:45]
	v_add_f64 v[48:49], v[48:49], v[38:39]
	s_delay_alu instid0(VALU_DEP_2) | instskip(NEXT) | instid1(VALU_DEP_1)
	v_fma_f64 v[34:35], v[36:37], v[42:43], v[34:35]
	v_add_f64 v[46:47], v[46:47], v[34:35]
	ds_load_b128 v[34:37], v57 offset:128
	ds_load_b128 v[38:41], v55 offset:4096
	s_waitcnt lgkmcnt(0)
	v_mul_f64 v[42:43], v[36:37], v[40:41]
	v_mul_f64 v[44:45], v[34:35], v[40:41]
	s_delay_alu instid0(VALU_DEP_2) | instskip(NEXT) | instid1(VALU_DEP_2)
	v_fma_f64 v[42:43], v[34:35], v[38:39], -v[42:43]
	v_fma_f64 v[44:45], v[36:37], v[38:39], v[44:45]
	s_delay_alu instid0(VALU_DEP_2) | instskip(NEXT) | instid1(VALU_DEP_2)
	v_add_f64 v[2:3], v[2:3], v[42:43]
	v_add_f64 v[71:72], v[71:72], v[44:45]
	ds_load_b128 v[42:45], v55 offset:4352
	s_waitcnt lgkmcnt(0)
	v_mul_f64 v[73:74], v[36:37], v[44:45]
	s_delay_alu instid0(VALU_DEP_1) | instskip(SKIP_1) | instid1(VALU_DEP_2)
	v_fma_f64 v[73:74], v[34:35], v[42:43], -v[73:74]
	v_mul_f64 v[34:35], v[34:35], v[44:45]
	v_add_f64 v[52:53], v[52:53], v[73:74]
	s_delay_alu instid0(VALU_DEP_2) | instskip(NEXT) | instid1(VALU_DEP_1)
	v_fma_f64 v[34:35], v[36:37], v[42:43], v[34:35]
	v_add_f64 v[50:51], v[50:51], v[34:35]
	ds_load_b128 v[34:37], v57 offset:8320
	s_waitcnt lgkmcnt(0)
	v_mul_f64 v[73:74], v[36:37], v[40:41]
	v_mul_f64 v[40:41], v[34:35], v[40:41]
	s_delay_alu instid0(VALU_DEP_2) | instskip(NEXT) | instid1(VALU_DEP_2)
	v_fma_f64 v[73:74], v[34:35], v[38:39], -v[73:74]
	v_fma_f64 v[38:39], v[36:37], v[38:39], v[40:41]
	s_delay_alu instid0(VALU_DEP_2) | instskip(NEXT) | instid1(VALU_DEP_2)
	v_add_f64 v[67:68], v[67:68], v[73:74]
	v_add_f64 v[69:70], v[69:70], v[38:39]
	v_mul_f64 v[38:39], v[36:37], v[44:45]
	s_delay_alu instid0(VALU_DEP_1) | instskip(SKIP_1) | instid1(VALU_DEP_2)
	v_fma_f64 v[38:39], v[34:35], v[42:43], -v[38:39]
	v_mul_f64 v[34:35], v[34:35], v[44:45]
	v_add_f64 v[48:49], v[48:49], v[38:39]
	s_delay_alu instid0(VALU_DEP_2) | instskip(NEXT) | instid1(VALU_DEP_1)
	v_fma_f64 v[34:35], v[36:37], v[42:43], v[34:35]
	v_add_f64 v[46:47], v[46:47], v[34:35]
	ds_load_b128 v[34:37], v57 offset:144
	ds_load_b128 v[38:41], v55 offset:4608
	s_waitcnt lgkmcnt(0)
	v_mul_f64 v[42:43], v[36:37], v[40:41]
	v_mul_f64 v[44:45], v[34:35], v[40:41]
	s_delay_alu instid0(VALU_DEP_2) | instskip(NEXT) | instid1(VALU_DEP_2)
	v_fma_f64 v[42:43], v[34:35], v[38:39], -v[42:43]
	v_fma_f64 v[44:45], v[36:37], v[38:39], v[44:45]
	s_delay_alu instid0(VALU_DEP_2) | instskip(NEXT) | instid1(VALU_DEP_2)
	v_add_f64 v[2:3], v[2:3], v[42:43]
	v_add_f64 v[71:72], v[71:72], v[44:45]
	ds_load_b128 v[42:45], v55 offset:4864
	s_waitcnt lgkmcnt(0)
	v_mul_f64 v[73:74], v[36:37], v[44:45]
	s_delay_alu instid0(VALU_DEP_1) | instskip(SKIP_1) | instid1(VALU_DEP_2)
	v_fma_f64 v[73:74], v[34:35], v[42:43], -v[73:74]
	v_mul_f64 v[34:35], v[34:35], v[44:45]
	v_add_f64 v[52:53], v[52:53], v[73:74]
	s_delay_alu instid0(VALU_DEP_2) | instskip(NEXT) | instid1(VALU_DEP_1)
	v_fma_f64 v[34:35], v[36:37], v[42:43], v[34:35]
	v_add_f64 v[50:51], v[50:51], v[34:35]
	ds_load_b128 v[34:37], v57 offset:8336
	s_waitcnt lgkmcnt(0)
	v_mul_f64 v[73:74], v[36:37], v[40:41]
	v_mul_f64 v[40:41], v[34:35], v[40:41]
	s_delay_alu instid0(VALU_DEP_2) | instskip(NEXT) | instid1(VALU_DEP_2)
	v_fma_f64 v[73:74], v[34:35], v[38:39], -v[73:74]
	v_fma_f64 v[38:39], v[36:37], v[38:39], v[40:41]
	s_delay_alu instid0(VALU_DEP_2) | instskip(NEXT) | instid1(VALU_DEP_2)
	v_add_f64 v[67:68], v[67:68], v[73:74]
	v_add_f64 v[69:70], v[69:70], v[38:39]
	v_mul_f64 v[38:39], v[36:37], v[44:45]
	s_delay_alu instid0(VALU_DEP_1) | instskip(SKIP_1) | instid1(VALU_DEP_2)
	v_fma_f64 v[38:39], v[34:35], v[42:43], -v[38:39]
	v_mul_f64 v[34:35], v[34:35], v[44:45]
	v_add_f64 v[48:49], v[48:49], v[38:39]
	s_delay_alu instid0(VALU_DEP_2) | instskip(NEXT) | instid1(VALU_DEP_1)
	v_fma_f64 v[34:35], v[36:37], v[42:43], v[34:35]
	v_add_f64 v[46:47], v[46:47], v[34:35]
	ds_load_b128 v[34:37], v57 offset:160
	ds_load_b128 v[38:41], v55 offset:5120
	s_waitcnt lgkmcnt(0)
	v_mul_f64 v[42:43], v[36:37], v[40:41]
	v_mul_f64 v[44:45], v[34:35], v[40:41]
	s_delay_alu instid0(VALU_DEP_2) | instskip(NEXT) | instid1(VALU_DEP_2)
	v_fma_f64 v[42:43], v[34:35], v[38:39], -v[42:43]
	v_fma_f64 v[44:45], v[36:37], v[38:39], v[44:45]
	s_delay_alu instid0(VALU_DEP_2) | instskip(NEXT) | instid1(VALU_DEP_2)
	v_add_f64 v[2:3], v[2:3], v[42:43]
	v_add_f64 v[71:72], v[71:72], v[44:45]
	ds_load_b128 v[42:45], v55 offset:5376
	s_waitcnt lgkmcnt(0)
	v_mul_f64 v[73:74], v[36:37], v[44:45]
	s_delay_alu instid0(VALU_DEP_1) | instskip(SKIP_1) | instid1(VALU_DEP_2)
	v_fma_f64 v[73:74], v[34:35], v[42:43], -v[73:74]
	v_mul_f64 v[34:35], v[34:35], v[44:45]
	v_add_f64 v[52:53], v[52:53], v[73:74]
	s_delay_alu instid0(VALU_DEP_2) | instskip(NEXT) | instid1(VALU_DEP_1)
	v_fma_f64 v[34:35], v[36:37], v[42:43], v[34:35]
	v_add_f64 v[50:51], v[50:51], v[34:35]
	ds_load_b128 v[34:37], v57 offset:8352
	s_waitcnt lgkmcnt(0)
	v_mul_f64 v[73:74], v[36:37], v[40:41]
	v_mul_f64 v[40:41], v[34:35], v[40:41]
	s_delay_alu instid0(VALU_DEP_2) | instskip(NEXT) | instid1(VALU_DEP_2)
	v_fma_f64 v[73:74], v[34:35], v[38:39], -v[73:74]
	v_fma_f64 v[38:39], v[36:37], v[38:39], v[40:41]
	s_delay_alu instid0(VALU_DEP_2) | instskip(NEXT) | instid1(VALU_DEP_2)
	v_add_f64 v[67:68], v[67:68], v[73:74]
	v_add_f64 v[69:70], v[69:70], v[38:39]
	v_mul_f64 v[38:39], v[36:37], v[44:45]
	s_delay_alu instid0(VALU_DEP_1) | instskip(SKIP_1) | instid1(VALU_DEP_2)
	v_fma_f64 v[38:39], v[34:35], v[42:43], -v[38:39]
	v_mul_f64 v[34:35], v[34:35], v[44:45]
	v_add_f64 v[48:49], v[48:49], v[38:39]
	s_delay_alu instid0(VALU_DEP_2) | instskip(NEXT) | instid1(VALU_DEP_1)
	v_fma_f64 v[34:35], v[36:37], v[42:43], v[34:35]
	v_add_f64 v[46:47], v[46:47], v[34:35]
	ds_load_b128 v[34:37], v57 offset:176
	ds_load_b128 v[38:41], v55 offset:5632
	s_waitcnt lgkmcnt(0)
	v_mul_f64 v[42:43], v[36:37], v[40:41]
	v_mul_f64 v[44:45], v[34:35], v[40:41]
	s_delay_alu instid0(VALU_DEP_2) | instskip(NEXT) | instid1(VALU_DEP_2)
	v_fma_f64 v[42:43], v[34:35], v[38:39], -v[42:43]
	v_fma_f64 v[44:45], v[36:37], v[38:39], v[44:45]
	s_delay_alu instid0(VALU_DEP_2) | instskip(NEXT) | instid1(VALU_DEP_2)
	v_add_f64 v[2:3], v[2:3], v[42:43]
	v_add_f64 v[71:72], v[71:72], v[44:45]
	ds_load_b128 v[42:45], v55 offset:5888
	s_waitcnt lgkmcnt(0)
	v_mul_f64 v[73:74], v[36:37], v[44:45]
	s_delay_alu instid0(VALU_DEP_1) | instskip(SKIP_1) | instid1(VALU_DEP_2)
	v_fma_f64 v[73:74], v[34:35], v[42:43], -v[73:74]
	v_mul_f64 v[34:35], v[34:35], v[44:45]
	v_add_f64 v[52:53], v[52:53], v[73:74]
	s_delay_alu instid0(VALU_DEP_2) | instskip(NEXT) | instid1(VALU_DEP_1)
	v_fma_f64 v[34:35], v[36:37], v[42:43], v[34:35]
	v_add_f64 v[50:51], v[50:51], v[34:35]
	ds_load_b128 v[34:37], v57 offset:8368
	s_waitcnt lgkmcnt(0)
	v_mul_f64 v[73:74], v[36:37], v[40:41]
	v_mul_f64 v[40:41], v[34:35], v[40:41]
	s_delay_alu instid0(VALU_DEP_2) | instskip(NEXT) | instid1(VALU_DEP_2)
	v_fma_f64 v[73:74], v[34:35], v[38:39], -v[73:74]
	v_fma_f64 v[38:39], v[36:37], v[38:39], v[40:41]
	s_delay_alu instid0(VALU_DEP_2) | instskip(NEXT) | instid1(VALU_DEP_2)
	v_add_f64 v[67:68], v[67:68], v[73:74]
	v_add_f64 v[69:70], v[69:70], v[38:39]
	v_mul_f64 v[38:39], v[36:37], v[44:45]
	s_delay_alu instid0(VALU_DEP_1) | instskip(SKIP_1) | instid1(VALU_DEP_2)
	v_fma_f64 v[38:39], v[34:35], v[42:43], -v[38:39]
	v_mul_f64 v[34:35], v[34:35], v[44:45]
	v_add_f64 v[48:49], v[48:49], v[38:39]
	s_delay_alu instid0(VALU_DEP_2) | instskip(NEXT) | instid1(VALU_DEP_1)
	v_fma_f64 v[34:35], v[36:37], v[42:43], v[34:35]
	v_add_f64 v[46:47], v[46:47], v[34:35]
	ds_load_b128 v[34:37], v57 offset:192
	ds_load_b128 v[38:41], v55 offset:6144
	s_waitcnt lgkmcnt(0)
	v_mul_f64 v[42:43], v[36:37], v[40:41]
	v_mul_f64 v[44:45], v[34:35], v[40:41]
	s_delay_alu instid0(VALU_DEP_2) | instskip(NEXT) | instid1(VALU_DEP_2)
	v_fma_f64 v[42:43], v[34:35], v[38:39], -v[42:43]
	v_fma_f64 v[44:45], v[36:37], v[38:39], v[44:45]
	s_delay_alu instid0(VALU_DEP_2) | instskip(NEXT) | instid1(VALU_DEP_2)
	v_add_f64 v[2:3], v[2:3], v[42:43]
	v_add_f64 v[71:72], v[71:72], v[44:45]
	ds_load_b128 v[42:45], v55 offset:6400
	s_waitcnt lgkmcnt(0)
	v_mul_f64 v[73:74], v[36:37], v[44:45]
	s_delay_alu instid0(VALU_DEP_1) | instskip(SKIP_1) | instid1(VALU_DEP_2)
	v_fma_f64 v[73:74], v[34:35], v[42:43], -v[73:74]
	v_mul_f64 v[34:35], v[34:35], v[44:45]
	v_add_f64 v[52:53], v[52:53], v[73:74]
	s_delay_alu instid0(VALU_DEP_2) | instskip(NEXT) | instid1(VALU_DEP_1)
	v_fma_f64 v[34:35], v[36:37], v[42:43], v[34:35]
	v_add_f64 v[50:51], v[50:51], v[34:35]
	ds_load_b128 v[34:37], v57 offset:8384
	s_waitcnt lgkmcnt(0)
	v_mul_f64 v[73:74], v[36:37], v[40:41]
	v_mul_f64 v[40:41], v[34:35], v[40:41]
	s_delay_alu instid0(VALU_DEP_2) | instskip(NEXT) | instid1(VALU_DEP_2)
	v_fma_f64 v[73:74], v[34:35], v[38:39], -v[73:74]
	v_fma_f64 v[38:39], v[36:37], v[38:39], v[40:41]
	s_delay_alu instid0(VALU_DEP_2) | instskip(NEXT) | instid1(VALU_DEP_2)
	v_add_f64 v[67:68], v[67:68], v[73:74]
	v_add_f64 v[69:70], v[69:70], v[38:39]
	v_mul_f64 v[38:39], v[36:37], v[44:45]
	s_delay_alu instid0(VALU_DEP_1) | instskip(SKIP_1) | instid1(VALU_DEP_2)
	v_fma_f64 v[38:39], v[34:35], v[42:43], -v[38:39]
	v_mul_f64 v[34:35], v[34:35], v[44:45]
	v_add_f64 v[48:49], v[48:49], v[38:39]
	s_delay_alu instid0(VALU_DEP_2) | instskip(NEXT) | instid1(VALU_DEP_1)
	v_fma_f64 v[34:35], v[36:37], v[42:43], v[34:35]
	v_add_f64 v[46:47], v[46:47], v[34:35]
	ds_load_b128 v[34:37], v57 offset:208
	ds_load_b128 v[38:41], v55 offset:6656
	s_waitcnt lgkmcnt(0)
	v_mul_f64 v[42:43], v[36:37], v[40:41]
	v_mul_f64 v[44:45], v[34:35], v[40:41]
	s_delay_alu instid0(VALU_DEP_2) | instskip(NEXT) | instid1(VALU_DEP_2)
	v_fma_f64 v[42:43], v[34:35], v[38:39], -v[42:43]
	v_fma_f64 v[44:45], v[36:37], v[38:39], v[44:45]
	s_delay_alu instid0(VALU_DEP_2) | instskip(NEXT) | instid1(VALU_DEP_2)
	v_add_f64 v[2:3], v[2:3], v[42:43]
	v_add_f64 v[71:72], v[71:72], v[44:45]
	ds_load_b128 v[42:45], v55 offset:6912
	s_waitcnt lgkmcnt(0)
	v_mul_f64 v[73:74], v[36:37], v[44:45]
	s_delay_alu instid0(VALU_DEP_1) | instskip(SKIP_1) | instid1(VALU_DEP_2)
	v_fma_f64 v[73:74], v[34:35], v[42:43], -v[73:74]
	v_mul_f64 v[34:35], v[34:35], v[44:45]
	v_add_f64 v[52:53], v[52:53], v[73:74]
	s_delay_alu instid0(VALU_DEP_2) | instskip(NEXT) | instid1(VALU_DEP_1)
	v_fma_f64 v[34:35], v[36:37], v[42:43], v[34:35]
	v_add_f64 v[50:51], v[50:51], v[34:35]
	ds_load_b128 v[34:37], v57 offset:8400
	s_waitcnt lgkmcnt(0)
	v_mul_f64 v[73:74], v[36:37], v[40:41]
	v_mul_f64 v[40:41], v[34:35], v[40:41]
	s_delay_alu instid0(VALU_DEP_2) | instskip(NEXT) | instid1(VALU_DEP_2)
	v_fma_f64 v[73:74], v[34:35], v[38:39], -v[73:74]
	v_fma_f64 v[38:39], v[36:37], v[38:39], v[40:41]
	s_delay_alu instid0(VALU_DEP_2) | instskip(NEXT) | instid1(VALU_DEP_2)
	v_add_f64 v[67:68], v[67:68], v[73:74]
	v_add_f64 v[69:70], v[69:70], v[38:39]
	v_mul_f64 v[38:39], v[36:37], v[44:45]
	s_delay_alu instid0(VALU_DEP_1) | instskip(SKIP_1) | instid1(VALU_DEP_2)
	v_fma_f64 v[38:39], v[34:35], v[42:43], -v[38:39]
	v_mul_f64 v[34:35], v[34:35], v[44:45]
	v_add_f64 v[48:49], v[48:49], v[38:39]
	s_delay_alu instid0(VALU_DEP_2) | instskip(NEXT) | instid1(VALU_DEP_1)
	v_fma_f64 v[34:35], v[36:37], v[42:43], v[34:35]
	v_add_f64 v[46:47], v[46:47], v[34:35]
	ds_load_b128 v[34:37], v57 offset:224
	ds_load_b128 v[38:41], v55 offset:7168
	s_waitcnt lgkmcnt(0)
	v_mul_f64 v[42:43], v[36:37], v[40:41]
	v_mul_f64 v[44:45], v[34:35], v[40:41]
	s_delay_alu instid0(VALU_DEP_2) | instskip(NEXT) | instid1(VALU_DEP_2)
	v_fma_f64 v[42:43], v[34:35], v[38:39], -v[42:43]
	v_fma_f64 v[44:45], v[36:37], v[38:39], v[44:45]
	s_delay_alu instid0(VALU_DEP_2) | instskip(NEXT) | instid1(VALU_DEP_2)
	v_add_f64 v[2:3], v[2:3], v[42:43]
	v_add_f64 v[71:72], v[71:72], v[44:45]
	ds_load_b128 v[42:45], v55 offset:7424
	s_waitcnt lgkmcnt(0)
	v_mul_f64 v[73:74], v[36:37], v[44:45]
	s_delay_alu instid0(VALU_DEP_1) | instskip(SKIP_1) | instid1(VALU_DEP_2)
	v_fma_f64 v[73:74], v[34:35], v[42:43], -v[73:74]
	v_mul_f64 v[34:35], v[34:35], v[44:45]
	v_add_f64 v[52:53], v[52:53], v[73:74]
	s_delay_alu instid0(VALU_DEP_2) | instskip(NEXT) | instid1(VALU_DEP_1)
	v_fma_f64 v[34:35], v[36:37], v[42:43], v[34:35]
	v_add_f64 v[50:51], v[50:51], v[34:35]
	ds_load_b128 v[34:37], v57 offset:8416
	s_waitcnt lgkmcnt(0)
	v_mul_f64 v[73:74], v[36:37], v[40:41]
	v_mul_f64 v[40:41], v[34:35], v[40:41]
	s_delay_alu instid0(VALU_DEP_2) | instskip(NEXT) | instid1(VALU_DEP_2)
	v_fma_f64 v[73:74], v[34:35], v[38:39], -v[73:74]
	v_fma_f64 v[38:39], v[36:37], v[38:39], v[40:41]
	s_delay_alu instid0(VALU_DEP_2) | instskip(NEXT) | instid1(VALU_DEP_2)
	v_add_f64 v[67:68], v[67:68], v[73:74]
	v_add_f64 v[69:70], v[69:70], v[38:39]
	v_mul_f64 v[38:39], v[36:37], v[44:45]
	s_delay_alu instid0(VALU_DEP_1) | instskip(SKIP_1) | instid1(VALU_DEP_2)
	v_fma_f64 v[38:39], v[34:35], v[42:43], -v[38:39]
	v_mul_f64 v[34:35], v[34:35], v[44:45]
	v_add_f64 v[48:49], v[48:49], v[38:39]
	s_delay_alu instid0(VALU_DEP_2) | instskip(NEXT) | instid1(VALU_DEP_1)
	v_fma_f64 v[34:35], v[36:37], v[42:43], v[34:35]
	v_add_f64 v[46:47], v[46:47], v[34:35]
	ds_load_b128 v[34:37], v57 offset:240
	ds_load_b128 v[38:41], v55 offset:7680
	s_waitcnt lgkmcnt(0)
	v_mul_f64 v[42:43], v[36:37], v[40:41]
	v_mul_f64 v[44:45], v[34:35], v[40:41]
	s_delay_alu instid0(VALU_DEP_2) | instskip(NEXT) | instid1(VALU_DEP_2)
	v_fma_f64 v[42:43], v[34:35], v[38:39], -v[42:43]
	v_fma_f64 v[44:45], v[36:37], v[38:39], v[44:45]
	s_delay_alu instid0(VALU_DEP_2) | instskip(NEXT) | instid1(VALU_DEP_2)
	v_add_f64 v[2:3], v[2:3], v[42:43]
	v_add_f64 v[71:72], v[71:72], v[44:45]
	ds_load_b128 v[42:45], v55 offset:7936
	s_waitcnt lgkmcnt(0)
	v_mul_f64 v[73:74], v[36:37], v[44:45]
	s_delay_alu instid0(VALU_DEP_1) | instskip(SKIP_1) | instid1(VALU_DEP_2)
	v_fma_f64 v[73:74], v[34:35], v[42:43], -v[73:74]
	v_mul_f64 v[34:35], v[34:35], v[44:45]
	v_add_f64 v[52:53], v[52:53], v[73:74]
	s_delay_alu instid0(VALU_DEP_2) | instskip(NEXT) | instid1(VALU_DEP_1)
	v_fma_f64 v[34:35], v[36:37], v[42:43], v[34:35]
	v_add_f64 v[50:51], v[50:51], v[34:35]
	ds_load_b128 v[34:37], v57 offset:8432
	s_waitcnt lgkmcnt(0)
	v_mul_f64 v[73:74], v[36:37], v[40:41]
	v_mul_f64 v[40:41], v[34:35], v[40:41]
	s_delay_alu instid0(VALU_DEP_2) | instskip(NEXT) | instid1(VALU_DEP_2)
	v_fma_f64 v[73:74], v[34:35], v[38:39], -v[73:74]
	v_fma_f64 v[38:39], v[36:37], v[38:39], v[40:41]
	s_delay_alu instid0(VALU_DEP_2) | instskip(NEXT) | instid1(VALU_DEP_2)
	v_add_f64 v[67:68], v[67:68], v[73:74]
	v_add_f64 v[69:70], v[69:70], v[38:39]
	v_mul_f64 v[38:39], v[36:37], v[44:45]
	s_delay_alu instid0(VALU_DEP_1) | instskip(SKIP_1) | instid1(VALU_DEP_2)
	v_fma_f64 v[38:39], v[34:35], v[42:43], -v[38:39]
	v_mul_f64 v[34:35], v[34:35], v[44:45]
	v_add_f64 v[48:49], v[48:49], v[38:39]
	s_delay_alu instid0(VALU_DEP_2) | instskip(NEXT) | instid1(VALU_DEP_1)
	v_fma_f64 v[34:35], v[36:37], v[42:43], v[34:35]
	v_add_f64 v[46:47], v[46:47], v[34:35]
	ds_load_b128 v[34:37], v57 offset:256
	ds_load_b128 v[38:41], v55 offset:8192
	s_waitcnt lgkmcnt(0)
	v_mul_f64 v[42:43], v[36:37], v[40:41]
	v_mul_f64 v[44:45], v[34:35], v[40:41]
	s_delay_alu instid0(VALU_DEP_2) | instskip(NEXT) | instid1(VALU_DEP_2)
	v_fma_f64 v[42:43], v[34:35], v[38:39], -v[42:43]
	v_fma_f64 v[44:45], v[36:37], v[38:39], v[44:45]
	s_delay_alu instid0(VALU_DEP_2) | instskip(NEXT) | instid1(VALU_DEP_2)
	v_add_f64 v[2:3], v[2:3], v[42:43]
	v_add_f64 v[71:72], v[71:72], v[44:45]
	ds_load_b128 v[42:45], v55 offset:8448
	s_waitcnt lgkmcnt(0)
	v_mul_f64 v[73:74], v[36:37], v[44:45]
	s_delay_alu instid0(VALU_DEP_1) | instskip(SKIP_1) | instid1(VALU_DEP_2)
	v_fma_f64 v[73:74], v[34:35], v[42:43], -v[73:74]
	v_mul_f64 v[34:35], v[34:35], v[44:45]
	v_add_f64 v[52:53], v[52:53], v[73:74]
	s_delay_alu instid0(VALU_DEP_2) | instskip(NEXT) | instid1(VALU_DEP_1)
	v_fma_f64 v[34:35], v[36:37], v[42:43], v[34:35]
	v_add_f64 v[50:51], v[50:51], v[34:35]
	ds_load_b128 v[34:37], v57 offset:8448
	s_waitcnt lgkmcnt(0)
	v_mul_f64 v[73:74], v[36:37], v[40:41]
	v_mul_f64 v[40:41], v[34:35], v[40:41]
	s_delay_alu instid0(VALU_DEP_2) | instskip(NEXT) | instid1(VALU_DEP_2)
	v_fma_f64 v[73:74], v[34:35], v[38:39], -v[73:74]
	v_fma_f64 v[38:39], v[36:37], v[38:39], v[40:41]
	s_delay_alu instid0(VALU_DEP_2) | instskip(NEXT) | instid1(VALU_DEP_2)
	v_add_f64 v[67:68], v[67:68], v[73:74]
	v_add_f64 v[69:70], v[69:70], v[38:39]
	v_mul_f64 v[38:39], v[36:37], v[44:45]
	s_delay_alu instid0(VALU_DEP_1) | instskip(SKIP_1) | instid1(VALU_DEP_2)
	v_fma_f64 v[38:39], v[34:35], v[42:43], -v[38:39]
	v_mul_f64 v[34:35], v[34:35], v[44:45]
	v_add_f64 v[48:49], v[48:49], v[38:39]
	s_delay_alu instid0(VALU_DEP_2) | instskip(NEXT) | instid1(VALU_DEP_1)
	v_fma_f64 v[34:35], v[36:37], v[42:43], v[34:35]
	v_add_f64 v[46:47], v[46:47], v[34:35]
	ds_load_b128 v[34:37], v57 offset:272
	ds_load_b128 v[38:41], v55 offset:8704
	s_waitcnt lgkmcnt(0)
	v_mul_f64 v[42:43], v[36:37], v[40:41]
	v_mul_f64 v[44:45], v[34:35], v[40:41]
	s_delay_alu instid0(VALU_DEP_2) | instskip(NEXT) | instid1(VALU_DEP_2)
	v_fma_f64 v[42:43], v[34:35], v[38:39], -v[42:43]
	v_fma_f64 v[44:45], v[36:37], v[38:39], v[44:45]
	s_delay_alu instid0(VALU_DEP_2) | instskip(NEXT) | instid1(VALU_DEP_2)
	v_add_f64 v[2:3], v[2:3], v[42:43]
	v_add_f64 v[71:72], v[71:72], v[44:45]
	ds_load_b128 v[42:45], v55 offset:8960
	s_waitcnt lgkmcnt(0)
	v_mul_f64 v[73:74], v[36:37], v[44:45]
	s_delay_alu instid0(VALU_DEP_1) | instskip(SKIP_1) | instid1(VALU_DEP_2)
	v_fma_f64 v[73:74], v[34:35], v[42:43], -v[73:74]
	v_mul_f64 v[34:35], v[34:35], v[44:45]
	v_add_f64 v[52:53], v[52:53], v[73:74]
	s_delay_alu instid0(VALU_DEP_2) | instskip(NEXT) | instid1(VALU_DEP_1)
	v_fma_f64 v[34:35], v[36:37], v[42:43], v[34:35]
	v_add_f64 v[50:51], v[50:51], v[34:35]
	ds_load_b128 v[34:37], v57 offset:8464
	s_waitcnt lgkmcnt(0)
	v_mul_f64 v[73:74], v[36:37], v[40:41]
	v_mul_f64 v[40:41], v[34:35], v[40:41]
	s_delay_alu instid0(VALU_DEP_2) | instskip(NEXT) | instid1(VALU_DEP_2)
	v_fma_f64 v[73:74], v[34:35], v[38:39], -v[73:74]
	v_fma_f64 v[38:39], v[36:37], v[38:39], v[40:41]
	s_delay_alu instid0(VALU_DEP_2) | instskip(NEXT) | instid1(VALU_DEP_2)
	v_add_f64 v[67:68], v[67:68], v[73:74]
	v_add_f64 v[69:70], v[69:70], v[38:39]
	v_mul_f64 v[38:39], v[36:37], v[44:45]
	s_delay_alu instid0(VALU_DEP_1) | instskip(SKIP_1) | instid1(VALU_DEP_2)
	v_fma_f64 v[38:39], v[34:35], v[42:43], -v[38:39]
	v_mul_f64 v[34:35], v[34:35], v[44:45]
	v_add_f64 v[48:49], v[48:49], v[38:39]
	s_delay_alu instid0(VALU_DEP_2) | instskip(NEXT) | instid1(VALU_DEP_1)
	v_fma_f64 v[34:35], v[36:37], v[42:43], v[34:35]
	v_add_f64 v[46:47], v[46:47], v[34:35]
	ds_load_b128 v[34:37], v57 offset:288
	ds_load_b128 v[38:41], v55 offset:9216
	s_waitcnt lgkmcnt(0)
	v_mul_f64 v[42:43], v[36:37], v[40:41]
	v_mul_f64 v[44:45], v[34:35], v[40:41]
	s_delay_alu instid0(VALU_DEP_2) | instskip(NEXT) | instid1(VALU_DEP_2)
	v_fma_f64 v[42:43], v[34:35], v[38:39], -v[42:43]
	v_fma_f64 v[44:45], v[36:37], v[38:39], v[44:45]
	s_delay_alu instid0(VALU_DEP_2) | instskip(NEXT) | instid1(VALU_DEP_2)
	v_add_f64 v[2:3], v[2:3], v[42:43]
	v_add_f64 v[71:72], v[71:72], v[44:45]
	ds_load_b128 v[42:45], v55 offset:9472
	s_waitcnt lgkmcnt(0)
	v_mul_f64 v[73:74], v[36:37], v[44:45]
	s_delay_alu instid0(VALU_DEP_1) | instskip(SKIP_1) | instid1(VALU_DEP_2)
	v_fma_f64 v[73:74], v[34:35], v[42:43], -v[73:74]
	v_mul_f64 v[34:35], v[34:35], v[44:45]
	v_add_f64 v[52:53], v[52:53], v[73:74]
	s_delay_alu instid0(VALU_DEP_2) | instskip(NEXT) | instid1(VALU_DEP_1)
	v_fma_f64 v[34:35], v[36:37], v[42:43], v[34:35]
	v_add_f64 v[50:51], v[50:51], v[34:35]
	ds_load_b128 v[34:37], v57 offset:8480
	s_waitcnt lgkmcnt(0)
	v_mul_f64 v[73:74], v[36:37], v[40:41]
	v_mul_f64 v[40:41], v[34:35], v[40:41]
	s_delay_alu instid0(VALU_DEP_2) | instskip(NEXT) | instid1(VALU_DEP_2)
	v_fma_f64 v[73:74], v[34:35], v[38:39], -v[73:74]
	v_fma_f64 v[38:39], v[36:37], v[38:39], v[40:41]
	s_delay_alu instid0(VALU_DEP_2) | instskip(NEXT) | instid1(VALU_DEP_2)
	v_add_f64 v[67:68], v[67:68], v[73:74]
	v_add_f64 v[69:70], v[69:70], v[38:39]
	v_mul_f64 v[38:39], v[36:37], v[44:45]
	s_delay_alu instid0(VALU_DEP_1) | instskip(SKIP_1) | instid1(VALU_DEP_2)
	v_fma_f64 v[38:39], v[34:35], v[42:43], -v[38:39]
	v_mul_f64 v[34:35], v[34:35], v[44:45]
	v_add_f64 v[48:49], v[48:49], v[38:39]
	s_delay_alu instid0(VALU_DEP_2) | instskip(NEXT) | instid1(VALU_DEP_1)
	v_fma_f64 v[34:35], v[36:37], v[42:43], v[34:35]
	v_add_f64 v[46:47], v[46:47], v[34:35]
	ds_load_b128 v[34:37], v57 offset:304
	ds_load_b128 v[38:41], v55 offset:9728
	s_waitcnt lgkmcnt(0)
	v_mul_f64 v[42:43], v[36:37], v[40:41]
	v_mul_f64 v[44:45], v[34:35], v[40:41]
	s_delay_alu instid0(VALU_DEP_2) | instskip(NEXT) | instid1(VALU_DEP_2)
	v_fma_f64 v[42:43], v[34:35], v[38:39], -v[42:43]
	v_fma_f64 v[44:45], v[36:37], v[38:39], v[44:45]
	s_delay_alu instid0(VALU_DEP_2) | instskip(NEXT) | instid1(VALU_DEP_2)
	v_add_f64 v[2:3], v[2:3], v[42:43]
	v_add_f64 v[71:72], v[71:72], v[44:45]
	ds_load_b128 v[42:45], v55 offset:9984
	s_waitcnt lgkmcnt(0)
	v_mul_f64 v[73:74], v[36:37], v[44:45]
	s_delay_alu instid0(VALU_DEP_1) | instskip(SKIP_1) | instid1(VALU_DEP_2)
	v_fma_f64 v[73:74], v[34:35], v[42:43], -v[73:74]
	v_mul_f64 v[34:35], v[34:35], v[44:45]
	v_add_f64 v[52:53], v[52:53], v[73:74]
	s_delay_alu instid0(VALU_DEP_2) | instskip(NEXT) | instid1(VALU_DEP_1)
	v_fma_f64 v[34:35], v[36:37], v[42:43], v[34:35]
	v_add_f64 v[50:51], v[50:51], v[34:35]
	ds_load_b128 v[34:37], v57 offset:8496
	s_waitcnt lgkmcnt(0)
	v_mul_f64 v[73:74], v[36:37], v[40:41]
	v_mul_f64 v[40:41], v[34:35], v[40:41]
	s_delay_alu instid0(VALU_DEP_2) | instskip(NEXT) | instid1(VALU_DEP_2)
	v_fma_f64 v[73:74], v[34:35], v[38:39], -v[73:74]
	v_fma_f64 v[38:39], v[36:37], v[38:39], v[40:41]
	s_delay_alu instid0(VALU_DEP_2) | instskip(NEXT) | instid1(VALU_DEP_2)
	v_add_f64 v[67:68], v[67:68], v[73:74]
	v_add_f64 v[69:70], v[69:70], v[38:39]
	v_mul_f64 v[38:39], v[36:37], v[44:45]
	s_delay_alu instid0(VALU_DEP_1) | instskip(SKIP_1) | instid1(VALU_DEP_2)
	v_fma_f64 v[38:39], v[34:35], v[42:43], -v[38:39]
	v_mul_f64 v[34:35], v[34:35], v[44:45]
	v_add_f64 v[48:49], v[48:49], v[38:39]
	s_delay_alu instid0(VALU_DEP_2) | instskip(NEXT) | instid1(VALU_DEP_1)
	v_fma_f64 v[34:35], v[36:37], v[42:43], v[34:35]
	v_add_f64 v[46:47], v[46:47], v[34:35]
	ds_load_b128 v[34:37], v57 offset:320
	ds_load_b128 v[38:41], v55 offset:10240
	s_waitcnt lgkmcnt(0)
	v_mul_f64 v[42:43], v[36:37], v[40:41]
	v_mul_f64 v[44:45], v[34:35], v[40:41]
	s_delay_alu instid0(VALU_DEP_2) | instskip(NEXT) | instid1(VALU_DEP_2)
	v_fma_f64 v[42:43], v[34:35], v[38:39], -v[42:43]
	v_fma_f64 v[44:45], v[36:37], v[38:39], v[44:45]
	s_delay_alu instid0(VALU_DEP_2) | instskip(NEXT) | instid1(VALU_DEP_2)
	v_add_f64 v[2:3], v[2:3], v[42:43]
	v_add_f64 v[71:72], v[71:72], v[44:45]
	ds_load_b128 v[42:45], v55 offset:10496
	s_waitcnt lgkmcnt(0)
	v_mul_f64 v[73:74], v[36:37], v[44:45]
	s_delay_alu instid0(VALU_DEP_1) | instskip(SKIP_1) | instid1(VALU_DEP_2)
	v_fma_f64 v[73:74], v[34:35], v[42:43], -v[73:74]
	v_mul_f64 v[34:35], v[34:35], v[44:45]
	v_add_f64 v[52:53], v[52:53], v[73:74]
	s_delay_alu instid0(VALU_DEP_2) | instskip(NEXT) | instid1(VALU_DEP_1)
	v_fma_f64 v[34:35], v[36:37], v[42:43], v[34:35]
	v_add_f64 v[50:51], v[50:51], v[34:35]
	ds_load_b128 v[34:37], v57 offset:8512
	s_waitcnt lgkmcnt(0)
	v_mul_f64 v[73:74], v[36:37], v[40:41]
	v_mul_f64 v[40:41], v[34:35], v[40:41]
	s_delay_alu instid0(VALU_DEP_2) | instskip(NEXT) | instid1(VALU_DEP_2)
	v_fma_f64 v[73:74], v[34:35], v[38:39], -v[73:74]
	v_fma_f64 v[38:39], v[36:37], v[38:39], v[40:41]
	s_delay_alu instid0(VALU_DEP_2) | instskip(NEXT) | instid1(VALU_DEP_2)
	v_add_f64 v[67:68], v[67:68], v[73:74]
	v_add_f64 v[69:70], v[69:70], v[38:39]
	v_mul_f64 v[38:39], v[36:37], v[44:45]
	s_delay_alu instid0(VALU_DEP_1) | instskip(SKIP_1) | instid1(VALU_DEP_2)
	v_fma_f64 v[38:39], v[34:35], v[42:43], -v[38:39]
	v_mul_f64 v[34:35], v[34:35], v[44:45]
	v_add_f64 v[48:49], v[48:49], v[38:39]
	s_delay_alu instid0(VALU_DEP_2) | instskip(NEXT) | instid1(VALU_DEP_1)
	v_fma_f64 v[34:35], v[36:37], v[42:43], v[34:35]
	v_add_f64 v[46:47], v[46:47], v[34:35]
	ds_load_b128 v[34:37], v57 offset:336
	ds_load_b128 v[38:41], v55 offset:10752
	s_waitcnt lgkmcnt(0)
	v_mul_f64 v[42:43], v[36:37], v[40:41]
	v_mul_f64 v[44:45], v[34:35], v[40:41]
	s_delay_alu instid0(VALU_DEP_2) | instskip(NEXT) | instid1(VALU_DEP_2)
	v_fma_f64 v[42:43], v[34:35], v[38:39], -v[42:43]
	v_fma_f64 v[44:45], v[36:37], v[38:39], v[44:45]
	s_delay_alu instid0(VALU_DEP_2) | instskip(NEXT) | instid1(VALU_DEP_2)
	v_add_f64 v[2:3], v[2:3], v[42:43]
	v_add_f64 v[71:72], v[71:72], v[44:45]
	ds_load_b128 v[42:45], v55 offset:11008
	s_waitcnt lgkmcnt(0)
	v_mul_f64 v[73:74], v[36:37], v[44:45]
	s_delay_alu instid0(VALU_DEP_1) | instskip(SKIP_1) | instid1(VALU_DEP_2)
	v_fma_f64 v[73:74], v[34:35], v[42:43], -v[73:74]
	v_mul_f64 v[34:35], v[34:35], v[44:45]
	v_add_f64 v[52:53], v[52:53], v[73:74]
	s_delay_alu instid0(VALU_DEP_2) | instskip(NEXT) | instid1(VALU_DEP_1)
	v_fma_f64 v[34:35], v[36:37], v[42:43], v[34:35]
	v_add_f64 v[50:51], v[50:51], v[34:35]
	ds_load_b128 v[34:37], v57 offset:8528
	s_waitcnt lgkmcnt(0)
	v_mul_f64 v[73:74], v[36:37], v[40:41]
	v_mul_f64 v[40:41], v[34:35], v[40:41]
	s_delay_alu instid0(VALU_DEP_2) | instskip(NEXT) | instid1(VALU_DEP_2)
	v_fma_f64 v[73:74], v[34:35], v[38:39], -v[73:74]
	v_fma_f64 v[38:39], v[36:37], v[38:39], v[40:41]
	s_delay_alu instid0(VALU_DEP_2) | instskip(NEXT) | instid1(VALU_DEP_2)
	v_add_f64 v[67:68], v[67:68], v[73:74]
	v_add_f64 v[69:70], v[69:70], v[38:39]
	v_mul_f64 v[38:39], v[36:37], v[44:45]
	s_delay_alu instid0(VALU_DEP_1) | instskip(SKIP_1) | instid1(VALU_DEP_2)
	v_fma_f64 v[38:39], v[34:35], v[42:43], -v[38:39]
	v_mul_f64 v[34:35], v[34:35], v[44:45]
	v_add_f64 v[48:49], v[48:49], v[38:39]
	s_delay_alu instid0(VALU_DEP_2) | instskip(NEXT) | instid1(VALU_DEP_1)
	v_fma_f64 v[34:35], v[36:37], v[42:43], v[34:35]
	v_add_f64 v[46:47], v[46:47], v[34:35]
	ds_load_b128 v[34:37], v57 offset:352
	ds_load_b128 v[38:41], v55 offset:11264
	s_waitcnt lgkmcnt(0)
	v_mul_f64 v[42:43], v[36:37], v[40:41]
	v_mul_f64 v[44:45], v[34:35], v[40:41]
	s_delay_alu instid0(VALU_DEP_2) | instskip(NEXT) | instid1(VALU_DEP_2)
	v_fma_f64 v[42:43], v[34:35], v[38:39], -v[42:43]
	v_fma_f64 v[44:45], v[36:37], v[38:39], v[44:45]
	s_delay_alu instid0(VALU_DEP_2) | instskip(NEXT) | instid1(VALU_DEP_2)
	v_add_f64 v[2:3], v[2:3], v[42:43]
	v_add_f64 v[71:72], v[71:72], v[44:45]
	ds_load_b128 v[42:45], v55 offset:11520
	s_waitcnt lgkmcnt(0)
	v_mul_f64 v[73:74], v[36:37], v[44:45]
	s_delay_alu instid0(VALU_DEP_1) | instskip(SKIP_1) | instid1(VALU_DEP_2)
	v_fma_f64 v[73:74], v[34:35], v[42:43], -v[73:74]
	v_mul_f64 v[34:35], v[34:35], v[44:45]
	v_add_f64 v[52:53], v[52:53], v[73:74]
	s_delay_alu instid0(VALU_DEP_2) | instskip(NEXT) | instid1(VALU_DEP_1)
	v_fma_f64 v[34:35], v[36:37], v[42:43], v[34:35]
	v_add_f64 v[50:51], v[50:51], v[34:35]
	ds_load_b128 v[34:37], v57 offset:8544
	s_waitcnt lgkmcnt(0)
	v_mul_f64 v[73:74], v[36:37], v[40:41]
	v_mul_f64 v[40:41], v[34:35], v[40:41]
	s_delay_alu instid0(VALU_DEP_2) | instskip(NEXT) | instid1(VALU_DEP_2)
	v_fma_f64 v[73:74], v[34:35], v[38:39], -v[73:74]
	v_fma_f64 v[38:39], v[36:37], v[38:39], v[40:41]
	s_delay_alu instid0(VALU_DEP_2) | instskip(NEXT) | instid1(VALU_DEP_2)
	v_add_f64 v[67:68], v[67:68], v[73:74]
	v_add_f64 v[69:70], v[69:70], v[38:39]
	v_mul_f64 v[38:39], v[36:37], v[44:45]
	s_delay_alu instid0(VALU_DEP_1) | instskip(SKIP_1) | instid1(VALU_DEP_2)
	v_fma_f64 v[38:39], v[34:35], v[42:43], -v[38:39]
	v_mul_f64 v[34:35], v[34:35], v[44:45]
	v_add_f64 v[48:49], v[48:49], v[38:39]
	s_delay_alu instid0(VALU_DEP_2) | instskip(NEXT) | instid1(VALU_DEP_1)
	v_fma_f64 v[34:35], v[36:37], v[42:43], v[34:35]
	v_add_f64 v[46:47], v[46:47], v[34:35]
	ds_load_b128 v[34:37], v57 offset:368
	ds_load_b128 v[38:41], v55 offset:11776
	s_waitcnt lgkmcnt(0)
	v_mul_f64 v[42:43], v[36:37], v[40:41]
	v_mul_f64 v[44:45], v[34:35], v[40:41]
	s_delay_alu instid0(VALU_DEP_2) | instskip(NEXT) | instid1(VALU_DEP_2)
	v_fma_f64 v[42:43], v[34:35], v[38:39], -v[42:43]
	v_fma_f64 v[44:45], v[36:37], v[38:39], v[44:45]
	s_delay_alu instid0(VALU_DEP_2) | instskip(NEXT) | instid1(VALU_DEP_2)
	v_add_f64 v[2:3], v[2:3], v[42:43]
	v_add_f64 v[71:72], v[71:72], v[44:45]
	ds_load_b128 v[42:45], v55 offset:12032
	s_waitcnt lgkmcnt(0)
	v_mul_f64 v[73:74], v[36:37], v[44:45]
	s_delay_alu instid0(VALU_DEP_1) | instskip(SKIP_1) | instid1(VALU_DEP_2)
	v_fma_f64 v[73:74], v[34:35], v[42:43], -v[73:74]
	v_mul_f64 v[34:35], v[34:35], v[44:45]
	v_add_f64 v[52:53], v[52:53], v[73:74]
	s_delay_alu instid0(VALU_DEP_2) | instskip(NEXT) | instid1(VALU_DEP_1)
	v_fma_f64 v[34:35], v[36:37], v[42:43], v[34:35]
	v_add_f64 v[50:51], v[50:51], v[34:35]
	ds_load_b128 v[34:37], v57 offset:8560
	s_waitcnt lgkmcnt(0)
	v_mul_f64 v[73:74], v[36:37], v[40:41]
	v_mul_f64 v[40:41], v[34:35], v[40:41]
	s_delay_alu instid0(VALU_DEP_2) | instskip(NEXT) | instid1(VALU_DEP_2)
	v_fma_f64 v[73:74], v[34:35], v[38:39], -v[73:74]
	v_fma_f64 v[38:39], v[36:37], v[38:39], v[40:41]
	s_delay_alu instid0(VALU_DEP_2) | instskip(NEXT) | instid1(VALU_DEP_2)
	v_add_f64 v[67:68], v[67:68], v[73:74]
	v_add_f64 v[69:70], v[69:70], v[38:39]
	v_mul_f64 v[38:39], v[36:37], v[44:45]
	s_delay_alu instid0(VALU_DEP_1) | instskip(SKIP_1) | instid1(VALU_DEP_2)
	v_fma_f64 v[38:39], v[34:35], v[42:43], -v[38:39]
	v_mul_f64 v[34:35], v[34:35], v[44:45]
	v_add_f64 v[48:49], v[48:49], v[38:39]
	s_delay_alu instid0(VALU_DEP_2) | instskip(NEXT) | instid1(VALU_DEP_1)
	v_fma_f64 v[34:35], v[36:37], v[42:43], v[34:35]
	v_add_f64 v[46:47], v[46:47], v[34:35]
	ds_load_b128 v[34:37], v57 offset:384
	ds_load_b128 v[38:41], v55 offset:12288
	s_waitcnt lgkmcnt(0)
	v_mul_f64 v[42:43], v[36:37], v[40:41]
	v_mul_f64 v[44:45], v[34:35], v[40:41]
	s_delay_alu instid0(VALU_DEP_2) | instskip(NEXT) | instid1(VALU_DEP_2)
	v_fma_f64 v[42:43], v[34:35], v[38:39], -v[42:43]
	v_fma_f64 v[44:45], v[36:37], v[38:39], v[44:45]
	s_delay_alu instid0(VALU_DEP_2) | instskip(NEXT) | instid1(VALU_DEP_2)
	v_add_f64 v[2:3], v[2:3], v[42:43]
	v_add_f64 v[71:72], v[71:72], v[44:45]
	ds_load_b128 v[42:45], v55 offset:12544
	s_waitcnt lgkmcnt(0)
	v_mul_f64 v[73:74], v[36:37], v[44:45]
	s_delay_alu instid0(VALU_DEP_1) | instskip(SKIP_1) | instid1(VALU_DEP_2)
	v_fma_f64 v[73:74], v[34:35], v[42:43], -v[73:74]
	v_mul_f64 v[34:35], v[34:35], v[44:45]
	v_add_f64 v[52:53], v[52:53], v[73:74]
	s_delay_alu instid0(VALU_DEP_2) | instskip(NEXT) | instid1(VALU_DEP_1)
	v_fma_f64 v[34:35], v[36:37], v[42:43], v[34:35]
	v_add_f64 v[50:51], v[50:51], v[34:35]
	ds_load_b128 v[34:37], v57 offset:8576
	s_waitcnt lgkmcnt(0)
	v_mul_f64 v[73:74], v[36:37], v[40:41]
	v_mul_f64 v[40:41], v[34:35], v[40:41]
	s_delay_alu instid0(VALU_DEP_2) | instskip(NEXT) | instid1(VALU_DEP_2)
	v_fma_f64 v[73:74], v[34:35], v[38:39], -v[73:74]
	v_fma_f64 v[38:39], v[36:37], v[38:39], v[40:41]
	s_delay_alu instid0(VALU_DEP_2) | instskip(NEXT) | instid1(VALU_DEP_2)
	v_add_f64 v[67:68], v[67:68], v[73:74]
	v_add_f64 v[69:70], v[69:70], v[38:39]
	v_mul_f64 v[38:39], v[36:37], v[44:45]
	s_delay_alu instid0(VALU_DEP_1) | instskip(SKIP_1) | instid1(VALU_DEP_2)
	v_fma_f64 v[38:39], v[34:35], v[42:43], -v[38:39]
	v_mul_f64 v[34:35], v[34:35], v[44:45]
	v_add_f64 v[48:49], v[48:49], v[38:39]
	s_delay_alu instid0(VALU_DEP_2) | instskip(NEXT) | instid1(VALU_DEP_1)
	v_fma_f64 v[34:35], v[36:37], v[42:43], v[34:35]
	v_add_f64 v[46:47], v[46:47], v[34:35]
	ds_load_b128 v[34:37], v57 offset:400
	ds_load_b128 v[38:41], v55 offset:12800
	s_waitcnt lgkmcnt(0)
	v_mul_f64 v[42:43], v[36:37], v[40:41]
	v_mul_f64 v[44:45], v[34:35], v[40:41]
	s_delay_alu instid0(VALU_DEP_2) | instskip(NEXT) | instid1(VALU_DEP_2)
	v_fma_f64 v[42:43], v[34:35], v[38:39], -v[42:43]
	v_fma_f64 v[44:45], v[36:37], v[38:39], v[44:45]
	s_delay_alu instid0(VALU_DEP_2) | instskip(NEXT) | instid1(VALU_DEP_2)
	v_add_f64 v[2:3], v[2:3], v[42:43]
	v_add_f64 v[71:72], v[71:72], v[44:45]
	ds_load_b128 v[42:45], v55 offset:13056
	s_waitcnt lgkmcnt(0)
	v_mul_f64 v[73:74], v[36:37], v[44:45]
	s_delay_alu instid0(VALU_DEP_1) | instskip(SKIP_1) | instid1(VALU_DEP_2)
	v_fma_f64 v[73:74], v[34:35], v[42:43], -v[73:74]
	v_mul_f64 v[34:35], v[34:35], v[44:45]
	v_add_f64 v[52:53], v[52:53], v[73:74]
	s_delay_alu instid0(VALU_DEP_2) | instskip(NEXT) | instid1(VALU_DEP_1)
	v_fma_f64 v[34:35], v[36:37], v[42:43], v[34:35]
	v_add_f64 v[50:51], v[50:51], v[34:35]
	ds_load_b128 v[34:37], v57 offset:8592
	s_waitcnt lgkmcnt(0)
	v_mul_f64 v[73:74], v[36:37], v[40:41]
	v_mul_f64 v[40:41], v[34:35], v[40:41]
	s_delay_alu instid0(VALU_DEP_2) | instskip(NEXT) | instid1(VALU_DEP_2)
	v_fma_f64 v[73:74], v[34:35], v[38:39], -v[73:74]
	v_fma_f64 v[38:39], v[36:37], v[38:39], v[40:41]
	s_delay_alu instid0(VALU_DEP_2) | instskip(NEXT) | instid1(VALU_DEP_2)
	v_add_f64 v[67:68], v[67:68], v[73:74]
	v_add_f64 v[69:70], v[69:70], v[38:39]
	v_mul_f64 v[38:39], v[36:37], v[44:45]
	s_delay_alu instid0(VALU_DEP_1) | instskip(SKIP_1) | instid1(VALU_DEP_2)
	v_fma_f64 v[38:39], v[34:35], v[42:43], -v[38:39]
	v_mul_f64 v[34:35], v[34:35], v[44:45]
	v_add_f64 v[48:49], v[48:49], v[38:39]
	s_delay_alu instid0(VALU_DEP_2) | instskip(NEXT) | instid1(VALU_DEP_1)
	v_fma_f64 v[34:35], v[36:37], v[42:43], v[34:35]
	v_add_f64 v[46:47], v[46:47], v[34:35]
	ds_load_b128 v[34:37], v57 offset:416
	ds_load_b128 v[38:41], v55 offset:13312
	s_waitcnt lgkmcnt(0)
	v_mul_f64 v[42:43], v[36:37], v[40:41]
	v_mul_f64 v[44:45], v[34:35], v[40:41]
	s_delay_alu instid0(VALU_DEP_2) | instskip(NEXT) | instid1(VALU_DEP_2)
	v_fma_f64 v[42:43], v[34:35], v[38:39], -v[42:43]
	v_fma_f64 v[44:45], v[36:37], v[38:39], v[44:45]
	s_delay_alu instid0(VALU_DEP_2) | instskip(NEXT) | instid1(VALU_DEP_2)
	v_add_f64 v[2:3], v[2:3], v[42:43]
	v_add_f64 v[71:72], v[71:72], v[44:45]
	ds_load_b128 v[42:45], v55 offset:13568
	s_waitcnt lgkmcnt(0)
	v_mul_f64 v[73:74], v[36:37], v[44:45]
	s_delay_alu instid0(VALU_DEP_1) | instskip(SKIP_1) | instid1(VALU_DEP_2)
	v_fma_f64 v[73:74], v[34:35], v[42:43], -v[73:74]
	v_mul_f64 v[34:35], v[34:35], v[44:45]
	v_add_f64 v[52:53], v[52:53], v[73:74]
	s_delay_alu instid0(VALU_DEP_2) | instskip(NEXT) | instid1(VALU_DEP_1)
	v_fma_f64 v[34:35], v[36:37], v[42:43], v[34:35]
	v_add_f64 v[50:51], v[50:51], v[34:35]
	ds_load_b128 v[34:37], v57 offset:8608
	s_waitcnt lgkmcnt(0)
	v_mul_f64 v[73:74], v[36:37], v[40:41]
	v_mul_f64 v[40:41], v[34:35], v[40:41]
	s_delay_alu instid0(VALU_DEP_2) | instskip(NEXT) | instid1(VALU_DEP_2)
	v_fma_f64 v[73:74], v[34:35], v[38:39], -v[73:74]
	v_fma_f64 v[38:39], v[36:37], v[38:39], v[40:41]
	s_delay_alu instid0(VALU_DEP_2) | instskip(NEXT) | instid1(VALU_DEP_2)
	v_add_f64 v[67:68], v[67:68], v[73:74]
	v_add_f64 v[69:70], v[69:70], v[38:39]
	v_mul_f64 v[38:39], v[36:37], v[44:45]
	s_delay_alu instid0(VALU_DEP_1) | instskip(SKIP_1) | instid1(VALU_DEP_2)
	v_fma_f64 v[38:39], v[34:35], v[42:43], -v[38:39]
	v_mul_f64 v[34:35], v[34:35], v[44:45]
	v_add_f64 v[48:49], v[48:49], v[38:39]
	s_delay_alu instid0(VALU_DEP_2) | instskip(NEXT) | instid1(VALU_DEP_1)
	v_fma_f64 v[34:35], v[36:37], v[42:43], v[34:35]
	v_add_f64 v[46:47], v[46:47], v[34:35]
	ds_load_b128 v[34:37], v57 offset:432
	ds_load_b128 v[38:41], v55 offset:13824
	s_waitcnt lgkmcnt(0)
	v_mul_f64 v[42:43], v[36:37], v[40:41]
	v_mul_f64 v[44:45], v[34:35], v[40:41]
	s_delay_alu instid0(VALU_DEP_2) | instskip(NEXT) | instid1(VALU_DEP_2)
	v_fma_f64 v[42:43], v[34:35], v[38:39], -v[42:43]
	v_fma_f64 v[44:45], v[36:37], v[38:39], v[44:45]
	s_delay_alu instid0(VALU_DEP_2) | instskip(NEXT) | instid1(VALU_DEP_2)
	v_add_f64 v[2:3], v[2:3], v[42:43]
	v_add_f64 v[71:72], v[71:72], v[44:45]
	ds_load_b128 v[42:45], v55 offset:14080
	s_waitcnt lgkmcnt(0)
	v_mul_f64 v[73:74], v[36:37], v[44:45]
	s_delay_alu instid0(VALU_DEP_1) | instskip(SKIP_1) | instid1(VALU_DEP_2)
	v_fma_f64 v[73:74], v[34:35], v[42:43], -v[73:74]
	v_mul_f64 v[34:35], v[34:35], v[44:45]
	v_add_f64 v[52:53], v[52:53], v[73:74]
	s_delay_alu instid0(VALU_DEP_2) | instskip(NEXT) | instid1(VALU_DEP_1)
	v_fma_f64 v[34:35], v[36:37], v[42:43], v[34:35]
	v_add_f64 v[50:51], v[50:51], v[34:35]
	ds_load_b128 v[34:37], v57 offset:8624
	s_waitcnt lgkmcnt(0)
	v_mul_f64 v[73:74], v[36:37], v[40:41]
	v_mul_f64 v[40:41], v[34:35], v[40:41]
	s_delay_alu instid0(VALU_DEP_2) | instskip(NEXT) | instid1(VALU_DEP_2)
	v_fma_f64 v[73:74], v[34:35], v[38:39], -v[73:74]
	v_fma_f64 v[38:39], v[36:37], v[38:39], v[40:41]
	s_delay_alu instid0(VALU_DEP_2) | instskip(NEXT) | instid1(VALU_DEP_2)
	v_add_f64 v[67:68], v[67:68], v[73:74]
	v_add_f64 v[69:70], v[69:70], v[38:39]
	v_mul_f64 v[38:39], v[36:37], v[44:45]
	s_delay_alu instid0(VALU_DEP_1) | instskip(SKIP_1) | instid1(VALU_DEP_2)
	v_fma_f64 v[38:39], v[34:35], v[42:43], -v[38:39]
	v_mul_f64 v[34:35], v[34:35], v[44:45]
	v_add_f64 v[48:49], v[48:49], v[38:39]
	s_delay_alu instid0(VALU_DEP_2) | instskip(NEXT) | instid1(VALU_DEP_1)
	v_fma_f64 v[34:35], v[36:37], v[42:43], v[34:35]
	v_add_f64 v[46:47], v[46:47], v[34:35]
	ds_load_b128 v[34:37], v57 offset:448
	ds_load_b128 v[38:41], v55 offset:14336
	s_waitcnt lgkmcnt(0)
	v_mul_f64 v[42:43], v[36:37], v[40:41]
	v_mul_f64 v[44:45], v[34:35], v[40:41]
	s_delay_alu instid0(VALU_DEP_2) | instskip(NEXT) | instid1(VALU_DEP_2)
	v_fma_f64 v[42:43], v[34:35], v[38:39], -v[42:43]
	v_fma_f64 v[44:45], v[36:37], v[38:39], v[44:45]
	s_delay_alu instid0(VALU_DEP_2) | instskip(NEXT) | instid1(VALU_DEP_2)
	v_add_f64 v[2:3], v[2:3], v[42:43]
	v_add_f64 v[71:72], v[71:72], v[44:45]
	ds_load_b128 v[42:45], v55 offset:14592
	s_waitcnt lgkmcnt(0)
	v_mul_f64 v[73:74], v[36:37], v[44:45]
	s_delay_alu instid0(VALU_DEP_1) | instskip(SKIP_1) | instid1(VALU_DEP_2)
	v_fma_f64 v[73:74], v[34:35], v[42:43], -v[73:74]
	v_mul_f64 v[34:35], v[34:35], v[44:45]
	v_add_f64 v[52:53], v[52:53], v[73:74]
	s_delay_alu instid0(VALU_DEP_2) | instskip(NEXT) | instid1(VALU_DEP_1)
	v_fma_f64 v[34:35], v[36:37], v[42:43], v[34:35]
	v_add_f64 v[50:51], v[50:51], v[34:35]
	ds_load_b128 v[34:37], v57 offset:8640
	s_waitcnt lgkmcnt(0)
	v_mul_f64 v[73:74], v[36:37], v[40:41]
	v_mul_f64 v[40:41], v[34:35], v[40:41]
	s_delay_alu instid0(VALU_DEP_2) | instskip(NEXT) | instid1(VALU_DEP_2)
	v_fma_f64 v[73:74], v[34:35], v[38:39], -v[73:74]
	v_fma_f64 v[38:39], v[36:37], v[38:39], v[40:41]
	s_delay_alu instid0(VALU_DEP_2) | instskip(NEXT) | instid1(VALU_DEP_2)
	v_add_f64 v[67:68], v[67:68], v[73:74]
	v_add_f64 v[69:70], v[69:70], v[38:39]
	v_mul_f64 v[38:39], v[36:37], v[44:45]
	s_delay_alu instid0(VALU_DEP_1) | instskip(SKIP_1) | instid1(VALU_DEP_2)
	v_fma_f64 v[38:39], v[34:35], v[42:43], -v[38:39]
	v_mul_f64 v[34:35], v[34:35], v[44:45]
	v_add_f64 v[48:49], v[48:49], v[38:39]
	s_delay_alu instid0(VALU_DEP_2) | instskip(NEXT) | instid1(VALU_DEP_1)
	v_fma_f64 v[34:35], v[36:37], v[42:43], v[34:35]
	v_add_f64 v[46:47], v[46:47], v[34:35]
	ds_load_b128 v[34:37], v57 offset:464
	ds_load_b128 v[38:41], v55 offset:14848
	s_waitcnt lgkmcnt(0)
	v_mul_f64 v[42:43], v[36:37], v[40:41]
	v_mul_f64 v[44:45], v[34:35], v[40:41]
	s_delay_alu instid0(VALU_DEP_2) | instskip(NEXT) | instid1(VALU_DEP_2)
	v_fma_f64 v[42:43], v[34:35], v[38:39], -v[42:43]
	v_fma_f64 v[44:45], v[36:37], v[38:39], v[44:45]
	s_delay_alu instid0(VALU_DEP_2) | instskip(NEXT) | instid1(VALU_DEP_2)
	v_add_f64 v[2:3], v[2:3], v[42:43]
	v_add_f64 v[71:72], v[71:72], v[44:45]
	ds_load_b128 v[42:45], v55 offset:15104
	s_waitcnt lgkmcnt(0)
	v_mul_f64 v[73:74], v[36:37], v[44:45]
	s_delay_alu instid0(VALU_DEP_1) | instskip(SKIP_1) | instid1(VALU_DEP_2)
	v_fma_f64 v[73:74], v[34:35], v[42:43], -v[73:74]
	v_mul_f64 v[34:35], v[34:35], v[44:45]
	v_add_f64 v[52:53], v[52:53], v[73:74]
	s_delay_alu instid0(VALU_DEP_2) | instskip(NEXT) | instid1(VALU_DEP_1)
	v_fma_f64 v[34:35], v[36:37], v[42:43], v[34:35]
	v_add_f64 v[50:51], v[50:51], v[34:35]
	ds_load_b128 v[34:37], v57 offset:8656
	s_waitcnt lgkmcnt(0)
	v_mul_f64 v[73:74], v[36:37], v[40:41]
	v_mul_f64 v[40:41], v[34:35], v[40:41]
	s_delay_alu instid0(VALU_DEP_2) | instskip(NEXT) | instid1(VALU_DEP_2)
	v_fma_f64 v[73:74], v[34:35], v[38:39], -v[73:74]
	v_fma_f64 v[38:39], v[36:37], v[38:39], v[40:41]
	s_delay_alu instid0(VALU_DEP_2) | instskip(NEXT) | instid1(VALU_DEP_2)
	v_add_f64 v[67:68], v[67:68], v[73:74]
	v_add_f64 v[69:70], v[69:70], v[38:39]
	v_mul_f64 v[38:39], v[36:37], v[44:45]
	s_delay_alu instid0(VALU_DEP_1) | instskip(SKIP_1) | instid1(VALU_DEP_2)
	v_fma_f64 v[38:39], v[34:35], v[42:43], -v[38:39]
	v_mul_f64 v[34:35], v[34:35], v[44:45]
	v_add_f64 v[48:49], v[48:49], v[38:39]
	s_delay_alu instid0(VALU_DEP_2) | instskip(NEXT) | instid1(VALU_DEP_1)
	v_fma_f64 v[34:35], v[36:37], v[42:43], v[34:35]
	v_add_f64 v[46:47], v[46:47], v[34:35]
	ds_load_b128 v[34:37], v57 offset:480
	ds_load_b128 v[38:41], v55 offset:15360
	s_waitcnt lgkmcnt(0)
	v_mul_f64 v[42:43], v[36:37], v[40:41]
	v_mul_f64 v[44:45], v[34:35], v[40:41]
	s_delay_alu instid0(VALU_DEP_2) | instskip(NEXT) | instid1(VALU_DEP_2)
	v_fma_f64 v[42:43], v[34:35], v[38:39], -v[42:43]
	v_fma_f64 v[44:45], v[36:37], v[38:39], v[44:45]
	s_delay_alu instid0(VALU_DEP_2) | instskip(NEXT) | instid1(VALU_DEP_2)
	v_add_f64 v[73:74], v[2:3], v[42:43]
	v_add_f64 v[71:72], v[71:72], v[44:45]
	ds_load_b128 v[42:45], v55 offset:15616
	s_waitcnt lgkmcnt(0)
	v_mul_f64 v[2:3], v[36:37], v[44:45]
	s_delay_alu instid0(VALU_DEP_1) | instskip(SKIP_1) | instid1(VALU_DEP_2)
	v_fma_f64 v[2:3], v[34:35], v[42:43], -v[2:3]
	v_mul_f64 v[34:35], v[34:35], v[44:45]
	v_add_f64 v[52:53], v[52:53], v[2:3]
	s_delay_alu instid0(VALU_DEP_2) | instskip(NEXT) | instid1(VALU_DEP_1)
	v_fma_f64 v[34:35], v[36:37], v[42:43], v[34:35]
	v_add_f64 v[75:76], v[50:51], v[34:35]
	ds_load_b128 v[34:37], v57 offset:8672
	s_waitcnt lgkmcnt(0)
	v_mul_f64 v[2:3], v[36:37], v[40:41]
	v_mul_f64 v[40:41], v[34:35], v[40:41]
	s_delay_alu instid0(VALU_DEP_2) | instskip(NEXT) | instid1(VALU_DEP_2)
	v_fma_f64 v[2:3], v[34:35], v[38:39], -v[2:3]
	v_fma_f64 v[38:39], v[36:37], v[38:39], v[40:41]
	s_delay_alu instid0(VALU_DEP_2) | instskip(SKIP_1) | instid1(VALU_DEP_3)
	v_add_f64 v[77:78], v[67:68], v[2:3]
	v_mul_f64 v[2:3], v[36:37], v[44:45]
	v_add_f64 v[79:80], v[69:70], v[38:39]
	s_delay_alu instid0(VALU_DEP_2) | instskip(SKIP_1) | instid1(VALU_DEP_2)
	v_fma_f64 v[2:3], v[34:35], v[42:43], -v[2:3]
	v_mul_f64 v[34:35], v[34:35], v[44:45]
	v_add_f64 v[2:3], v[48:49], v[2:3]
	s_delay_alu instid0(VALU_DEP_2) | instskip(NEXT) | instid1(VALU_DEP_1)
	v_fma_f64 v[34:35], v[36:37], v[42:43], v[34:35]
	v_add_f64 v[46:47], v[46:47], v[34:35]
	ds_load_b128 v[34:37], v57 offset:496
	ds_load_b128 v[38:41], v55 offset:15872
	;; [unrolled: 1-line block ×3, first 2 shown]
	s_waitcnt lgkmcnt(1)
	v_mul_f64 v[42:43], v[36:37], v[40:41]
	s_waitcnt lgkmcnt(0)
	v_mul_f64 v[67:68], v[36:37], v[50:51]
	v_mul_f64 v[44:45], v[34:35], v[40:41]
	s_delay_alu instid0(VALU_DEP_3) | instskip(NEXT) | instid1(VALU_DEP_3)
	v_fma_f64 v[42:43], v[34:35], v[38:39], -v[42:43]
	v_fma_f64 v[67:68], v[34:35], v[48:49], -v[67:68]
	v_mul_f64 v[34:35], v[34:35], v[50:51]
	s_delay_alu instid0(VALU_DEP_4) | instskip(NEXT) | instid1(VALU_DEP_4)
	v_fma_f64 v[44:45], v[36:37], v[38:39], v[44:45]
	v_add_f64 v[42:43], v[73:74], v[42:43]
	s_delay_alu instid0(VALU_DEP_3)
	v_fma_f64 v[36:37], v[36:37], v[48:49], v[34:35]
	v_add_f64 v[34:35], v[52:53], v[67:68]
	ds_load_b128 v[67:70], v57 offset:8688
	v_add_f64 v[44:45], v[71:72], v[44:45]
	s_waitcnt lgkmcnt(0)
	s_barrier
	buffer_gl0_inv
	v_mul_f64 v[52:53], v[69:70], v[40:41]
	v_mul_f64 v[40:41], v[67:68], v[40:41]
	v_add_f64 v[36:37], v[75:76], v[36:37]
	s_delay_alu instid0(VALU_DEP_3) | instskip(NEXT) | instid1(VALU_DEP_3)
	v_fma_f64 v[52:53], v[67:68], v[38:39], -v[52:53]
	v_fma_f64 v[40:41], v[69:70], v[38:39], v[40:41]
	s_delay_alu instid0(VALU_DEP_2) | instskip(SKIP_2) | instid1(VALU_DEP_4)
	v_add_f64 v[38:39], v[77:78], v[52:53]
	v_mul_f64 v[52:53], v[69:70], v[50:51]
	v_mul_f64 v[50:51], v[67:68], v[50:51]
	v_add_f64 v[40:41], v[79:80], v[40:41]
	s_delay_alu instid0(VALU_DEP_3) | instskip(NEXT) | instid1(VALU_DEP_3)
	v_fma_f64 v[52:53], v[67:68], v[48:49], -v[52:53]
	v_fma_f64 v[50:51], v[69:70], v[48:49], v[50:51]
	s_delay_alu instid0(VALU_DEP_2) | instskip(NEXT) | instid1(VALU_DEP_2)
	v_add_f64 v[48:49], v[2:3], v[52:53]
	v_add_f64 v[46:47], v[46:47], v[50:51]
	s_cbranch_scc1 .LBB110_55
.LBB110_7:                              ;   Parent Loop BB110_4 Depth=1
                                        ; =>  This Inner Loop Header: Depth=2
	v_add_co_u32 v50, s5, v4, s20
	s_delay_alu instid0(VALU_DEP_1) | instskip(SKIP_1) | instid1(VALU_DEP_2)
	v_add_co_ci_u32_e64 v51, s5, s21, v5, s5
	v_cmp_eq_u64_e64 s7, s[20:21], v[12:13]
	v_cmp_le_i64_e64 s6, s[12:13], v[50:51]
	v_cmp_lt_i64_e64 s5, v[50:51], v[6:7]
	s_delay_alu instid0(VALU_DEP_3) | instskip(NEXT) | instid1(VALU_DEP_1)
	s_and_b32 s22, s48, s7
	s_or_b32 s7, s6, s5
	s_delay_alu instid0(SALU_CYCLE_1) | instskip(SKIP_1) | instid1(VALU_DEP_1)
	s_or_b32 s8, s7, s22
	v_add_co_u32 v52, s7, v32, v18
	v_add_co_ci_u32_e64 v53, s7, v33, v19, s7
	s_or_b32 s7, s0, s8
	s_delay_alu instid0(SALU_CYCLE_1) | instskip(NEXT) | instid1(SALU_CYCLE_1)
	s_xor_b32 s7, s7, -1
	s_and_saveexec_b32 s8, s7
	s_delay_alu instid0(SALU_CYCLE_1)
	s_xor_b32 s7, exec_lo, s8
	s_cbranch_execz .LBB110_9
; %bb.8:                                ;   in Loop: Header=BB110_7 Depth=2
	global_load_b128 v[67:70], v[52:53], off offset:-256
	s_waitcnt vmcnt(0)
	ds_store_2addr_b64 v56, v[67:68], v[69:70] offset1:1
.LBB110_9:                              ;   in Loop: Header=BB110_7 Depth=2
	s_or_saveexec_b32 s7, s7
	s_xor_b32 s15, s22, -1
	s_xor_b32 exec_lo, exec_lo, s7
	s_cbranch_execz .LBB110_15
; %bb.10:                               ;   in Loop: Header=BB110_7 Depth=2
	s_and_saveexec_b32 s8, s15
	s_delay_alu instid0(SALU_CYCLE_1)
	s_xor_b32 s8, exec_lo, s8
	s_cbranch_execz .LBB110_12
; %bb.11:                               ;   in Loop: Header=BB110_7 Depth=2
	v_mov_b32_e32 v67, v0
	v_mov_b32_e32 v68, v0
	v_mov_b32_e32 v69, v0
	v_mov_b32_e32 v70, v0
	ds_store_b128 v56, v[67:70]
.LBB110_12:                             ;   in Loop: Header=BB110_7 Depth=2
	s_and_not1_saveexec_b32 s8, s8
	s_cbranch_execz .LBB110_14
; %bb.13:                               ;   in Loop: Header=BB110_7 Depth=2
	v_mov_b32_e32 v2, v0
	v_mov_b32_e32 v3, v0
	ds_store_b128 v56, v[0:3]
.LBB110_14:                             ;   in Loop: Header=BB110_7 Depth=2
	s_or_b32 exec_lo, exec_lo, s8
.LBB110_15:                             ;   in Loop: Header=BB110_7 Depth=2
	s_delay_alu instid0(SALU_CYCLE_1) | instskip(SKIP_2) | instid1(VALU_DEP_2)
	s_or_b32 exec_lo, exec_lo, s7
	v_cmp_eq_u64_e64 s7, s[20:21], v[14:15]
	v_cmp_gt_i64_e64 s8, v[10:11], v[50:51]
	s_and_b32 s7, s48, s7
	s_delay_alu instid0(VALU_DEP_1) | instskip(NEXT) | instid1(SALU_CYCLE_1)
	s_or_b32 s6, s6, s8
	s_or_b32 s6, s6, s7
	s_delay_alu instid0(SALU_CYCLE_1) | instskip(NEXT) | instid1(SALU_CYCLE_1)
	s_or_b32 s6, s1, s6
	s_xor_b32 s6, s6, -1
	s_delay_alu instid0(SALU_CYCLE_1) | instskip(NEXT) | instid1(SALU_CYCLE_1)
	s_and_saveexec_b32 s8, s6
	s_xor_b32 s6, exec_lo, s8
	s_cbranch_execz .LBB110_17
; %bb.16:                               ;   in Loop: Header=BB110_7 Depth=2
	global_load_b128 v[67:70], v[52:53], off
	s_waitcnt vmcnt(0)
	ds_store_2addr_b64 v58, v[67:68], v[69:70] offset1:1
.LBB110_17:                             ;   in Loop: Header=BB110_7 Depth=2
	s_and_not1_saveexec_b32 s6, s6
	s_cbranch_execz .LBB110_23
; %bb.18:                               ;   in Loop: Header=BB110_7 Depth=2
	s_xor_b32 s7, s7, -1
	s_delay_alu instid0(SALU_CYCLE_1) | instskip(NEXT) | instid1(SALU_CYCLE_1)
	s_and_saveexec_b32 s8, s7
	s_xor_b32 s7, exec_lo, s8
	s_cbranch_execz .LBB110_20
; %bb.19:                               ;   in Loop: Header=BB110_7 Depth=2
	v_mov_b32_e32 v67, v0
	v_mov_b32_e32 v68, v0
	;; [unrolled: 1-line block ×4, first 2 shown]
	ds_store_b128 v58, v[67:70]
.LBB110_20:                             ;   in Loop: Header=BB110_7 Depth=2
	s_and_not1_saveexec_b32 s7, s7
	s_cbranch_execz .LBB110_22
; %bb.21:                               ;   in Loop: Header=BB110_7 Depth=2
	v_mov_b32_e32 v2, v0
	v_mov_b32_e32 v3, v0
	ds_store_b128 v58, v[0:3]
.LBB110_22:                             ;   in Loop: Header=BB110_7 Depth=2
	s_or_b32 exec_lo, exec_lo, s7
.LBB110_23:                             ;   in Loop: Header=BB110_7 Depth=2
	s_delay_alu instid0(SALU_CYCLE_1) | instskip(SKIP_1) | instid1(VALU_DEP_1)
	s_or_b32 exec_lo, exec_lo, s6
	v_add_co_u32 v2, s6, v50, 16
	v_add_co_ci_u32_e64 v3, s6, 0, v51, s6
	v_cmp_eq_u64_e64 s7, s[20:21], v[16:17]
	s_delay_alu instid0(VALU_DEP_2) | instskip(SKIP_1) | instid1(VALU_DEP_3)
	v_cmp_le_i64_e64 s6, s[12:13], v[2:3]
	v_cmp_lt_i64_e64 s8, v[2:3], v[6:7]
	s_and_b32 s23, s48, s7
	s_delay_alu instid0(VALU_DEP_1) | instskip(NEXT) | instid1(SALU_CYCLE_1)
	s_or_b32 s7, s6, s8
	s_or_b32 s7, s7, s23
	s_delay_alu instid0(SALU_CYCLE_1) | instskip(NEXT) | instid1(SALU_CYCLE_1)
	s_or_b32 s7, s0, s7
	s_xor_b32 s7, s7, -1
	s_delay_alu instid0(SALU_CYCLE_1) | instskip(NEXT) | instid1(SALU_CYCLE_1)
	s_and_saveexec_b32 s8, s7
	s_xor_b32 s8, exec_lo, s8
	s_cbranch_execz .LBB110_25
; %bb.24:                               ;   in Loop: Header=BB110_7 Depth=2
	v_add_co_u32 v2, s7, v30, v18
	s_delay_alu instid0(VALU_DEP_1)
	v_add_co_ci_u32_e64 v3, s7, v31, v19, s7
	global_load_b128 v[50:53], v[2:3], off
	s_waitcnt vmcnt(0)
	ds_store_2addr_b64 v59, v[50:51], v[52:53] offset1:1
.LBB110_25:                             ;   in Loop: Header=BB110_7 Depth=2
	s_and_not1_saveexec_b32 s7, s8
	s_cbranch_execz .LBB110_31
; %bb.26:                               ;   in Loop: Header=BB110_7 Depth=2
	s_xor_b32 s8, s23, -1
	s_delay_alu instid0(SALU_CYCLE_1) | instskip(NEXT) | instid1(SALU_CYCLE_1)
	s_and_saveexec_b32 s23, s8
	s_xor_b32 s8, exec_lo, s23
	s_cbranch_execz .LBB110_28
; %bb.27:                               ;   in Loop: Header=BB110_7 Depth=2
	v_mov_b32_e32 v50, v0
	v_mov_b32_e32 v51, v0
	;; [unrolled: 1-line block ×4, first 2 shown]
	ds_store_b128 v59, v[50:53]
.LBB110_28:                             ;   in Loop: Header=BB110_7 Depth=2
	s_and_not1_saveexec_b32 s8, s8
	s_cbranch_execz .LBB110_30
; %bb.29:                               ;   in Loop: Header=BB110_7 Depth=2
	v_mov_b32_e32 v2, v0
	v_mov_b32_e32 v3, v0
	ds_store_b128 v59, v[0:3]
.LBB110_30:                             ;   in Loop: Header=BB110_7 Depth=2
	s_or_b32 exec_lo, exec_lo, s8
.LBB110_31:                             ;   in Loop: Header=BB110_7 Depth=2
	s_delay_alu instid0(SALU_CYCLE_1) | instskip(SKIP_1) | instid1(SALU_CYCLE_1)
	s_or_b32 exec_lo, exec_lo, s7
	s_or_b32 s5, s6, s5
	s_or_b32 s5, s5, s22
	s_delay_alu instid0(SALU_CYCLE_1) | instskip(NEXT) | instid1(SALU_CYCLE_1)
	s_or_b32 s5, s1, s5
	s_xor_b32 s5, s5, -1
	s_delay_alu instid0(SALU_CYCLE_1) | instskip(NEXT) | instid1(SALU_CYCLE_1)
	s_and_saveexec_b32 s6, s5
	s_xor_b32 s6, exec_lo, s6
	s_cbranch_execz .LBB110_33
; %bb.32:                               ;   in Loop: Header=BB110_7 Depth=2
	v_add_co_u32 v2, s5, v30, v18
	s_delay_alu instid0(VALU_DEP_1)
	v_add_co_ci_u32_e64 v3, s5, v31, v19, s5
	global_load_b128 v[50:53], v[2:3], off offset:256
	s_waitcnt vmcnt(0)
	ds_store_2addr_b64 v61, v[50:51], v[52:53] offset1:1
.LBB110_33:                             ;   in Loop: Header=BB110_7 Depth=2
	s_and_not1_saveexec_b32 s5, s6
	s_cbranch_execz .LBB110_39
; %bb.34:                               ;   in Loop: Header=BB110_7 Depth=2
	s_and_saveexec_b32 s6, s15
	s_delay_alu instid0(SALU_CYCLE_1)
	s_xor_b32 s6, exec_lo, s6
	s_cbranch_execz .LBB110_36
; %bb.35:                               ;   in Loop: Header=BB110_7 Depth=2
	v_mov_b32_e32 v50, v0
	v_mov_b32_e32 v51, v0
	;; [unrolled: 1-line block ×4, first 2 shown]
	ds_store_b128 v61, v[50:53]
.LBB110_36:                             ;   in Loop: Header=BB110_7 Depth=2
	s_and_not1_saveexec_b32 s6, s6
	s_cbranch_execz .LBB110_38
; %bb.37:                               ;   in Loop: Header=BB110_7 Depth=2
	v_mov_b32_e32 v2, v0
	v_mov_b32_e32 v3, v0
	ds_store_b128 v61, v[0:3]
.LBB110_38:                             ;   in Loop: Header=BB110_7 Depth=2
	s_or_b32 exec_lo, exec_lo, s6
.LBB110_39:                             ;   in Loop: Header=BB110_7 Depth=2
	s_delay_alu instid0(SALU_CYCLE_1) | instskip(SKIP_1) | instid1(VALU_DEP_1)
	s_or_b32 exec_lo, exec_lo, s5
	v_add_co_u32 v2, s5, v6, s20
	v_add_co_ci_u32_e64 v3, s5, s21, v7, s5
	s_delay_alu instid0(VALU_DEP_1) | instskip(NEXT) | instid1(VALU_DEP_1)
	v_cmp_gt_i64_e64 s5, s[12:13], v[2:3]
	s_and_b32 s6, vcc_lo, s5
	s_delay_alu instid0(SALU_CYCLE_1) | instskip(NEXT) | instid1(SALU_CYCLE_1)
	s_xor_b32 s6, s6, -1
	s_and_saveexec_b32 s7, s6
	s_delay_alu instid0(SALU_CYCLE_1)
	s_xor_b32 s6, exec_lo, s7
	s_cbranch_execz .LBB110_41
; %bb.40:                               ;   in Loop: Header=BB110_7 Depth=2
	v_mov_b32_e32 v50, v0
	v_mov_b32_e32 v51, v0
	;; [unrolled: 1-line block ×4, first 2 shown]
	ds_store_b128 v60, v[50:53]
.LBB110_41:                             ;   in Loop: Header=BB110_7 Depth=2
	s_or_saveexec_b32 s7, s6
	v_add_co_u32 v50, s6, v26, v18
	s_delay_alu instid0(VALU_DEP_1)
	v_add_co_ci_u32_e64 v51, s6, v27, v19, s6
	s_xor_b32 exec_lo, exec_lo, s7
	s_cbranch_execz .LBB110_43
; %bb.42:                               ;   in Loop: Header=BB110_7 Depth=2
	global_load_b128 v[67:70], v[50:51], off offset:-256
	s_waitcnt vmcnt(0)
	ds_store_2addr_b64 v60, v[67:68], v[69:70] offset1:1
.LBB110_43:                             ;   in Loop: Header=BB110_7 Depth=2
	s_or_b32 exec_lo, exec_lo, s7
	v_cmp_gt_i64_e64 s6, s[40:41], v[2:3]
	s_delay_alu instid0(VALU_DEP_1) | instskip(NEXT) | instid1(SALU_CYCLE_1)
	s_and_b32 s7, vcc_lo, s6
	s_xor_b32 s7, s7, -1
	s_delay_alu instid0(SALU_CYCLE_1) | instskip(NEXT) | instid1(SALU_CYCLE_1)
	s_and_saveexec_b32 s8, s7
	s_xor_b32 s7, exec_lo, s8
	s_cbranch_execz .LBB110_45
; %bb.44:                               ;   in Loop: Header=BB110_7 Depth=2
	v_mov_b32_e32 v50, v0
	v_mov_b32_e32 v51, v0
	;; [unrolled: 1-line block ×4, first 2 shown]
	ds_store_b128 v62, v[50:53]
                                        ; implicit-def: $vgpr50_vgpr51
.LBB110_45:                             ;   in Loop: Header=BB110_7 Depth=2
	s_and_not1_saveexec_b32 s7, s7
	s_cbranch_execz .LBB110_47
; %bb.46:                               ;   in Loop: Header=BB110_7 Depth=2
	global_load_b128 v[50:53], v[50:51], off
	s_waitcnt vmcnt(0)
	ds_store_2addr_b64 v62, v[50:51], v[52:53] offset1:1
.LBB110_47:                             ;   in Loop: Header=BB110_7 Depth=2
	s_or_b32 exec_lo, exec_lo, s7
	s_and_b32 s5, s4, s5
	s_delay_alu instid0(SALU_CYCLE_1) | instskip(NEXT) | instid1(SALU_CYCLE_1)
	s_xor_b32 s5, s5, -1
	s_and_saveexec_b32 s7, s5
	s_delay_alu instid0(SALU_CYCLE_1)
	s_xor_b32 s5, exec_lo, s7
	s_cbranch_execz .LBB110_49
; %bb.48:                               ;   in Loop: Header=BB110_7 Depth=2
	v_mov_b32_e32 v50, v0
	v_mov_b32_e32 v51, v0
	;; [unrolled: 1-line block ×4, first 2 shown]
	ds_store_b128 v63, v[50:53]
.LBB110_49:                             ;   in Loop: Header=BB110_7 Depth=2
	s_and_not1_saveexec_b32 s7, s5
	s_cbranch_execz .LBB110_51
; %bb.50:                               ;   in Loop: Header=BB110_7 Depth=2
	v_add_co_u32 v2, s5, v28, v18
	s_delay_alu instid0(VALU_DEP_1)
	v_add_co_ci_u32_e64 v3, s5, v29, v19, s5
	global_load_b128 v[50:53], v[2:3], off offset:-256
	s_waitcnt vmcnt(0)
	ds_store_2addr_b64 v63, v[50:51], v[52:53] offset1:1
.LBB110_51:                             ;   in Loop: Header=BB110_7 Depth=2
	s_or_b32 exec_lo, exec_lo, s7
	s_and_b32 s5, s4, s6
	s_delay_alu instid0(SALU_CYCLE_1) | instskip(NEXT) | instid1(SALU_CYCLE_1)
	s_xor_b32 s5, s5, -1
	s_and_saveexec_b32 s6, s5
	s_delay_alu instid0(SALU_CYCLE_1)
	s_xor_b32 s5, exec_lo, s6
	s_cbranch_execz .LBB110_53
; %bb.52:                               ;   in Loop: Header=BB110_7 Depth=2
	v_mov_b32_e32 v50, v0
	v_mov_b32_e32 v51, v0
	;; [unrolled: 1-line block ×4, first 2 shown]
	ds_store_b128 v64, v[50:53]
.LBB110_53:                             ;   in Loop: Header=BB110_7 Depth=2
	s_and_not1_saveexec_b32 s6, s5
	s_cbranch_execz .LBB110_6
; %bb.54:                               ;   in Loop: Header=BB110_7 Depth=2
	v_add_co_u32 v2, s5, v28, v18
	s_delay_alu instid0(VALU_DEP_1)
	v_add_co_ci_u32_e64 v3, s5, v29, v19, s5
	global_load_b128 v[50:53], v[2:3], off
	s_waitcnt vmcnt(0)
	ds_store_2addr_b64 v64, v[50:51], v[52:53] offset1:1
	s_branch .LBB110_6
.LBB110_55:                             ;   in Loop: Header=BB110_4 Depth=1
	v_mul_lo_u32 v23, v66, s44
	v_mul_lo_u32 v26, v65, s45
	v_mad_u64_u32 v[2:3], null, v65, s44, 0
	v_cmp_gt_i32_e32 vcc_lo, s10, v65
	s_delay_alu instid0(VALU_DEP_2) | instskip(NEXT) | instid1(VALU_DEP_1)
	v_add3_u32 v3, v3, v26, v23
	v_lshlrev_b64 v[2:3], 4, v[2:3]
	s_delay_alu instid0(VALU_DEP_1) | instskip(NEXT) | instid1(VALU_DEP_1)
	v_add_co_u32 v2, s4, s42, v2
	v_add_co_ci_u32_e64 v3, s4, s43, v3, s4
	s_and_b32 s4, s2, vcc_lo
	s_delay_alu instid0(SALU_CYCLE_1)
	s_and_saveexec_b32 s5, s4
	s_cbranch_execz .LBB110_57
; %bb.56:                               ;   in Loop: Header=BB110_4 Depth=1
	v_add_co_u32 v30, s4, v2, v18
	s_delay_alu instid0(VALU_DEP_1)
	v_add_co_ci_u32_e64 v31, s4, v3, v19, s4
	v_mul_f64 v[32:33], s[18:19], v[44:45]
	v_mul_f64 v[44:45], s[16:17], v[44:45]
	global_load_b128 v[26:29], v[30:31], off
	v_fma_f64 v[32:33], s[16:17], v[42:43], -v[32:33]
	v_fma_f64 v[42:43], s[18:19], v[42:43], v[44:45]
	s_waitcnt vmcnt(0)
	s_delay_alu instid0(VALU_DEP_2) | instskip(NEXT) | instid1(VALU_DEP_2)
	v_add_f64 v[26:27], v[26:27], v[32:33]
	v_add_f64 v[28:29], v[28:29], v[42:43]
	global_store_b128 v[30:31], v[26:29], off
.LBB110_57:                             ;   in Loop: Header=BB110_4 Depth=1
	s_or_b32 exec_lo, exec_lo, s5
	s_and_b32 s5, s3, vcc_lo
	s_delay_alu instid0(SALU_CYCLE_1)
	s_and_saveexec_b32 s4, s5
	s_cbranch_execz .LBB110_59
; %bb.58:                               ;   in Loop: Header=BB110_4 Depth=1
	v_lshlrev_b64 v[26:27], 4, v[8:9]
	v_mul_f64 v[30:31], s[18:19], v[36:37]
	v_mul_f64 v[32:33], s[16:17], v[36:37]
	s_delay_alu instid0(VALU_DEP_3) | instskip(NEXT) | instid1(VALU_DEP_4)
	v_add_co_u32 v2, vcc_lo, v2, v26
	v_add_co_ci_u32_e32 v3, vcc_lo, v3, v27, vcc_lo
	global_load_b128 v[26:29], v[2:3], off
	v_fma_f64 v[30:31], s[16:17], v[34:35], -v[30:31]
	v_fma_f64 v[32:33], s[18:19], v[34:35], v[32:33]
	s_waitcnt vmcnt(0)
	s_delay_alu instid0(VALU_DEP_2) | instskip(NEXT) | instid1(VALU_DEP_2)
	v_add_f64 v[26:27], v[26:27], v[30:31]
	v_add_f64 v[28:29], v[28:29], v[32:33]
	global_store_b128 v[2:3], v[26:29], off
.LBB110_59:                             ;   in Loop: Header=BB110_4 Depth=1
	s_or_b32 exec_lo, exec_lo, s4
	v_add_nc_u32_e32 v23, 16, v65
	s_delay_alu instid0(VALU_DEP_1) | instskip(SKIP_3) | instid1(VALU_DEP_4)
	v_ashrrev_i32_e32 v26, 31, v23
	v_mul_lo_u32 v27, v23, s45
	v_mad_u64_u32 v[2:3], null, v23, s44, 0
	v_cmp_gt_i32_e32 vcc_lo, s10, v23
	v_mul_lo_u32 v26, v26, s44
	s_delay_alu instid0(VALU_DEP_1) | instskip(NEXT) | instid1(VALU_DEP_1)
	v_add3_u32 v3, v3, v27, v26
	v_lshlrev_b64 v[2:3], 4, v[2:3]
	s_delay_alu instid0(VALU_DEP_1) | instskip(NEXT) | instid1(VALU_DEP_1)
	v_add_co_u32 v2, s4, s42, v2
	v_add_co_ci_u32_e64 v3, s4, s43, v3, s4
	s_and_b32 s4, s2, vcc_lo
	s_delay_alu instid0(SALU_CYCLE_1)
	s_and_saveexec_b32 s5, s4
	s_cbranch_execz .LBB110_61
; %bb.60:                               ;   in Loop: Header=BB110_4 Depth=1
	v_add_co_u32 v30, s4, v2, v18
	s_delay_alu instid0(VALU_DEP_1)
	v_add_co_ci_u32_e64 v31, s4, v3, v19, s4
	v_mul_f64 v[32:33], s[18:19], v[40:41]
	v_mul_f64 v[34:35], s[16:17], v[40:41]
	global_load_b128 v[26:29], v[30:31], off
	v_fma_f64 v[32:33], s[16:17], v[38:39], -v[32:33]
	v_fma_f64 v[34:35], s[18:19], v[38:39], v[34:35]
	s_waitcnt vmcnt(0)
	s_delay_alu instid0(VALU_DEP_2) | instskip(NEXT) | instid1(VALU_DEP_2)
	v_add_f64 v[26:27], v[26:27], v[32:33]
	v_add_f64 v[28:29], v[28:29], v[34:35]
	global_store_b128 v[30:31], v[26:29], off
.LBB110_61:                             ;   in Loop: Header=BB110_4 Depth=1
	s_or_b32 exec_lo, exec_lo, s5
	s_and_b32 s5, s3, vcc_lo
	s_delay_alu instid0(SALU_CYCLE_1)
	s_and_saveexec_b32 s4, s5
	s_cbranch_execz .LBB110_3
; %bb.62:                               ;   in Loop: Header=BB110_4 Depth=1
	v_lshlrev_b64 v[26:27], 4, v[8:9]
	v_mul_f64 v[30:31], s[18:19], v[46:47]
	v_mul_f64 v[32:33], s[16:17], v[46:47]
	s_delay_alu instid0(VALU_DEP_3) | instskip(NEXT) | instid1(VALU_DEP_4)
	v_add_co_u32 v2, vcc_lo, v2, v26
	v_add_co_ci_u32_e32 v3, vcc_lo, v3, v27, vcc_lo
	global_load_b128 v[26:29], v[2:3], off
	v_fma_f64 v[30:31], s[16:17], v[48:49], -v[30:31]
	v_fma_f64 v[32:33], s[18:19], v[48:49], v[32:33]
	s_waitcnt vmcnt(0)
	s_delay_alu instid0(VALU_DEP_2) | instskip(NEXT) | instid1(VALU_DEP_2)
	v_add_f64 v[26:27], v[26:27], v[30:31]
	v_add_f64 v[28:29], v[28:29], v[32:33]
	global_store_b128 v[2:3], v[26:29], off
	s_branch .LBB110_3
.LBB110_63:
	s_nop 0
	s_sendmsg sendmsg(MSG_DEALLOC_VGPRS)
	s_endpgm
	.section	.rodata,"a",@progbits
	.p2align	6, 0x0
	.amdhsa_kernel _ZL30rocblas_trmm_outofplace_kernelI19rocblas_complex_numIdELi32ELi2ELb1ELb1ELb0ELb0EPKS1_S2_S1_Ev17rocblas_diagonal_iiT6_lPT7_lllS7_lllPT8_llli
		.amdhsa_group_segment_fixed_size 32768
		.amdhsa_private_segment_fixed_size 0
		.amdhsa_kernarg_size 392
		.amdhsa_user_sgpr_count 13
		.amdhsa_user_sgpr_dispatch_ptr 0
		.amdhsa_user_sgpr_queue_ptr 0
		.amdhsa_user_sgpr_kernarg_segment_ptr 1
		.amdhsa_user_sgpr_dispatch_id 0
		.amdhsa_user_sgpr_private_segment_size 0
		.amdhsa_wavefront_size32 1
		.amdhsa_uses_dynamic_stack 0
		.amdhsa_enable_private_segment 0
		.amdhsa_system_sgpr_workgroup_id_x 1
		.amdhsa_system_sgpr_workgroup_id_y 1
		.amdhsa_system_sgpr_workgroup_id_z 1
		.amdhsa_system_sgpr_workgroup_info 0
		.amdhsa_system_vgpr_workitem_id 1
		.amdhsa_next_free_vgpr 87
		.amdhsa_next_free_sgpr 50
		.amdhsa_reserve_vcc 1
		.amdhsa_float_round_mode_32 0
		.amdhsa_float_round_mode_16_64 0
		.amdhsa_float_denorm_mode_32 3
		.amdhsa_float_denorm_mode_16_64 3
		.amdhsa_dx10_clamp 1
		.amdhsa_ieee_mode 1
		.amdhsa_fp16_overflow 0
		.amdhsa_workgroup_processor_mode 1
		.amdhsa_memory_ordered 1
		.amdhsa_forward_progress 0
		.amdhsa_shared_vgpr_count 0
		.amdhsa_exception_fp_ieee_invalid_op 0
		.amdhsa_exception_fp_denorm_src 0
		.amdhsa_exception_fp_ieee_div_zero 0
		.amdhsa_exception_fp_ieee_overflow 0
		.amdhsa_exception_fp_ieee_underflow 0
		.amdhsa_exception_fp_ieee_inexact 0
		.amdhsa_exception_int_div_zero 0
	.end_amdhsa_kernel
	.section	.text._ZL30rocblas_trmm_outofplace_kernelI19rocblas_complex_numIdELi32ELi2ELb1ELb1ELb0ELb0EPKS1_S2_S1_Ev17rocblas_diagonal_iiT6_lPT7_lllS7_lllPT8_llli,"axG",@progbits,_ZL30rocblas_trmm_outofplace_kernelI19rocblas_complex_numIdELi32ELi2ELb1ELb1ELb0ELb0EPKS1_S2_S1_Ev17rocblas_diagonal_iiT6_lPT7_lllS7_lllPT8_llli,comdat
.Lfunc_end110:
	.size	_ZL30rocblas_trmm_outofplace_kernelI19rocblas_complex_numIdELi32ELi2ELb1ELb1ELb0ELb0EPKS1_S2_S1_Ev17rocblas_diagonal_iiT6_lPT7_lllS7_lllPT8_llli, .Lfunc_end110-_ZL30rocblas_trmm_outofplace_kernelI19rocblas_complex_numIdELi32ELi2ELb1ELb1ELb0ELb0EPKS1_S2_S1_Ev17rocblas_diagonal_iiT6_lPT7_lllS7_lllPT8_llli
                                        ; -- End function
	.section	.AMDGPU.csdata,"",@progbits
; Kernel info:
; codeLenInByte = 11576
; NumSgprs: 52
; NumVgprs: 87
; ScratchSize: 0
; MemoryBound: 0
; FloatMode: 240
; IeeeMode: 1
; LDSByteSize: 32768 bytes/workgroup (compile time only)
; SGPRBlocks: 6
; VGPRBlocks: 10
; NumSGPRsForWavesPerEU: 52
; NumVGPRsForWavesPerEU: 87
; Occupancy: 16
; WaveLimiterHint : 0
; COMPUTE_PGM_RSRC2:SCRATCH_EN: 0
; COMPUTE_PGM_RSRC2:USER_SGPR: 13
; COMPUTE_PGM_RSRC2:TRAP_HANDLER: 0
; COMPUTE_PGM_RSRC2:TGID_X_EN: 1
; COMPUTE_PGM_RSRC2:TGID_Y_EN: 1
; COMPUTE_PGM_RSRC2:TGID_Z_EN: 1
; COMPUTE_PGM_RSRC2:TIDIG_COMP_CNT: 1
	.section	.text._ZL30rocblas_trmm_outofplace_kernelI19rocblas_complex_numIdELi32ELi2ELb1ELb1ELb0ELb0ES1_KS1_S1_Ev17rocblas_diagonal_iiT6_lPT7_lllS6_lllPT8_llli,"axG",@progbits,_ZL30rocblas_trmm_outofplace_kernelI19rocblas_complex_numIdELi32ELi2ELb1ELb1ELb0ELb0ES1_KS1_S1_Ev17rocblas_diagonal_iiT6_lPT7_lllS6_lllPT8_llli,comdat
	.globl	_ZL30rocblas_trmm_outofplace_kernelI19rocblas_complex_numIdELi32ELi2ELb1ELb1ELb0ELb0ES1_KS1_S1_Ev17rocblas_diagonal_iiT6_lPT7_lllS6_lllPT8_llli ; -- Begin function _ZL30rocblas_trmm_outofplace_kernelI19rocblas_complex_numIdELi32ELi2ELb1ELb1ELb0ELb0ES1_KS1_S1_Ev17rocblas_diagonal_iiT6_lPT7_lllS6_lllPT8_llli
	.p2align	8
	.type	_ZL30rocblas_trmm_outofplace_kernelI19rocblas_complex_numIdELi32ELi2ELb1ELb1ELb0ELb0ES1_KS1_S1_Ev17rocblas_diagonal_iiT6_lPT7_lllS6_lllPT8_llli,@function
_ZL30rocblas_trmm_outofplace_kernelI19rocblas_complex_numIdELi32ELi2ELb1ELb1ELb0ELb0ES1_KS1_S1_Ev17rocblas_diagonal_iiT6_lPT7_lllS6_lllPT8_llli: ; @_ZL30rocblas_trmm_outofplace_kernelI19rocblas_complex_numIdELi32ELi2ELb1ELb1ELb0ELb0ES1_KS1_S1_Ev17rocblas_diagonal_iiT6_lPT7_lllS6_lllPT8_llli
; %bb.0:
	s_load_b128 s[44:47], s[0:1], 0x10
	s_waitcnt lgkmcnt(0)
	v_cmp_eq_f64_e64 s2, s[44:45], 0
	v_cmp_eq_f64_e64 s3, s[46:47], 0
	s_delay_alu instid0(VALU_DEP_1) | instskip(NEXT) | instid1(SALU_CYCLE_1)
	s_and_b32 s2, s2, s3
	s_and_b32 vcc_lo, exec_lo, s2
	s_cbranch_vccnz .LBB111_63
; %bb.1:
	s_load_b128 s[8:11], s[0:1], 0x0
	s_waitcnt lgkmcnt(0)
	s_add_i32 s2, s10, -1
	s_delay_alu instid0(SALU_CYCLE_1) | instskip(NEXT) | instid1(SALU_CYCLE_1)
	s_ashr_i32 s3, s2, 31
	s_lshr_b32 s3, s3, 27
	s_delay_alu instid0(SALU_CYCLE_1) | instskip(NEXT) | instid1(SALU_CYCLE_1)
	s_add_i32 s2, s2, s3
	s_ashr_i32 s11, s2, 5
	s_delay_alu instid0(SALU_CYCLE_1)
	s_cmp_gt_i32 s14, s11
	s_cbranch_scc1 .LBB111_63
; %bb.2:
	s_clause 0x2
	s_load_b256 s[36:43], s[0:1], 0x68
	s_load_b512 s[16:31], s[0:1], 0x28
	s_load_b32 s33, s[0:1], 0x94
	v_bfe_u32 v54, v0, 10, 10
	v_and_b32_e32 v0, 0x3ff, v0
	s_mov_b32 s12, s9
	s_delay_alu instid0(VALU_DEP_2) | instskip(NEXT) | instid1(VALU_DEP_2)
	v_lshlrev_b32_e32 v1, 9, v54
	v_lshlrev_b32_e32 v55, 4, v0
	v_lshl_add_u32 v22, s14, 5, v54
	s_delay_alu instid0(VALU_DEP_3) | instskip(NEXT) | instid1(VALU_DEP_3)
	v_add_nc_u32_e32 v57, 0x4000, v1
	v_add_nc_u32_e32 v56, v55, v1
	s_delay_alu instid0(VALU_DEP_2)
	v_add_nc_u32_e32 v60, v57, v55
	s_waitcnt lgkmcnt(0)
	s_mul_i32 s1, s15, s43
	s_mul_hi_u32 s2, s15, s42
	s_mul_i32 s0, s15, s42
	s_add_i32 s1, s2, s1
	s_mul_i32 s4, s31, s15
	s_lshl_b64 s[0:1], s[0:1], 4
	s_mul_hi_u32 s5, s30, s15
	s_add_u32 s2, s36, s0
	s_addc_u32 s3, s37, s1
	s_lshl_b64 s[0:1], s[38:39], 4
	v_add_nc_u32_e32 v62, 0x100, v60
	s_add_u32 s38, s2, s0
	s_addc_u32 s39, s3, s1
	s_lshl_b32 s0, s13, 5
	v_add_nc_u32_e32 v63, 0x2000, v60
	v_add_nc_u32_e32 v4, s0, v54
	;; [unrolled: 1-line block ×3, first 2 shown]
	s_sub_i32 s42, s9, s0
	v_add_nc_u32_e32 v64, 0x2100, v60
	s_cmp_gt_i32 s42, 0
	v_ashrrev_i32_e32 v5, 31, v4
	v_ashrrev_i32_e32 v7, 31, v6
	s_cselect_b32 s43, -1, 0
	s_cmpk_eq_i32 s8, 0x84
	v_add_co_u32 v10, vcc_lo, v6, 16
	s_cselect_b32 s48, -1, 0
	s_ashr_i32 s13, s9, 31
	s_ashr_i32 s49, s10, 31
	s_lshl_b64 s[34:35], s[20:21], 9
	v_mul_lo_u32 v2, s20, v5
	v_mul_lo_u32 v3, s21, v4
	v_mad_u64_u32 v[0:1], null, s20, v4, 0
	s_add_u32 s36, s9, -16
	v_add_co_ci_u32_e32 v11, vcc_lo, 0, v7, vcc_lo
	s_addc_u32 s37, s13, -1
	s_add_i32 s5, s5, s4
	s_mul_i32 s4, s30, s15
	v_sub_co_u32 v12, vcc_lo, v6, v4
	s_lshl_b64 s[4:5], s[4:5], 4
	s_lshl_b64 s[6:7], s[26:27], 4
	v_sub_co_ci_u32_e32 v13, vcc_lo, v7, v5, vcc_lo
	s_add_u32 s4, s4, s6
	s_addc_u32 s5, s5, s7
	v_add_co_u32 v14, vcc_lo, v12, 16
	s_add_u32 s4, s4, s24
	v_add3_u32 v1, v1, v2, v3
	v_lshlrev_b64 v[2:3], 4, v[4:5]
	s_addc_u32 s5, s5, s25
	v_add_nc_u32_e32 v8, 16, v6
	v_add_co_ci_u32_e32 v15, vcc_lo, 0, v13, vcc_lo
	s_add_u32 s24, s4, 0x100
	v_add_co_u32 v16, vcc_lo, v12, -16
	s_addc_u32 s25, s5, 0
	s_mul_i32 s4, s23, s15
	s_mul_hi_u32 s5, s22, s15
	v_add_co_ci_u32_e32 v17, vcc_lo, -1, v13, vcc_lo
	s_add_i32 s5, s5, s4
	s_mul_i32 s4, s22, s15
	s_lshl_b64 s[6:7], s[18:19], 4
	v_add_co_u32 v2, vcc_lo, 0x100, v2
	v_cmp_le_i32_e64 s0, s9, v6
	v_cmp_gt_i32_e64 s2, s9, v6
	v_cmp_gt_i32_e64 s3, s9, v8
	s_lshl_b64 s[26:27], s[28:29], 4
	s_lshl_b32 s9, s33, 5
	s_lshl_b64 s[4:5], s[4:5], 4
	v_lshlrev_b64 v[0:1], 4, v[0:1]
	s_add_u32 s6, s16, s6
	v_add_co_ci_u32_e32 v3, vcc_lo, 0, v3, vcc_lo
	s_addc_u32 s7, s17, s7
	s_add_u32 s4, s6, s4
	s_addc_u32 s5, s7, s5
	s_delay_alu instid0(VALU_DEP_1)
	v_mul_lo_u32 v3, s20, v3
	v_mad_u64_u32 v[20:21], null, s20, v2, s[4:5]
	v_mul_lo_u32 v2, s21, v2
	v_add_co_u32 v0, vcc_lo, s4, v0
	v_add_co_ci_u32_e32 v1, vcc_lo, s5, v1, vcc_lo
	v_cmp_le_i64_e64 s1, s[12:13], v[10:11]
	s_delay_alu instid0(VALU_DEP_3)
	v_add_co_u32 v24, vcc_lo, 0x100, v0
	v_lshlrev_b64 v[18:19], 4, v[6:7]
	v_ashrrev_i32_e32 v9, 31, v8
	v_add_co_ci_u32_e32 v25, vcc_lo, 0, v1, vcc_lo
	v_mov_b32_e32 v1, 0x3ff00000
	v_add_nc_u32_e32 v58, 0x100, v56
	v_add_nc_u32_e32 v59, 0x2000, v56
	;; [unrolled: 1-line block ×3, first 2 shown]
	v_add3_u32 v21, v2, v21, v3
	v_mov_b32_e32 v0, 0
	s_branch .LBB111_4
.LBB111_3:                              ;   in Loop: Header=BB111_4 Depth=1
	s_or_b32 exec_lo, exec_lo, s4
	v_add_nc_u32_e32 v22, s9, v22
	s_add_i32 s14, s33, s14
	s_delay_alu instid0(SALU_CYCLE_1)
	s_cmp_le_i32 s14, s11
	s_cbranch_scc0 .LBB111_63
.LBB111_4:                              ; =>This Loop Header: Depth=1
                                        ;     Child Loop BB111_7 Depth 2
	v_mov_b32_e32 v42, 0
	v_lshl_add_u32 v65, s14, 5, v54
	v_mov_b32_e32 v43, 0
	s_delay_alu instid0(VALU_DEP_3)
	v_mov_b32_e32 v34, v42
	v_mov_b32_e32 v36, v42
	;; [unrolled: 1-line block ×3, first 2 shown]
	v_ashrrev_i32_e32 v66, 31, v65
	v_mov_b32_e32 v39, v43
	v_dual_mov_b32 v45, v43 :: v_dual_mov_b32 v44, v42
	v_mov_b32_e32 v35, v43
	v_dual_mov_b32 v37, v43 :: v_dual_mov_b32 v40, v42
	v_mov_b32_e32 v41, v43
	v_dual_mov_b32 v49, v43 :: v_dual_mov_b32 v48, v42
	v_dual_mov_b32 v47, v43 :: v_dual_mov_b32 v46, v42
	s_and_not1_b32 vcc_lo, exec_lo, s43
	s_mov_b64 s[16:17], 0
	s_cbranch_vccnz .LBB111_55
; %bb.5:                                ;   in Loop: Header=BB111_4 Depth=1
	v_ashrrev_i32_e32 v23, 31, v22
	v_mad_u64_u32 v[26:27], null, s26, v22, s[24:25]
	v_mul_lo_u32 v34, s27, v22
	v_mov_b32_e32 v46, 0
	s_delay_alu instid0(VALU_DEP_4) | instskip(SKIP_3) | instid1(VALU_DEP_4)
	v_lshlrev_b64 v[2:3], 4, v[22:23]
	v_mul_lo_u32 v23, s26, v23
	v_mov_b32_e32 v47, 0
	v_dual_mov_b32 v33, v25 :: v_dual_mov_b32 v32, v24
	v_add_co_u32 v30, vcc_lo, 0x100, v2
	v_add_co_ci_u32_e32 v28, vcc_lo, 0, v3, vcc_lo
	v_sub_co_u32 v2, vcc_lo, s10, v65
	s_delay_alu instid0(VALU_DEP_3) | instskip(NEXT) | instid1(VALU_DEP_3)
	v_mul_lo_u32 v36, s29, v30
	v_mul_lo_u32 v35, s28, v28
	v_mad_u64_u32 v[28:29], null, s28, v30, s[24:25]
	v_sub_co_ci_u32_e32 v3, vcc_lo, s49, v66, vcc_lo
	v_dual_mov_b32 v31, v21 :: v_dual_mov_b32 v30, v20
	v_add3_u32 v27, v34, v27, v23
	s_delay_alu instid0(VALU_DEP_3)
	v_cmp_lt_i64_e32 vcc_lo, 0, v[2:3]
	v_cmp_lt_i64_e64 s4, 16, v[2:3]
	v_add3_u32 v29, v36, v29, v35
	v_dual_mov_b32 v49, v47 :: v_dual_mov_b32 v48, v46
	v_dual_mov_b32 v40, v46 :: v_dual_mov_b32 v41, v47
	;; [unrolled: 1-line block ×7, first 2 shown]
	s_branch .LBB111_7
.LBB111_6:                              ;   in Loop: Header=BB111_7 Depth=2
	s_or_b32 exec_lo, exec_lo, s6
	s_waitcnt lgkmcnt(0)
	s_waitcnt_vscnt null, 0x0
	s_barrier
	buffer_gl0_inv
	ds_load_b128 v[50:53], v57
	ds_load_b128 v[67:70], v57 offset:16
	ds_load_b128 v[71:74], v57 offset:32
	;; [unrolled: 1-line block ×3, first 2 shown]
	ds_load_b128 v[79:82], v55
	v_add_co_u32 v26, s5, 0x200, v26
	s_delay_alu instid0(VALU_DEP_1) | instskip(SKIP_1) | instid1(VALU_DEP_1)
	v_add_co_ci_u32_e64 v27, s5, 0, v27, s5
	v_add_co_u32 v32, s5, v32, s34
	v_add_co_ci_u32_e64 v33, s5, s35, v33, s5
	v_add_co_u32 v30, s5, v30, s34
	s_delay_alu instid0(VALU_DEP_1) | instskip(SKIP_1) | instid1(VALU_DEP_1)
	v_add_co_ci_u32_e64 v31, s5, s35, v31, s5
	v_add_co_u32 v28, s5, 0x200, v28
	v_add_co_ci_u32_e64 v29, s5, 0, v29, s5
	s_add_u32 s16, s16, 32
	s_addc_u32 s17, s17, 0
	s_cmp_ge_i32 s16, s42
	s_waitcnt lgkmcnt(0)
	v_mul_f64 v[2:3], v[52:53], v[81:82]
	v_mul_f64 v[83:84], v[50:51], v[81:82]
	s_delay_alu instid0(VALU_DEP_2) | instskip(NEXT) | instid1(VALU_DEP_2)
	v_fma_f64 v[2:3], v[50:51], v[79:80], -v[2:3]
	v_fma_f64 v[83:84], v[52:53], v[79:80], v[83:84]
	s_delay_alu instid0(VALU_DEP_2) | instskip(NEXT) | instid1(VALU_DEP_2)
	v_add_f64 v[2:3], v[42:43], v[2:3]
	v_add_f64 v[83:84], v[44:45], v[83:84]
	ds_load_b128 v[42:45], v55 offset:256
	s_waitcnt lgkmcnt(0)
	v_mul_f64 v[85:86], v[52:53], v[44:45]
	s_delay_alu instid0(VALU_DEP_1) | instskip(SKIP_1) | instid1(VALU_DEP_1)
	v_fma_f64 v[85:86], v[50:51], v[42:43], -v[85:86]
	v_mul_f64 v[50:51], v[50:51], v[44:45]
	v_fma_f64 v[50:51], v[52:53], v[42:43], v[50:51]
	s_delay_alu instid0(VALU_DEP_3) | instskip(NEXT) | instid1(VALU_DEP_2)
	v_add_f64 v[52:53], v[34:35], v[85:86]
	v_add_f64 v[50:51], v[36:37], v[50:51]
	ds_load_b128 v[34:37], v57 offset:8192
	s_waitcnt lgkmcnt(0)
	v_mul_f64 v[85:86], v[36:37], v[81:82]
	v_mul_f64 v[81:82], v[34:35], v[81:82]
	s_delay_alu instid0(VALU_DEP_2) | instskip(NEXT) | instid1(VALU_DEP_2)
	v_fma_f64 v[85:86], v[34:35], v[79:80], -v[85:86]
	v_fma_f64 v[79:80], v[36:37], v[79:80], v[81:82]
	s_delay_alu instid0(VALU_DEP_2) | instskip(SKIP_1) | instid1(VALU_DEP_3)
	v_add_f64 v[81:82], v[38:39], v[85:86]
	v_mul_f64 v[38:39], v[36:37], v[44:45]
	v_add_f64 v[79:80], v[40:41], v[79:80]
	s_delay_alu instid0(VALU_DEP_2) | instskip(SKIP_1) | instid1(VALU_DEP_2)
	v_fma_f64 v[38:39], v[34:35], v[42:43], -v[38:39]
	v_mul_f64 v[34:35], v[34:35], v[44:45]
	v_add_f64 v[48:49], v[48:49], v[38:39]
	s_delay_alu instid0(VALU_DEP_2) | instskip(NEXT) | instid1(VALU_DEP_1)
	v_fma_f64 v[34:35], v[36:37], v[42:43], v[34:35]
	v_add_f64 v[46:47], v[46:47], v[34:35]
	ds_load_b128 v[34:37], v55 offset:512
	s_waitcnt lgkmcnt(0)
	v_mul_f64 v[38:39], v[69:70], v[36:37]
	v_mul_f64 v[40:41], v[67:68], v[36:37]
	s_delay_alu instid0(VALU_DEP_2) | instskip(NEXT) | instid1(VALU_DEP_2)
	v_fma_f64 v[38:39], v[67:68], v[34:35], -v[38:39]
	v_fma_f64 v[40:41], v[69:70], v[34:35], v[40:41]
	s_delay_alu instid0(VALU_DEP_2) | instskip(NEXT) | instid1(VALU_DEP_2)
	v_add_f64 v[2:3], v[2:3], v[38:39]
	v_add_f64 v[83:84], v[83:84], v[40:41]
	ds_load_b128 v[38:41], v55 offset:768
	s_waitcnt lgkmcnt(0)
	v_mul_f64 v[42:43], v[69:70], v[40:41]
	v_mul_f64 v[44:45], v[67:68], v[40:41]
	s_delay_alu instid0(VALU_DEP_2) | instskip(NEXT) | instid1(VALU_DEP_2)
	v_fma_f64 v[42:43], v[67:68], v[38:39], -v[42:43]
	v_fma_f64 v[44:45], v[69:70], v[38:39], v[44:45]
	s_delay_alu instid0(VALU_DEP_2) | instskip(NEXT) | instid1(VALU_DEP_2)
	v_add_f64 v[52:53], v[52:53], v[42:43]
	v_add_f64 v[50:51], v[50:51], v[44:45]
	ds_load_b128 v[42:45], v57 offset:8208
	s_waitcnt lgkmcnt(0)
	v_mul_f64 v[67:68], v[44:45], v[36:37]
	v_mul_f64 v[36:37], v[42:43], v[36:37]
	s_delay_alu instid0(VALU_DEP_2) | instskip(NEXT) | instid1(VALU_DEP_2)
	v_fma_f64 v[67:68], v[42:43], v[34:35], -v[67:68]
	v_fma_f64 v[34:35], v[44:45], v[34:35], v[36:37]
	v_mul_f64 v[36:37], v[42:43], v[40:41]
	s_delay_alu instid0(VALU_DEP_3) | instskip(NEXT) | instid1(VALU_DEP_3)
	v_add_f64 v[67:68], v[81:82], v[67:68]
	v_add_f64 v[69:70], v[79:80], v[34:35]
	v_mul_f64 v[34:35], v[44:45], v[40:41]
	s_delay_alu instid0(VALU_DEP_4) | instskip(NEXT) | instid1(VALU_DEP_2)
	v_fma_f64 v[36:37], v[44:45], v[38:39], v[36:37]
	v_fma_f64 v[34:35], v[42:43], v[38:39], -v[34:35]
	s_delay_alu instid0(VALU_DEP_2) | instskip(NEXT) | instid1(VALU_DEP_2)
	v_add_f64 v[46:47], v[46:47], v[36:37]
	v_add_f64 v[48:49], v[48:49], v[34:35]
	ds_load_b128 v[34:37], v55 offset:1024
	s_waitcnt lgkmcnt(0)
	v_mul_f64 v[38:39], v[73:74], v[36:37]
	v_mul_f64 v[40:41], v[71:72], v[36:37]
	s_delay_alu instid0(VALU_DEP_2) | instskip(NEXT) | instid1(VALU_DEP_2)
	v_fma_f64 v[38:39], v[71:72], v[34:35], -v[38:39]
	v_fma_f64 v[40:41], v[73:74], v[34:35], v[40:41]
	s_delay_alu instid0(VALU_DEP_2) | instskip(NEXT) | instid1(VALU_DEP_2)
	v_add_f64 v[2:3], v[2:3], v[38:39]
	v_add_f64 v[79:80], v[83:84], v[40:41]
	ds_load_b128 v[38:41], v55 offset:1280
	s_waitcnt lgkmcnt(0)
	v_mul_f64 v[42:43], v[73:74], v[40:41]
	v_mul_f64 v[44:45], v[71:72], v[40:41]
	s_delay_alu instid0(VALU_DEP_2) | instskip(NEXT) | instid1(VALU_DEP_2)
	v_fma_f64 v[42:43], v[71:72], v[38:39], -v[42:43]
	v_fma_f64 v[44:45], v[73:74], v[38:39], v[44:45]
	s_delay_alu instid0(VALU_DEP_2) | instskip(NEXT) | instid1(VALU_DEP_2)
	v_add_f64 v[52:53], v[52:53], v[42:43]
	v_add_f64 v[50:51], v[50:51], v[44:45]
	ds_load_b128 v[42:45], v57 offset:8224
	s_waitcnt lgkmcnt(0)
	v_mul_f64 v[71:72], v[44:45], v[36:37]
	v_mul_f64 v[36:37], v[42:43], v[36:37]
	s_delay_alu instid0(VALU_DEP_2) | instskip(NEXT) | instid1(VALU_DEP_2)
	v_fma_f64 v[71:72], v[42:43], v[34:35], -v[71:72]
	v_fma_f64 v[34:35], v[44:45], v[34:35], v[36:37]
	v_mul_f64 v[36:37], v[42:43], v[40:41]
	s_delay_alu instid0(VALU_DEP_3) | instskip(NEXT) | instid1(VALU_DEP_3)
	v_add_f64 v[67:68], v[67:68], v[71:72]
	v_add_f64 v[69:70], v[69:70], v[34:35]
	v_mul_f64 v[34:35], v[44:45], v[40:41]
	s_delay_alu instid0(VALU_DEP_4) | instskip(NEXT) | instid1(VALU_DEP_2)
	v_fma_f64 v[36:37], v[44:45], v[38:39], v[36:37]
	v_fma_f64 v[34:35], v[42:43], v[38:39], -v[34:35]
	s_delay_alu instid0(VALU_DEP_2) | instskip(NEXT) | instid1(VALU_DEP_2)
	v_add_f64 v[46:47], v[46:47], v[36:37]
	v_add_f64 v[48:49], v[48:49], v[34:35]
	ds_load_b128 v[34:37], v55 offset:1536
	s_waitcnt lgkmcnt(0)
	v_mul_f64 v[38:39], v[77:78], v[36:37]
	v_mul_f64 v[40:41], v[75:76], v[36:37]
	s_delay_alu instid0(VALU_DEP_2) | instskip(NEXT) | instid1(VALU_DEP_2)
	v_fma_f64 v[38:39], v[75:76], v[34:35], -v[38:39]
	v_fma_f64 v[40:41], v[77:78], v[34:35], v[40:41]
	s_delay_alu instid0(VALU_DEP_2) | instskip(NEXT) | instid1(VALU_DEP_2)
	v_add_f64 v[2:3], v[2:3], v[38:39]
	v_add_f64 v[71:72], v[79:80], v[40:41]
	ds_load_b128 v[38:41], v55 offset:1792
	s_waitcnt lgkmcnt(0)
	v_mul_f64 v[42:43], v[77:78], v[40:41]
	v_mul_f64 v[44:45], v[75:76], v[40:41]
	s_delay_alu instid0(VALU_DEP_2) | instskip(NEXT) | instid1(VALU_DEP_2)
	v_fma_f64 v[42:43], v[75:76], v[38:39], -v[42:43]
	v_fma_f64 v[44:45], v[77:78], v[38:39], v[44:45]
	s_delay_alu instid0(VALU_DEP_2) | instskip(NEXT) | instid1(VALU_DEP_2)
	v_add_f64 v[52:53], v[52:53], v[42:43]
	v_add_f64 v[50:51], v[50:51], v[44:45]
	ds_load_b128 v[42:45], v57 offset:8240
	s_waitcnt lgkmcnt(0)
	v_mul_f64 v[73:74], v[44:45], v[36:37]
	v_mul_f64 v[36:37], v[42:43], v[36:37]
	s_delay_alu instid0(VALU_DEP_2) | instskip(NEXT) | instid1(VALU_DEP_2)
	v_fma_f64 v[73:74], v[42:43], v[34:35], -v[73:74]
	v_fma_f64 v[34:35], v[44:45], v[34:35], v[36:37]
	v_mul_f64 v[36:37], v[42:43], v[40:41]
	s_delay_alu instid0(VALU_DEP_3) | instskip(NEXT) | instid1(VALU_DEP_3)
	v_add_f64 v[67:68], v[67:68], v[73:74]
	v_add_f64 v[69:70], v[69:70], v[34:35]
	v_mul_f64 v[34:35], v[44:45], v[40:41]
	s_delay_alu instid0(VALU_DEP_4) | instskip(NEXT) | instid1(VALU_DEP_2)
	v_fma_f64 v[36:37], v[44:45], v[38:39], v[36:37]
	v_fma_f64 v[34:35], v[42:43], v[38:39], -v[34:35]
	s_delay_alu instid0(VALU_DEP_2) | instskip(NEXT) | instid1(VALU_DEP_2)
	v_add_f64 v[46:47], v[46:47], v[36:37]
	v_add_f64 v[48:49], v[48:49], v[34:35]
	ds_load_b128 v[34:37], v57 offset:64
	ds_load_b128 v[38:41], v55 offset:2048
	s_waitcnt lgkmcnt(0)
	v_mul_f64 v[42:43], v[36:37], v[40:41]
	v_mul_f64 v[44:45], v[34:35], v[40:41]
	s_delay_alu instid0(VALU_DEP_2) | instskip(NEXT) | instid1(VALU_DEP_2)
	v_fma_f64 v[42:43], v[34:35], v[38:39], -v[42:43]
	v_fma_f64 v[44:45], v[36:37], v[38:39], v[44:45]
	s_delay_alu instid0(VALU_DEP_2) | instskip(NEXT) | instid1(VALU_DEP_2)
	v_add_f64 v[2:3], v[2:3], v[42:43]
	v_add_f64 v[71:72], v[71:72], v[44:45]
	ds_load_b128 v[42:45], v55 offset:2304
	s_waitcnt lgkmcnt(0)
	v_mul_f64 v[73:74], v[36:37], v[44:45]
	s_delay_alu instid0(VALU_DEP_1) | instskip(SKIP_1) | instid1(VALU_DEP_2)
	v_fma_f64 v[73:74], v[34:35], v[42:43], -v[73:74]
	v_mul_f64 v[34:35], v[34:35], v[44:45]
	v_add_f64 v[52:53], v[52:53], v[73:74]
	s_delay_alu instid0(VALU_DEP_2) | instskip(NEXT) | instid1(VALU_DEP_1)
	v_fma_f64 v[34:35], v[36:37], v[42:43], v[34:35]
	v_add_f64 v[50:51], v[50:51], v[34:35]
	ds_load_b128 v[34:37], v57 offset:8256
	s_waitcnt lgkmcnt(0)
	v_mul_f64 v[73:74], v[36:37], v[40:41]
	v_mul_f64 v[40:41], v[34:35], v[40:41]
	s_delay_alu instid0(VALU_DEP_2) | instskip(NEXT) | instid1(VALU_DEP_2)
	v_fma_f64 v[73:74], v[34:35], v[38:39], -v[73:74]
	v_fma_f64 v[38:39], v[36:37], v[38:39], v[40:41]
	s_delay_alu instid0(VALU_DEP_2) | instskip(NEXT) | instid1(VALU_DEP_2)
	v_add_f64 v[67:68], v[67:68], v[73:74]
	v_add_f64 v[69:70], v[69:70], v[38:39]
	v_mul_f64 v[38:39], v[36:37], v[44:45]
	s_delay_alu instid0(VALU_DEP_1) | instskip(SKIP_1) | instid1(VALU_DEP_2)
	v_fma_f64 v[38:39], v[34:35], v[42:43], -v[38:39]
	v_mul_f64 v[34:35], v[34:35], v[44:45]
	v_add_f64 v[48:49], v[48:49], v[38:39]
	s_delay_alu instid0(VALU_DEP_2) | instskip(NEXT) | instid1(VALU_DEP_1)
	v_fma_f64 v[34:35], v[36:37], v[42:43], v[34:35]
	v_add_f64 v[46:47], v[46:47], v[34:35]
	ds_load_b128 v[34:37], v57 offset:80
	ds_load_b128 v[38:41], v55 offset:2560
	s_waitcnt lgkmcnt(0)
	v_mul_f64 v[42:43], v[36:37], v[40:41]
	v_mul_f64 v[44:45], v[34:35], v[40:41]
	s_delay_alu instid0(VALU_DEP_2) | instskip(NEXT) | instid1(VALU_DEP_2)
	v_fma_f64 v[42:43], v[34:35], v[38:39], -v[42:43]
	v_fma_f64 v[44:45], v[36:37], v[38:39], v[44:45]
	s_delay_alu instid0(VALU_DEP_2) | instskip(NEXT) | instid1(VALU_DEP_2)
	v_add_f64 v[2:3], v[2:3], v[42:43]
	v_add_f64 v[71:72], v[71:72], v[44:45]
	ds_load_b128 v[42:45], v55 offset:2816
	s_waitcnt lgkmcnt(0)
	v_mul_f64 v[73:74], v[36:37], v[44:45]
	s_delay_alu instid0(VALU_DEP_1) | instskip(SKIP_1) | instid1(VALU_DEP_2)
	v_fma_f64 v[73:74], v[34:35], v[42:43], -v[73:74]
	v_mul_f64 v[34:35], v[34:35], v[44:45]
	v_add_f64 v[52:53], v[52:53], v[73:74]
	s_delay_alu instid0(VALU_DEP_2) | instskip(NEXT) | instid1(VALU_DEP_1)
	v_fma_f64 v[34:35], v[36:37], v[42:43], v[34:35]
	v_add_f64 v[50:51], v[50:51], v[34:35]
	ds_load_b128 v[34:37], v57 offset:8272
	s_waitcnt lgkmcnt(0)
	v_mul_f64 v[73:74], v[36:37], v[40:41]
	v_mul_f64 v[40:41], v[34:35], v[40:41]
	s_delay_alu instid0(VALU_DEP_2) | instskip(NEXT) | instid1(VALU_DEP_2)
	v_fma_f64 v[73:74], v[34:35], v[38:39], -v[73:74]
	v_fma_f64 v[38:39], v[36:37], v[38:39], v[40:41]
	s_delay_alu instid0(VALU_DEP_2) | instskip(NEXT) | instid1(VALU_DEP_2)
	v_add_f64 v[67:68], v[67:68], v[73:74]
	v_add_f64 v[69:70], v[69:70], v[38:39]
	v_mul_f64 v[38:39], v[36:37], v[44:45]
	s_delay_alu instid0(VALU_DEP_1) | instskip(SKIP_1) | instid1(VALU_DEP_2)
	v_fma_f64 v[38:39], v[34:35], v[42:43], -v[38:39]
	v_mul_f64 v[34:35], v[34:35], v[44:45]
	v_add_f64 v[48:49], v[48:49], v[38:39]
	s_delay_alu instid0(VALU_DEP_2) | instskip(NEXT) | instid1(VALU_DEP_1)
	v_fma_f64 v[34:35], v[36:37], v[42:43], v[34:35]
	v_add_f64 v[46:47], v[46:47], v[34:35]
	ds_load_b128 v[34:37], v57 offset:96
	ds_load_b128 v[38:41], v55 offset:3072
	s_waitcnt lgkmcnt(0)
	v_mul_f64 v[42:43], v[36:37], v[40:41]
	v_mul_f64 v[44:45], v[34:35], v[40:41]
	s_delay_alu instid0(VALU_DEP_2) | instskip(NEXT) | instid1(VALU_DEP_2)
	v_fma_f64 v[42:43], v[34:35], v[38:39], -v[42:43]
	v_fma_f64 v[44:45], v[36:37], v[38:39], v[44:45]
	s_delay_alu instid0(VALU_DEP_2) | instskip(NEXT) | instid1(VALU_DEP_2)
	v_add_f64 v[2:3], v[2:3], v[42:43]
	v_add_f64 v[71:72], v[71:72], v[44:45]
	ds_load_b128 v[42:45], v55 offset:3328
	s_waitcnt lgkmcnt(0)
	v_mul_f64 v[73:74], v[36:37], v[44:45]
	s_delay_alu instid0(VALU_DEP_1) | instskip(SKIP_1) | instid1(VALU_DEP_2)
	v_fma_f64 v[73:74], v[34:35], v[42:43], -v[73:74]
	v_mul_f64 v[34:35], v[34:35], v[44:45]
	v_add_f64 v[52:53], v[52:53], v[73:74]
	s_delay_alu instid0(VALU_DEP_2) | instskip(NEXT) | instid1(VALU_DEP_1)
	v_fma_f64 v[34:35], v[36:37], v[42:43], v[34:35]
	v_add_f64 v[50:51], v[50:51], v[34:35]
	ds_load_b128 v[34:37], v57 offset:8288
	s_waitcnt lgkmcnt(0)
	v_mul_f64 v[73:74], v[36:37], v[40:41]
	v_mul_f64 v[40:41], v[34:35], v[40:41]
	s_delay_alu instid0(VALU_DEP_2) | instskip(NEXT) | instid1(VALU_DEP_2)
	v_fma_f64 v[73:74], v[34:35], v[38:39], -v[73:74]
	v_fma_f64 v[38:39], v[36:37], v[38:39], v[40:41]
	s_delay_alu instid0(VALU_DEP_2) | instskip(NEXT) | instid1(VALU_DEP_2)
	v_add_f64 v[67:68], v[67:68], v[73:74]
	v_add_f64 v[69:70], v[69:70], v[38:39]
	v_mul_f64 v[38:39], v[36:37], v[44:45]
	s_delay_alu instid0(VALU_DEP_1) | instskip(SKIP_1) | instid1(VALU_DEP_2)
	v_fma_f64 v[38:39], v[34:35], v[42:43], -v[38:39]
	v_mul_f64 v[34:35], v[34:35], v[44:45]
	v_add_f64 v[48:49], v[48:49], v[38:39]
	s_delay_alu instid0(VALU_DEP_2) | instskip(NEXT) | instid1(VALU_DEP_1)
	v_fma_f64 v[34:35], v[36:37], v[42:43], v[34:35]
	v_add_f64 v[46:47], v[46:47], v[34:35]
	ds_load_b128 v[34:37], v57 offset:112
	ds_load_b128 v[38:41], v55 offset:3584
	s_waitcnt lgkmcnt(0)
	v_mul_f64 v[42:43], v[36:37], v[40:41]
	v_mul_f64 v[44:45], v[34:35], v[40:41]
	s_delay_alu instid0(VALU_DEP_2) | instskip(NEXT) | instid1(VALU_DEP_2)
	v_fma_f64 v[42:43], v[34:35], v[38:39], -v[42:43]
	v_fma_f64 v[44:45], v[36:37], v[38:39], v[44:45]
	s_delay_alu instid0(VALU_DEP_2) | instskip(NEXT) | instid1(VALU_DEP_2)
	v_add_f64 v[2:3], v[2:3], v[42:43]
	v_add_f64 v[71:72], v[71:72], v[44:45]
	ds_load_b128 v[42:45], v55 offset:3840
	s_waitcnt lgkmcnt(0)
	v_mul_f64 v[73:74], v[36:37], v[44:45]
	s_delay_alu instid0(VALU_DEP_1) | instskip(SKIP_1) | instid1(VALU_DEP_2)
	v_fma_f64 v[73:74], v[34:35], v[42:43], -v[73:74]
	v_mul_f64 v[34:35], v[34:35], v[44:45]
	v_add_f64 v[52:53], v[52:53], v[73:74]
	s_delay_alu instid0(VALU_DEP_2) | instskip(NEXT) | instid1(VALU_DEP_1)
	v_fma_f64 v[34:35], v[36:37], v[42:43], v[34:35]
	v_add_f64 v[50:51], v[50:51], v[34:35]
	ds_load_b128 v[34:37], v57 offset:8304
	s_waitcnt lgkmcnt(0)
	v_mul_f64 v[73:74], v[36:37], v[40:41]
	v_mul_f64 v[40:41], v[34:35], v[40:41]
	s_delay_alu instid0(VALU_DEP_2) | instskip(NEXT) | instid1(VALU_DEP_2)
	v_fma_f64 v[73:74], v[34:35], v[38:39], -v[73:74]
	v_fma_f64 v[38:39], v[36:37], v[38:39], v[40:41]
	s_delay_alu instid0(VALU_DEP_2) | instskip(NEXT) | instid1(VALU_DEP_2)
	v_add_f64 v[67:68], v[67:68], v[73:74]
	v_add_f64 v[69:70], v[69:70], v[38:39]
	v_mul_f64 v[38:39], v[36:37], v[44:45]
	s_delay_alu instid0(VALU_DEP_1) | instskip(SKIP_1) | instid1(VALU_DEP_2)
	v_fma_f64 v[38:39], v[34:35], v[42:43], -v[38:39]
	v_mul_f64 v[34:35], v[34:35], v[44:45]
	v_add_f64 v[48:49], v[48:49], v[38:39]
	s_delay_alu instid0(VALU_DEP_2) | instskip(NEXT) | instid1(VALU_DEP_1)
	v_fma_f64 v[34:35], v[36:37], v[42:43], v[34:35]
	v_add_f64 v[46:47], v[46:47], v[34:35]
	ds_load_b128 v[34:37], v57 offset:128
	ds_load_b128 v[38:41], v55 offset:4096
	s_waitcnt lgkmcnt(0)
	v_mul_f64 v[42:43], v[36:37], v[40:41]
	v_mul_f64 v[44:45], v[34:35], v[40:41]
	s_delay_alu instid0(VALU_DEP_2) | instskip(NEXT) | instid1(VALU_DEP_2)
	v_fma_f64 v[42:43], v[34:35], v[38:39], -v[42:43]
	v_fma_f64 v[44:45], v[36:37], v[38:39], v[44:45]
	s_delay_alu instid0(VALU_DEP_2) | instskip(NEXT) | instid1(VALU_DEP_2)
	v_add_f64 v[2:3], v[2:3], v[42:43]
	v_add_f64 v[71:72], v[71:72], v[44:45]
	ds_load_b128 v[42:45], v55 offset:4352
	s_waitcnt lgkmcnt(0)
	v_mul_f64 v[73:74], v[36:37], v[44:45]
	s_delay_alu instid0(VALU_DEP_1) | instskip(SKIP_1) | instid1(VALU_DEP_2)
	v_fma_f64 v[73:74], v[34:35], v[42:43], -v[73:74]
	v_mul_f64 v[34:35], v[34:35], v[44:45]
	v_add_f64 v[52:53], v[52:53], v[73:74]
	s_delay_alu instid0(VALU_DEP_2) | instskip(NEXT) | instid1(VALU_DEP_1)
	v_fma_f64 v[34:35], v[36:37], v[42:43], v[34:35]
	v_add_f64 v[50:51], v[50:51], v[34:35]
	ds_load_b128 v[34:37], v57 offset:8320
	s_waitcnt lgkmcnt(0)
	v_mul_f64 v[73:74], v[36:37], v[40:41]
	v_mul_f64 v[40:41], v[34:35], v[40:41]
	s_delay_alu instid0(VALU_DEP_2) | instskip(NEXT) | instid1(VALU_DEP_2)
	v_fma_f64 v[73:74], v[34:35], v[38:39], -v[73:74]
	v_fma_f64 v[38:39], v[36:37], v[38:39], v[40:41]
	s_delay_alu instid0(VALU_DEP_2) | instskip(NEXT) | instid1(VALU_DEP_2)
	v_add_f64 v[67:68], v[67:68], v[73:74]
	v_add_f64 v[69:70], v[69:70], v[38:39]
	v_mul_f64 v[38:39], v[36:37], v[44:45]
	s_delay_alu instid0(VALU_DEP_1) | instskip(SKIP_1) | instid1(VALU_DEP_2)
	v_fma_f64 v[38:39], v[34:35], v[42:43], -v[38:39]
	v_mul_f64 v[34:35], v[34:35], v[44:45]
	v_add_f64 v[48:49], v[48:49], v[38:39]
	s_delay_alu instid0(VALU_DEP_2) | instskip(NEXT) | instid1(VALU_DEP_1)
	v_fma_f64 v[34:35], v[36:37], v[42:43], v[34:35]
	v_add_f64 v[46:47], v[46:47], v[34:35]
	ds_load_b128 v[34:37], v57 offset:144
	ds_load_b128 v[38:41], v55 offset:4608
	s_waitcnt lgkmcnt(0)
	v_mul_f64 v[42:43], v[36:37], v[40:41]
	v_mul_f64 v[44:45], v[34:35], v[40:41]
	s_delay_alu instid0(VALU_DEP_2) | instskip(NEXT) | instid1(VALU_DEP_2)
	v_fma_f64 v[42:43], v[34:35], v[38:39], -v[42:43]
	v_fma_f64 v[44:45], v[36:37], v[38:39], v[44:45]
	s_delay_alu instid0(VALU_DEP_2) | instskip(NEXT) | instid1(VALU_DEP_2)
	v_add_f64 v[2:3], v[2:3], v[42:43]
	v_add_f64 v[71:72], v[71:72], v[44:45]
	ds_load_b128 v[42:45], v55 offset:4864
	s_waitcnt lgkmcnt(0)
	v_mul_f64 v[73:74], v[36:37], v[44:45]
	s_delay_alu instid0(VALU_DEP_1) | instskip(SKIP_1) | instid1(VALU_DEP_2)
	v_fma_f64 v[73:74], v[34:35], v[42:43], -v[73:74]
	v_mul_f64 v[34:35], v[34:35], v[44:45]
	v_add_f64 v[52:53], v[52:53], v[73:74]
	s_delay_alu instid0(VALU_DEP_2) | instskip(NEXT) | instid1(VALU_DEP_1)
	v_fma_f64 v[34:35], v[36:37], v[42:43], v[34:35]
	v_add_f64 v[50:51], v[50:51], v[34:35]
	ds_load_b128 v[34:37], v57 offset:8336
	s_waitcnt lgkmcnt(0)
	v_mul_f64 v[73:74], v[36:37], v[40:41]
	v_mul_f64 v[40:41], v[34:35], v[40:41]
	s_delay_alu instid0(VALU_DEP_2) | instskip(NEXT) | instid1(VALU_DEP_2)
	v_fma_f64 v[73:74], v[34:35], v[38:39], -v[73:74]
	v_fma_f64 v[38:39], v[36:37], v[38:39], v[40:41]
	s_delay_alu instid0(VALU_DEP_2) | instskip(NEXT) | instid1(VALU_DEP_2)
	v_add_f64 v[67:68], v[67:68], v[73:74]
	v_add_f64 v[69:70], v[69:70], v[38:39]
	v_mul_f64 v[38:39], v[36:37], v[44:45]
	s_delay_alu instid0(VALU_DEP_1) | instskip(SKIP_1) | instid1(VALU_DEP_2)
	v_fma_f64 v[38:39], v[34:35], v[42:43], -v[38:39]
	v_mul_f64 v[34:35], v[34:35], v[44:45]
	v_add_f64 v[48:49], v[48:49], v[38:39]
	s_delay_alu instid0(VALU_DEP_2) | instskip(NEXT) | instid1(VALU_DEP_1)
	v_fma_f64 v[34:35], v[36:37], v[42:43], v[34:35]
	v_add_f64 v[46:47], v[46:47], v[34:35]
	ds_load_b128 v[34:37], v57 offset:160
	ds_load_b128 v[38:41], v55 offset:5120
	s_waitcnt lgkmcnt(0)
	v_mul_f64 v[42:43], v[36:37], v[40:41]
	v_mul_f64 v[44:45], v[34:35], v[40:41]
	s_delay_alu instid0(VALU_DEP_2) | instskip(NEXT) | instid1(VALU_DEP_2)
	v_fma_f64 v[42:43], v[34:35], v[38:39], -v[42:43]
	v_fma_f64 v[44:45], v[36:37], v[38:39], v[44:45]
	s_delay_alu instid0(VALU_DEP_2) | instskip(NEXT) | instid1(VALU_DEP_2)
	v_add_f64 v[2:3], v[2:3], v[42:43]
	v_add_f64 v[71:72], v[71:72], v[44:45]
	ds_load_b128 v[42:45], v55 offset:5376
	s_waitcnt lgkmcnt(0)
	v_mul_f64 v[73:74], v[36:37], v[44:45]
	s_delay_alu instid0(VALU_DEP_1) | instskip(SKIP_1) | instid1(VALU_DEP_2)
	v_fma_f64 v[73:74], v[34:35], v[42:43], -v[73:74]
	v_mul_f64 v[34:35], v[34:35], v[44:45]
	v_add_f64 v[52:53], v[52:53], v[73:74]
	s_delay_alu instid0(VALU_DEP_2) | instskip(NEXT) | instid1(VALU_DEP_1)
	v_fma_f64 v[34:35], v[36:37], v[42:43], v[34:35]
	v_add_f64 v[50:51], v[50:51], v[34:35]
	ds_load_b128 v[34:37], v57 offset:8352
	s_waitcnt lgkmcnt(0)
	v_mul_f64 v[73:74], v[36:37], v[40:41]
	v_mul_f64 v[40:41], v[34:35], v[40:41]
	s_delay_alu instid0(VALU_DEP_2) | instskip(NEXT) | instid1(VALU_DEP_2)
	v_fma_f64 v[73:74], v[34:35], v[38:39], -v[73:74]
	v_fma_f64 v[38:39], v[36:37], v[38:39], v[40:41]
	s_delay_alu instid0(VALU_DEP_2) | instskip(NEXT) | instid1(VALU_DEP_2)
	v_add_f64 v[67:68], v[67:68], v[73:74]
	v_add_f64 v[69:70], v[69:70], v[38:39]
	v_mul_f64 v[38:39], v[36:37], v[44:45]
	s_delay_alu instid0(VALU_DEP_1) | instskip(SKIP_1) | instid1(VALU_DEP_2)
	v_fma_f64 v[38:39], v[34:35], v[42:43], -v[38:39]
	v_mul_f64 v[34:35], v[34:35], v[44:45]
	v_add_f64 v[48:49], v[48:49], v[38:39]
	s_delay_alu instid0(VALU_DEP_2) | instskip(NEXT) | instid1(VALU_DEP_1)
	v_fma_f64 v[34:35], v[36:37], v[42:43], v[34:35]
	v_add_f64 v[46:47], v[46:47], v[34:35]
	ds_load_b128 v[34:37], v57 offset:176
	ds_load_b128 v[38:41], v55 offset:5632
	s_waitcnt lgkmcnt(0)
	v_mul_f64 v[42:43], v[36:37], v[40:41]
	v_mul_f64 v[44:45], v[34:35], v[40:41]
	s_delay_alu instid0(VALU_DEP_2) | instskip(NEXT) | instid1(VALU_DEP_2)
	v_fma_f64 v[42:43], v[34:35], v[38:39], -v[42:43]
	v_fma_f64 v[44:45], v[36:37], v[38:39], v[44:45]
	s_delay_alu instid0(VALU_DEP_2) | instskip(NEXT) | instid1(VALU_DEP_2)
	v_add_f64 v[2:3], v[2:3], v[42:43]
	v_add_f64 v[71:72], v[71:72], v[44:45]
	ds_load_b128 v[42:45], v55 offset:5888
	s_waitcnt lgkmcnt(0)
	v_mul_f64 v[73:74], v[36:37], v[44:45]
	s_delay_alu instid0(VALU_DEP_1) | instskip(SKIP_1) | instid1(VALU_DEP_2)
	v_fma_f64 v[73:74], v[34:35], v[42:43], -v[73:74]
	v_mul_f64 v[34:35], v[34:35], v[44:45]
	v_add_f64 v[52:53], v[52:53], v[73:74]
	s_delay_alu instid0(VALU_DEP_2) | instskip(NEXT) | instid1(VALU_DEP_1)
	v_fma_f64 v[34:35], v[36:37], v[42:43], v[34:35]
	v_add_f64 v[50:51], v[50:51], v[34:35]
	ds_load_b128 v[34:37], v57 offset:8368
	s_waitcnt lgkmcnt(0)
	v_mul_f64 v[73:74], v[36:37], v[40:41]
	v_mul_f64 v[40:41], v[34:35], v[40:41]
	s_delay_alu instid0(VALU_DEP_2) | instskip(NEXT) | instid1(VALU_DEP_2)
	v_fma_f64 v[73:74], v[34:35], v[38:39], -v[73:74]
	v_fma_f64 v[38:39], v[36:37], v[38:39], v[40:41]
	s_delay_alu instid0(VALU_DEP_2) | instskip(NEXT) | instid1(VALU_DEP_2)
	v_add_f64 v[67:68], v[67:68], v[73:74]
	v_add_f64 v[69:70], v[69:70], v[38:39]
	v_mul_f64 v[38:39], v[36:37], v[44:45]
	s_delay_alu instid0(VALU_DEP_1) | instskip(SKIP_1) | instid1(VALU_DEP_2)
	v_fma_f64 v[38:39], v[34:35], v[42:43], -v[38:39]
	v_mul_f64 v[34:35], v[34:35], v[44:45]
	v_add_f64 v[48:49], v[48:49], v[38:39]
	s_delay_alu instid0(VALU_DEP_2) | instskip(NEXT) | instid1(VALU_DEP_1)
	v_fma_f64 v[34:35], v[36:37], v[42:43], v[34:35]
	v_add_f64 v[46:47], v[46:47], v[34:35]
	ds_load_b128 v[34:37], v57 offset:192
	ds_load_b128 v[38:41], v55 offset:6144
	s_waitcnt lgkmcnt(0)
	v_mul_f64 v[42:43], v[36:37], v[40:41]
	v_mul_f64 v[44:45], v[34:35], v[40:41]
	s_delay_alu instid0(VALU_DEP_2) | instskip(NEXT) | instid1(VALU_DEP_2)
	v_fma_f64 v[42:43], v[34:35], v[38:39], -v[42:43]
	v_fma_f64 v[44:45], v[36:37], v[38:39], v[44:45]
	s_delay_alu instid0(VALU_DEP_2) | instskip(NEXT) | instid1(VALU_DEP_2)
	v_add_f64 v[2:3], v[2:3], v[42:43]
	v_add_f64 v[71:72], v[71:72], v[44:45]
	ds_load_b128 v[42:45], v55 offset:6400
	s_waitcnt lgkmcnt(0)
	v_mul_f64 v[73:74], v[36:37], v[44:45]
	s_delay_alu instid0(VALU_DEP_1) | instskip(SKIP_1) | instid1(VALU_DEP_2)
	v_fma_f64 v[73:74], v[34:35], v[42:43], -v[73:74]
	v_mul_f64 v[34:35], v[34:35], v[44:45]
	v_add_f64 v[52:53], v[52:53], v[73:74]
	s_delay_alu instid0(VALU_DEP_2) | instskip(NEXT) | instid1(VALU_DEP_1)
	v_fma_f64 v[34:35], v[36:37], v[42:43], v[34:35]
	v_add_f64 v[50:51], v[50:51], v[34:35]
	ds_load_b128 v[34:37], v57 offset:8384
	s_waitcnt lgkmcnt(0)
	v_mul_f64 v[73:74], v[36:37], v[40:41]
	v_mul_f64 v[40:41], v[34:35], v[40:41]
	s_delay_alu instid0(VALU_DEP_2) | instskip(NEXT) | instid1(VALU_DEP_2)
	v_fma_f64 v[73:74], v[34:35], v[38:39], -v[73:74]
	v_fma_f64 v[38:39], v[36:37], v[38:39], v[40:41]
	s_delay_alu instid0(VALU_DEP_2) | instskip(NEXT) | instid1(VALU_DEP_2)
	v_add_f64 v[67:68], v[67:68], v[73:74]
	v_add_f64 v[69:70], v[69:70], v[38:39]
	v_mul_f64 v[38:39], v[36:37], v[44:45]
	s_delay_alu instid0(VALU_DEP_1) | instskip(SKIP_1) | instid1(VALU_DEP_2)
	v_fma_f64 v[38:39], v[34:35], v[42:43], -v[38:39]
	v_mul_f64 v[34:35], v[34:35], v[44:45]
	v_add_f64 v[48:49], v[48:49], v[38:39]
	s_delay_alu instid0(VALU_DEP_2) | instskip(NEXT) | instid1(VALU_DEP_1)
	v_fma_f64 v[34:35], v[36:37], v[42:43], v[34:35]
	v_add_f64 v[46:47], v[46:47], v[34:35]
	ds_load_b128 v[34:37], v57 offset:208
	ds_load_b128 v[38:41], v55 offset:6656
	s_waitcnt lgkmcnt(0)
	v_mul_f64 v[42:43], v[36:37], v[40:41]
	v_mul_f64 v[44:45], v[34:35], v[40:41]
	s_delay_alu instid0(VALU_DEP_2) | instskip(NEXT) | instid1(VALU_DEP_2)
	v_fma_f64 v[42:43], v[34:35], v[38:39], -v[42:43]
	v_fma_f64 v[44:45], v[36:37], v[38:39], v[44:45]
	s_delay_alu instid0(VALU_DEP_2) | instskip(NEXT) | instid1(VALU_DEP_2)
	v_add_f64 v[2:3], v[2:3], v[42:43]
	v_add_f64 v[71:72], v[71:72], v[44:45]
	ds_load_b128 v[42:45], v55 offset:6912
	s_waitcnt lgkmcnt(0)
	v_mul_f64 v[73:74], v[36:37], v[44:45]
	s_delay_alu instid0(VALU_DEP_1) | instskip(SKIP_1) | instid1(VALU_DEP_2)
	v_fma_f64 v[73:74], v[34:35], v[42:43], -v[73:74]
	v_mul_f64 v[34:35], v[34:35], v[44:45]
	v_add_f64 v[52:53], v[52:53], v[73:74]
	s_delay_alu instid0(VALU_DEP_2) | instskip(NEXT) | instid1(VALU_DEP_1)
	v_fma_f64 v[34:35], v[36:37], v[42:43], v[34:35]
	v_add_f64 v[50:51], v[50:51], v[34:35]
	ds_load_b128 v[34:37], v57 offset:8400
	s_waitcnt lgkmcnt(0)
	v_mul_f64 v[73:74], v[36:37], v[40:41]
	v_mul_f64 v[40:41], v[34:35], v[40:41]
	s_delay_alu instid0(VALU_DEP_2) | instskip(NEXT) | instid1(VALU_DEP_2)
	v_fma_f64 v[73:74], v[34:35], v[38:39], -v[73:74]
	v_fma_f64 v[38:39], v[36:37], v[38:39], v[40:41]
	s_delay_alu instid0(VALU_DEP_2) | instskip(NEXT) | instid1(VALU_DEP_2)
	v_add_f64 v[67:68], v[67:68], v[73:74]
	v_add_f64 v[69:70], v[69:70], v[38:39]
	v_mul_f64 v[38:39], v[36:37], v[44:45]
	s_delay_alu instid0(VALU_DEP_1) | instskip(SKIP_1) | instid1(VALU_DEP_2)
	v_fma_f64 v[38:39], v[34:35], v[42:43], -v[38:39]
	v_mul_f64 v[34:35], v[34:35], v[44:45]
	v_add_f64 v[48:49], v[48:49], v[38:39]
	s_delay_alu instid0(VALU_DEP_2) | instskip(NEXT) | instid1(VALU_DEP_1)
	v_fma_f64 v[34:35], v[36:37], v[42:43], v[34:35]
	v_add_f64 v[46:47], v[46:47], v[34:35]
	ds_load_b128 v[34:37], v57 offset:224
	ds_load_b128 v[38:41], v55 offset:7168
	s_waitcnt lgkmcnt(0)
	v_mul_f64 v[42:43], v[36:37], v[40:41]
	v_mul_f64 v[44:45], v[34:35], v[40:41]
	s_delay_alu instid0(VALU_DEP_2) | instskip(NEXT) | instid1(VALU_DEP_2)
	v_fma_f64 v[42:43], v[34:35], v[38:39], -v[42:43]
	v_fma_f64 v[44:45], v[36:37], v[38:39], v[44:45]
	s_delay_alu instid0(VALU_DEP_2) | instskip(NEXT) | instid1(VALU_DEP_2)
	v_add_f64 v[2:3], v[2:3], v[42:43]
	v_add_f64 v[71:72], v[71:72], v[44:45]
	ds_load_b128 v[42:45], v55 offset:7424
	s_waitcnt lgkmcnt(0)
	v_mul_f64 v[73:74], v[36:37], v[44:45]
	s_delay_alu instid0(VALU_DEP_1) | instskip(SKIP_1) | instid1(VALU_DEP_2)
	v_fma_f64 v[73:74], v[34:35], v[42:43], -v[73:74]
	v_mul_f64 v[34:35], v[34:35], v[44:45]
	v_add_f64 v[52:53], v[52:53], v[73:74]
	s_delay_alu instid0(VALU_DEP_2) | instskip(NEXT) | instid1(VALU_DEP_1)
	v_fma_f64 v[34:35], v[36:37], v[42:43], v[34:35]
	v_add_f64 v[50:51], v[50:51], v[34:35]
	ds_load_b128 v[34:37], v57 offset:8416
	s_waitcnt lgkmcnt(0)
	v_mul_f64 v[73:74], v[36:37], v[40:41]
	v_mul_f64 v[40:41], v[34:35], v[40:41]
	s_delay_alu instid0(VALU_DEP_2) | instskip(NEXT) | instid1(VALU_DEP_2)
	v_fma_f64 v[73:74], v[34:35], v[38:39], -v[73:74]
	v_fma_f64 v[38:39], v[36:37], v[38:39], v[40:41]
	s_delay_alu instid0(VALU_DEP_2) | instskip(NEXT) | instid1(VALU_DEP_2)
	v_add_f64 v[67:68], v[67:68], v[73:74]
	v_add_f64 v[69:70], v[69:70], v[38:39]
	v_mul_f64 v[38:39], v[36:37], v[44:45]
	s_delay_alu instid0(VALU_DEP_1) | instskip(SKIP_1) | instid1(VALU_DEP_2)
	v_fma_f64 v[38:39], v[34:35], v[42:43], -v[38:39]
	v_mul_f64 v[34:35], v[34:35], v[44:45]
	v_add_f64 v[48:49], v[48:49], v[38:39]
	s_delay_alu instid0(VALU_DEP_2) | instskip(NEXT) | instid1(VALU_DEP_1)
	v_fma_f64 v[34:35], v[36:37], v[42:43], v[34:35]
	v_add_f64 v[46:47], v[46:47], v[34:35]
	ds_load_b128 v[34:37], v57 offset:240
	ds_load_b128 v[38:41], v55 offset:7680
	s_waitcnt lgkmcnt(0)
	v_mul_f64 v[42:43], v[36:37], v[40:41]
	v_mul_f64 v[44:45], v[34:35], v[40:41]
	s_delay_alu instid0(VALU_DEP_2) | instskip(NEXT) | instid1(VALU_DEP_2)
	v_fma_f64 v[42:43], v[34:35], v[38:39], -v[42:43]
	v_fma_f64 v[44:45], v[36:37], v[38:39], v[44:45]
	s_delay_alu instid0(VALU_DEP_2) | instskip(NEXT) | instid1(VALU_DEP_2)
	v_add_f64 v[2:3], v[2:3], v[42:43]
	v_add_f64 v[71:72], v[71:72], v[44:45]
	ds_load_b128 v[42:45], v55 offset:7936
	s_waitcnt lgkmcnt(0)
	v_mul_f64 v[73:74], v[36:37], v[44:45]
	s_delay_alu instid0(VALU_DEP_1) | instskip(SKIP_1) | instid1(VALU_DEP_2)
	v_fma_f64 v[73:74], v[34:35], v[42:43], -v[73:74]
	v_mul_f64 v[34:35], v[34:35], v[44:45]
	v_add_f64 v[52:53], v[52:53], v[73:74]
	s_delay_alu instid0(VALU_DEP_2) | instskip(NEXT) | instid1(VALU_DEP_1)
	v_fma_f64 v[34:35], v[36:37], v[42:43], v[34:35]
	v_add_f64 v[50:51], v[50:51], v[34:35]
	ds_load_b128 v[34:37], v57 offset:8432
	s_waitcnt lgkmcnt(0)
	v_mul_f64 v[73:74], v[36:37], v[40:41]
	v_mul_f64 v[40:41], v[34:35], v[40:41]
	s_delay_alu instid0(VALU_DEP_2) | instskip(NEXT) | instid1(VALU_DEP_2)
	v_fma_f64 v[73:74], v[34:35], v[38:39], -v[73:74]
	v_fma_f64 v[38:39], v[36:37], v[38:39], v[40:41]
	s_delay_alu instid0(VALU_DEP_2) | instskip(NEXT) | instid1(VALU_DEP_2)
	v_add_f64 v[67:68], v[67:68], v[73:74]
	v_add_f64 v[69:70], v[69:70], v[38:39]
	v_mul_f64 v[38:39], v[36:37], v[44:45]
	s_delay_alu instid0(VALU_DEP_1) | instskip(SKIP_1) | instid1(VALU_DEP_2)
	v_fma_f64 v[38:39], v[34:35], v[42:43], -v[38:39]
	v_mul_f64 v[34:35], v[34:35], v[44:45]
	v_add_f64 v[48:49], v[48:49], v[38:39]
	s_delay_alu instid0(VALU_DEP_2) | instskip(NEXT) | instid1(VALU_DEP_1)
	v_fma_f64 v[34:35], v[36:37], v[42:43], v[34:35]
	v_add_f64 v[46:47], v[46:47], v[34:35]
	ds_load_b128 v[34:37], v57 offset:256
	ds_load_b128 v[38:41], v55 offset:8192
	s_waitcnt lgkmcnt(0)
	v_mul_f64 v[42:43], v[36:37], v[40:41]
	v_mul_f64 v[44:45], v[34:35], v[40:41]
	s_delay_alu instid0(VALU_DEP_2) | instskip(NEXT) | instid1(VALU_DEP_2)
	v_fma_f64 v[42:43], v[34:35], v[38:39], -v[42:43]
	v_fma_f64 v[44:45], v[36:37], v[38:39], v[44:45]
	s_delay_alu instid0(VALU_DEP_2) | instskip(NEXT) | instid1(VALU_DEP_2)
	v_add_f64 v[2:3], v[2:3], v[42:43]
	v_add_f64 v[71:72], v[71:72], v[44:45]
	ds_load_b128 v[42:45], v55 offset:8448
	s_waitcnt lgkmcnt(0)
	v_mul_f64 v[73:74], v[36:37], v[44:45]
	s_delay_alu instid0(VALU_DEP_1) | instskip(SKIP_1) | instid1(VALU_DEP_2)
	v_fma_f64 v[73:74], v[34:35], v[42:43], -v[73:74]
	v_mul_f64 v[34:35], v[34:35], v[44:45]
	v_add_f64 v[52:53], v[52:53], v[73:74]
	s_delay_alu instid0(VALU_DEP_2) | instskip(NEXT) | instid1(VALU_DEP_1)
	v_fma_f64 v[34:35], v[36:37], v[42:43], v[34:35]
	v_add_f64 v[50:51], v[50:51], v[34:35]
	ds_load_b128 v[34:37], v57 offset:8448
	s_waitcnt lgkmcnt(0)
	v_mul_f64 v[73:74], v[36:37], v[40:41]
	v_mul_f64 v[40:41], v[34:35], v[40:41]
	s_delay_alu instid0(VALU_DEP_2) | instskip(NEXT) | instid1(VALU_DEP_2)
	v_fma_f64 v[73:74], v[34:35], v[38:39], -v[73:74]
	v_fma_f64 v[38:39], v[36:37], v[38:39], v[40:41]
	s_delay_alu instid0(VALU_DEP_2) | instskip(NEXT) | instid1(VALU_DEP_2)
	v_add_f64 v[67:68], v[67:68], v[73:74]
	v_add_f64 v[69:70], v[69:70], v[38:39]
	v_mul_f64 v[38:39], v[36:37], v[44:45]
	s_delay_alu instid0(VALU_DEP_1) | instskip(SKIP_1) | instid1(VALU_DEP_2)
	v_fma_f64 v[38:39], v[34:35], v[42:43], -v[38:39]
	v_mul_f64 v[34:35], v[34:35], v[44:45]
	v_add_f64 v[48:49], v[48:49], v[38:39]
	s_delay_alu instid0(VALU_DEP_2) | instskip(NEXT) | instid1(VALU_DEP_1)
	v_fma_f64 v[34:35], v[36:37], v[42:43], v[34:35]
	v_add_f64 v[46:47], v[46:47], v[34:35]
	ds_load_b128 v[34:37], v57 offset:272
	ds_load_b128 v[38:41], v55 offset:8704
	s_waitcnt lgkmcnt(0)
	v_mul_f64 v[42:43], v[36:37], v[40:41]
	v_mul_f64 v[44:45], v[34:35], v[40:41]
	s_delay_alu instid0(VALU_DEP_2) | instskip(NEXT) | instid1(VALU_DEP_2)
	v_fma_f64 v[42:43], v[34:35], v[38:39], -v[42:43]
	v_fma_f64 v[44:45], v[36:37], v[38:39], v[44:45]
	s_delay_alu instid0(VALU_DEP_2) | instskip(NEXT) | instid1(VALU_DEP_2)
	v_add_f64 v[2:3], v[2:3], v[42:43]
	v_add_f64 v[71:72], v[71:72], v[44:45]
	ds_load_b128 v[42:45], v55 offset:8960
	s_waitcnt lgkmcnt(0)
	v_mul_f64 v[73:74], v[36:37], v[44:45]
	s_delay_alu instid0(VALU_DEP_1) | instskip(SKIP_1) | instid1(VALU_DEP_2)
	v_fma_f64 v[73:74], v[34:35], v[42:43], -v[73:74]
	v_mul_f64 v[34:35], v[34:35], v[44:45]
	v_add_f64 v[52:53], v[52:53], v[73:74]
	s_delay_alu instid0(VALU_DEP_2) | instskip(NEXT) | instid1(VALU_DEP_1)
	v_fma_f64 v[34:35], v[36:37], v[42:43], v[34:35]
	v_add_f64 v[50:51], v[50:51], v[34:35]
	ds_load_b128 v[34:37], v57 offset:8464
	s_waitcnt lgkmcnt(0)
	v_mul_f64 v[73:74], v[36:37], v[40:41]
	v_mul_f64 v[40:41], v[34:35], v[40:41]
	s_delay_alu instid0(VALU_DEP_2) | instskip(NEXT) | instid1(VALU_DEP_2)
	v_fma_f64 v[73:74], v[34:35], v[38:39], -v[73:74]
	v_fma_f64 v[38:39], v[36:37], v[38:39], v[40:41]
	s_delay_alu instid0(VALU_DEP_2) | instskip(NEXT) | instid1(VALU_DEP_2)
	v_add_f64 v[67:68], v[67:68], v[73:74]
	v_add_f64 v[69:70], v[69:70], v[38:39]
	v_mul_f64 v[38:39], v[36:37], v[44:45]
	s_delay_alu instid0(VALU_DEP_1) | instskip(SKIP_1) | instid1(VALU_DEP_2)
	v_fma_f64 v[38:39], v[34:35], v[42:43], -v[38:39]
	v_mul_f64 v[34:35], v[34:35], v[44:45]
	v_add_f64 v[48:49], v[48:49], v[38:39]
	s_delay_alu instid0(VALU_DEP_2) | instskip(NEXT) | instid1(VALU_DEP_1)
	v_fma_f64 v[34:35], v[36:37], v[42:43], v[34:35]
	v_add_f64 v[46:47], v[46:47], v[34:35]
	ds_load_b128 v[34:37], v57 offset:288
	ds_load_b128 v[38:41], v55 offset:9216
	s_waitcnt lgkmcnt(0)
	v_mul_f64 v[42:43], v[36:37], v[40:41]
	v_mul_f64 v[44:45], v[34:35], v[40:41]
	s_delay_alu instid0(VALU_DEP_2) | instskip(NEXT) | instid1(VALU_DEP_2)
	v_fma_f64 v[42:43], v[34:35], v[38:39], -v[42:43]
	v_fma_f64 v[44:45], v[36:37], v[38:39], v[44:45]
	s_delay_alu instid0(VALU_DEP_2) | instskip(NEXT) | instid1(VALU_DEP_2)
	v_add_f64 v[2:3], v[2:3], v[42:43]
	v_add_f64 v[71:72], v[71:72], v[44:45]
	ds_load_b128 v[42:45], v55 offset:9472
	s_waitcnt lgkmcnt(0)
	v_mul_f64 v[73:74], v[36:37], v[44:45]
	s_delay_alu instid0(VALU_DEP_1) | instskip(SKIP_1) | instid1(VALU_DEP_2)
	v_fma_f64 v[73:74], v[34:35], v[42:43], -v[73:74]
	v_mul_f64 v[34:35], v[34:35], v[44:45]
	v_add_f64 v[52:53], v[52:53], v[73:74]
	s_delay_alu instid0(VALU_DEP_2) | instskip(NEXT) | instid1(VALU_DEP_1)
	v_fma_f64 v[34:35], v[36:37], v[42:43], v[34:35]
	v_add_f64 v[50:51], v[50:51], v[34:35]
	ds_load_b128 v[34:37], v57 offset:8480
	s_waitcnt lgkmcnt(0)
	v_mul_f64 v[73:74], v[36:37], v[40:41]
	v_mul_f64 v[40:41], v[34:35], v[40:41]
	s_delay_alu instid0(VALU_DEP_2) | instskip(NEXT) | instid1(VALU_DEP_2)
	v_fma_f64 v[73:74], v[34:35], v[38:39], -v[73:74]
	v_fma_f64 v[38:39], v[36:37], v[38:39], v[40:41]
	s_delay_alu instid0(VALU_DEP_2) | instskip(NEXT) | instid1(VALU_DEP_2)
	v_add_f64 v[67:68], v[67:68], v[73:74]
	v_add_f64 v[69:70], v[69:70], v[38:39]
	v_mul_f64 v[38:39], v[36:37], v[44:45]
	s_delay_alu instid0(VALU_DEP_1) | instskip(SKIP_1) | instid1(VALU_DEP_2)
	v_fma_f64 v[38:39], v[34:35], v[42:43], -v[38:39]
	v_mul_f64 v[34:35], v[34:35], v[44:45]
	v_add_f64 v[48:49], v[48:49], v[38:39]
	s_delay_alu instid0(VALU_DEP_2) | instskip(NEXT) | instid1(VALU_DEP_1)
	v_fma_f64 v[34:35], v[36:37], v[42:43], v[34:35]
	v_add_f64 v[46:47], v[46:47], v[34:35]
	ds_load_b128 v[34:37], v57 offset:304
	ds_load_b128 v[38:41], v55 offset:9728
	s_waitcnt lgkmcnt(0)
	v_mul_f64 v[42:43], v[36:37], v[40:41]
	v_mul_f64 v[44:45], v[34:35], v[40:41]
	s_delay_alu instid0(VALU_DEP_2) | instskip(NEXT) | instid1(VALU_DEP_2)
	v_fma_f64 v[42:43], v[34:35], v[38:39], -v[42:43]
	v_fma_f64 v[44:45], v[36:37], v[38:39], v[44:45]
	s_delay_alu instid0(VALU_DEP_2) | instskip(NEXT) | instid1(VALU_DEP_2)
	v_add_f64 v[2:3], v[2:3], v[42:43]
	v_add_f64 v[71:72], v[71:72], v[44:45]
	ds_load_b128 v[42:45], v55 offset:9984
	s_waitcnt lgkmcnt(0)
	v_mul_f64 v[73:74], v[36:37], v[44:45]
	s_delay_alu instid0(VALU_DEP_1) | instskip(SKIP_1) | instid1(VALU_DEP_2)
	v_fma_f64 v[73:74], v[34:35], v[42:43], -v[73:74]
	v_mul_f64 v[34:35], v[34:35], v[44:45]
	v_add_f64 v[52:53], v[52:53], v[73:74]
	s_delay_alu instid0(VALU_DEP_2) | instskip(NEXT) | instid1(VALU_DEP_1)
	v_fma_f64 v[34:35], v[36:37], v[42:43], v[34:35]
	v_add_f64 v[50:51], v[50:51], v[34:35]
	ds_load_b128 v[34:37], v57 offset:8496
	s_waitcnt lgkmcnt(0)
	v_mul_f64 v[73:74], v[36:37], v[40:41]
	v_mul_f64 v[40:41], v[34:35], v[40:41]
	s_delay_alu instid0(VALU_DEP_2) | instskip(NEXT) | instid1(VALU_DEP_2)
	v_fma_f64 v[73:74], v[34:35], v[38:39], -v[73:74]
	v_fma_f64 v[38:39], v[36:37], v[38:39], v[40:41]
	s_delay_alu instid0(VALU_DEP_2) | instskip(NEXT) | instid1(VALU_DEP_2)
	v_add_f64 v[67:68], v[67:68], v[73:74]
	v_add_f64 v[69:70], v[69:70], v[38:39]
	v_mul_f64 v[38:39], v[36:37], v[44:45]
	s_delay_alu instid0(VALU_DEP_1) | instskip(SKIP_1) | instid1(VALU_DEP_2)
	v_fma_f64 v[38:39], v[34:35], v[42:43], -v[38:39]
	v_mul_f64 v[34:35], v[34:35], v[44:45]
	v_add_f64 v[48:49], v[48:49], v[38:39]
	s_delay_alu instid0(VALU_DEP_2) | instskip(NEXT) | instid1(VALU_DEP_1)
	v_fma_f64 v[34:35], v[36:37], v[42:43], v[34:35]
	v_add_f64 v[46:47], v[46:47], v[34:35]
	ds_load_b128 v[34:37], v57 offset:320
	ds_load_b128 v[38:41], v55 offset:10240
	s_waitcnt lgkmcnt(0)
	v_mul_f64 v[42:43], v[36:37], v[40:41]
	v_mul_f64 v[44:45], v[34:35], v[40:41]
	s_delay_alu instid0(VALU_DEP_2) | instskip(NEXT) | instid1(VALU_DEP_2)
	v_fma_f64 v[42:43], v[34:35], v[38:39], -v[42:43]
	v_fma_f64 v[44:45], v[36:37], v[38:39], v[44:45]
	s_delay_alu instid0(VALU_DEP_2) | instskip(NEXT) | instid1(VALU_DEP_2)
	v_add_f64 v[2:3], v[2:3], v[42:43]
	v_add_f64 v[71:72], v[71:72], v[44:45]
	ds_load_b128 v[42:45], v55 offset:10496
	s_waitcnt lgkmcnt(0)
	v_mul_f64 v[73:74], v[36:37], v[44:45]
	s_delay_alu instid0(VALU_DEP_1) | instskip(SKIP_1) | instid1(VALU_DEP_2)
	v_fma_f64 v[73:74], v[34:35], v[42:43], -v[73:74]
	v_mul_f64 v[34:35], v[34:35], v[44:45]
	v_add_f64 v[52:53], v[52:53], v[73:74]
	s_delay_alu instid0(VALU_DEP_2) | instskip(NEXT) | instid1(VALU_DEP_1)
	v_fma_f64 v[34:35], v[36:37], v[42:43], v[34:35]
	v_add_f64 v[50:51], v[50:51], v[34:35]
	ds_load_b128 v[34:37], v57 offset:8512
	s_waitcnt lgkmcnt(0)
	v_mul_f64 v[73:74], v[36:37], v[40:41]
	v_mul_f64 v[40:41], v[34:35], v[40:41]
	s_delay_alu instid0(VALU_DEP_2) | instskip(NEXT) | instid1(VALU_DEP_2)
	v_fma_f64 v[73:74], v[34:35], v[38:39], -v[73:74]
	v_fma_f64 v[38:39], v[36:37], v[38:39], v[40:41]
	s_delay_alu instid0(VALU_DEP_2) | instskip(NEXT) | instid1(VALU_DEP_2)
	v_add_f64 v[67:68], v[67:68], v[73:74]
	v_add_f64 v[69:70], v[69:70], v[38:39]
	v_mul_f64 v[38:39], v[36:37], v[44:45]
	s_delay_alu instid0(VALU_DEP_1) | instskip(SKIP_1) | instid1(VALU_DEP_2)
	v_fma_f64 v[38:39], v[34:35], v[42:43], -v[38:39]
	v_mul_f64 v[34:35], v[34:35], v[44:45]
	v_add_f64 v[48:49], v[48:49], v[38:39]
	s_delay_alu instid0(VALU_DEP_2) | instskip(NEXT) | instid1(VALU_DEP_1)
	v_fma_f64 v[34:35], v[36:37], v[42:43], v[34:35]
	v_add_f64 v[46:47], v[46:47], v[34:35]
	ds_load_b128 v[34:37], v57 offset:336
	ds_load_b128 v[38:41], v55 offset:10752
	s_waitcnt lgkmcnt(0)
	v_mul_f64 v[42:43], v[36:37], v[40:41]
	v_mul_f64 v[44:45], v[34:35], v[40:41]
	s_delay_alu instid0(VALU_DEP_2) | instskip(NEXT) | instid1(VALU_DEP_2)
	v_fma_f64 v[42:43], v[34:35], v[38:39], -v[42:43]
	v_fma_f64 v[44:45], v[36:37], v[38:39], v[44:45]
	s_delay_alu instid0(VALU_DEP_2) | instskip(NEXT) | instid1(VALU_DEP_2)
	v_add_f64 v[2:3], v[2:3], v[42:43]
	v_add_f64 v[71:72], v[71:72], v[44:45]
	ds_load_b128 v[42:45], v55 offset:11008
	s_waitcnt lgkmcnt(0)
	v_mul_f64 v[73:74], v[36:37], v[44:45]
	s_delay_alu instid0(VALU_DEP_1) | instskip(SKIP_1) | instid1(VALU_DEP_2)
	v_fma_f64 v[73:74], v[34:35], v[42:43], -v[73:74]
	v_mul_f64 v[34:35], v[34:35], v[44:45]
	v_add_f64 v[52:53], v[52:53], v[73:74]
	s_delay_alu instid0(VALU_DEP_2) | instskip(NEXT) | instid1(VALU_DEP_1)
	v_fma_f64 v[34:35], v[36:37], v[42:43], v[34:35]
	v_add_f64 v[50:51], v[50:51], v[34:35]
	ds_load_b128 v[34:37], v57 offset:8528
	s_waitcnt lgkmcnt(0)
	v_mul_f64 v[73:74], v[36:37], v[40:41]
	v_mul_f64 v[40:41], v[34:35], v[40:41]
	s_delay_alu instid0(VALU_DEP_2) | instskip(NEXT) | instid1(VALU_DEP_2)
	v_fma_f64 v[73:74], v[34:35], v[38:39], -v[73:74]
	v_fma_f64 v[38:39], v[36:37], v[38:39], v[40:41]
	s_delay_alu instid0(VALU_DEP_2) | instskip(NEXT) | instid1(VALU_DEP_2)
	v_add_f64 v[67:68], v[67:68], v[73:74]
	v_add_f64 v[69:70], v[69:70], v[38:39]
	v_mul_f64 v[38:39], v[36:37], v[44:45]
	s_delay_alu instid0(VALU_DEP_1) | instskip(SKIP_1) | instid1(VALU_DEP_2)
	v_fma_f64 v[38:39], v[34:35], v[42:43], -v[38:39]
	v_mul_f64 v[34:35], v[34:35], v[44:45]
	v_add_f64 v[48:49], v[48:49], v[38:39]
	s_delay_alu instid0(VALU_DEP_2) | instskip(NEXT) | instid1(VALU_DEP_1)
	v_fma_f64 v[34:35], v[36:37], v[42:43], v[34:35]
	v_add_f64 v[46:47], v[46:47], v[34:35]
	ds_load_b128 v[34:37], v57 offset:352
	ds_load_b128 v[38:41], v55 offset:11264
	s_waitcnt lgkmcnt(0)
	v_mul_f64 v[42:43], v[36:37], v[40:41]
	v_mul_f64 v[44:45], v[34:35], v[40:41]
	s_delay_alu instid0(VALU_DEP_2) | instskip(NEXT) | instid1(VALU_DEP_2)
	v_fma_f64 v[42:43], v[34:35], v[38:39], -v[42:43]
	v_fma_f64 v[44:45], v[36:37], v[38:39], v[44:45]
	s_delay_alu instid0(VALU_DEP_2) | instskip(NEXT) | instid1(VALU_DEP_2)
	v_add_f64 v[2:3], v[2:3], v[42:43]
	v_add_f64 v[71:72], v[71:72], v[44:45]
	ds_load_b128 v[42:45], v55 offset:11520
	s_waitcnt lgkmcnt(0)
	v_mul_f64 v[73:74], v[36:37], v[44:45]
	s_delay_alu instid0(VALU_DEP_1) | instskip(SKIP_1) | instid1(VALU_DEP_2)
	v_fma_f64 v[73:74], v[34:35], v[42:43], -v[73:74]
	v_mul_f64 v[34:35], v[34:35], v[44:45]
	v_add_f64 v[52:53], v[52:53], v[73:74]
	s_delay_alu instid0(VALU_DEP_2) | instskip(NEXT) | instid1(VALU_DEP_1)
	v_fma_f64 v[34:35], v[36:37], v[42:43], v[34:35]
	v_add_f64 v[50:51], v[50:51], v[34:35]
	ds_load_b128 v[34:37], v57 offset:8544
	s_waitcnt lgkmcnt(0)
	v_mul_f64 v[73:74], v[36:37], v[40:41]
	v_mul_f64 v[40:41], v[34:35], v[40:41]
	s_delay_alu instid0(VALU_DEP_2) | instskip(NEXT) | instid1(VALU_DEP_2)
	v_fma_f64 v[73:74], v[34:35], v[38:39], -v[73:74]
	v_fma_f64 v[38:39], v[36:37], v[38:39], v[40:41]
	s_delay_alu instid0(VALU_DEP_2) | instskip(NEXT) | instid1(VALU_DEP_2)
	v_add_f64 v[67:68], v[67:68], v[73:74]
	v_add_f64 v[69:70], v[69:70], v[38:39]
	v_mul_f64 v[38:39], v[36:37], v[44:45]
	s_delay_alu instid0(VALU_DEP_1) | instskip(SKIP_1) | instid1(VALU_DEP_2)
	v_fma_f64 v[38:39], v[34:35], v[42:43], -v[38:39]
	v_mul_f64 v[34:35], v[34:35], v[44:45]
	v_add_f64 v[48:49], v[48:49], v[38:39]
	s_delay_alu instid0(VALU_DEP_2) | instskip(NEXT) | instid1(VALU_DEP_1)
	v_fma_f64 v[34:35], v[36:37], v[42:43], v[34:35]
	v_add_f64 v[46:47], v[46:47], v[34:35]
	ds_load_b128 v[34:37], v57 offset:368
	ds_load_b128 v[38:41], v55 offset:11776
	s_waitcnt lgkmcnt(0)
	v_mul_f64 v[42:43], v[36:37], v[40:41]
	v_mul_f64 v[44:45], v[34:35], v[40:41]
	s_delay_alu instid0(VALU_DEP_2) | instskip(NEXT) | instid1(VALU_DEP_2)
	v_fma_f64 v[42:43], v[34:35], v[38:39], -v[42:43]
	v_fma_f64 v[44:45], v[36:37], v[38:39], v[44:45]
	s_delay_alu instid0(VALU_DEP_2) | instskip(NEXT) | instid1(VALU_DEP_2)
	v_add_f64 v[2:3], v[2:3], v[42:43]
	v_add_f64 v[71:72], v[71:72], v[44:45]
	ds_load_b128 v[42:45], v55 offset:12032
	s_waitcnt lgkmcnt(0)
	v_mul_f64 v[73:74], v[36:37], v[44:45]
	s_delay_alu instid0(VALU_DEP_1) | instskip(SKIP_1) | instid1(VALU_DEP_2)
	v_fma_f64 v[73:74], v[34:35], v[42:43], -v[73:74]
	v_mul_f64 v[34:35], v[34:35], v[44:45]
	v_add_f64 v[52:53], v[52:53], v[73:74]
	s_delay_alu instid0(VALU_DEP_2) | instskip(NEXT) | instid1(VALU_DEP_1)
	v_fma_f64 v[34:35], v[36:37], v[42:43], v[34:35]
	v_add_f64 v[50:51], v[50:51], v[34:35]
	ds_load_b128 v[34:37], v57 offset:8560
	s_waitcnt lgkmcnt(0)
	v_mul_f64 v[73:74], v[36:37], v[40:41]
	v_mul_f64 v[40:41], v[34:35], v[40:41]
	s_delay_alu instid0(VALU_DEP_2) | instskip(NEXT) | instid1(VALU_DEP_2)
	v_fma_f64 v[73:74], v[34:35], v[38:39], -v[73:74]
	v_fma_f64 v[38:39], v[36:37], v[38:39], v[40:41]
	s_delay_alu instid0(VALU_DEP_2) | instskip(NEXT) | instid1(VALU_DEP_2)
	v_add_f64 v[67:68], v[67:68], v[73:74]
	v_add_f64 v[69:70], v[69:70], v[38:39]
	v_mul_f64 v[38:39], v[36:37], v[44:45]
	s_delay_alu instid0(VALU_DEP_1) | instskip(SKIP_1) | instid1(VALU_DEP_2)
	v_fma_f64 v[38:39], v[34:35], v[42:43], -v[38:39]
	v_mul_f64 v[34:35], v[34:35], v[44:45]
	v_add_f64 v[48:49], v[48:49], v[38:39]
	s_delay_alu instid0(VALU_DEP_2) | instskip(NEXT) | instid1(VALU_DEP_1)
	v_fma_f64 v[34:35], v[36:37], v[42:43], v[34:35]
	v_add_f64 v[46:47], v[46:47], v[34:35]
	ds_load_b128 v[34:37], v57 offset:384
	ds_load_b128 v[38:41], v55 offset:12288
	s_waitcnt lgkmcnt(0)
	v_mul_f64 v[42:43], v[36:37], v[40:41]
	v_mul_f64 v[44:45], v[34:35], v[40:41]
	s_delay_alu instid0(VALU_DEP_2) | instskip(NEXT) | instid1(VALU_DEP_2)
	v_fma_f64 v[42:43], v[34:35], v[38:39], -v[42:43]
	v_fma_f64 v[44:45], v[36:37], v[38:39], v[44:45]
	s_delay_alu instid0(VALU_DEP_2) | instskip(NEXT) | instid1(VALU_DEP_2)
	v_add_f64 v[2:3], v[2:3], v[42:43]
	v_add_f64 v[71:72], v[71:72], v[44:45]
	ds_load_b128 v[42:45], v55 offset:12544
	s_waitcnt lgkmcnt(0)
	v_mul_f64 v[73:74], v[36:37], v[44:45]
	s_delay_alu instid0(VALU_DEP_1) | instskip(SKIP_1) | instid1(VALU_DEP_2)
	v_fma_f64 v[73:74], v[34:35], v[42:43], -v[73:74]
	v_mul_f64 v[34:35], v[34:35], v[44:45]
	v_add_f64 v[52:53], v[52:53], v[73:74]
	s_delay_alu instid0(VALU_DEP_2) | instskip(NEXT) | instid1(VALU_DEP_1)
	v_fma_f64 v[34:35], v[36:37], v[42:43], v[34:35]
	v_add_f64 v[50:51], v[50:51], v[34:35]
	ds_load_b128 v[34:37], v57 offset:8576
	s_waitcnt lgkmcnt(0)
	v_mul_f64 v[73:74], v[36:37], v[40:41]
	v_mul_f64 v[40:41], v[34:35], v[40:41]
	s_delay_alu instid0(VALU_DEP_2) | instskip(NEXT) | instid1(VALU_DEP_2)
	v_fma_f64 v[73:74], v[34:35], v[38:39], -v[73:74]
	v_fma_f64 v[38:39], v[36:37], v[38:39], v[40:41]
	s_delay_alu instid0(VALU_DEP_2) | instskip(NEXT) | instid1(VALU_DEP_2)
	v_add_f64 v[67:68], v[67:68], v[73:74]
	v_add_f64 v[69:70], v[69:70], v[38:39]
	v_mul_f64 v[38:39], v[36:37], v[44:45]
	s_delay_alu instid0(VALU_DEP_1) | instskip(SKIP_1) | instid1(VALU_DEP_2)
	v_fma_f64 v[38:39], v[34:35], v[42:43], -v[38:39]
	v_mul_f64 v[34:35], v[34:35], v[44:45]
	v_add_f64 v[48:49], v[48:49], v[38:39]
	s_delay_alu instid0(VALU_DEP_2) | instskip(NEXT) | instid1(VALU_DEP_1)
	v_fma_f64 v[34:35], v[36:37], v[42:43], v[34:35]
	v_add_f64 v[46:47], v[46:47], v[34:35]
	ds_load_b128 v[34:37], v57 offset:400
	ds_load_b128 v[38:41], v55 offset:12800
	s_waitcnt lgkmcnt(0)
	v_mul_f64 v[42:43], v[36:37], v[40:41]
	v_mul_f64 v[44:45], v[34:35], v[40:41]
	s_delay_alu instid0(VALU_DEP_2) | instskip(NEXT) | instid1(VALU_DEP_2)
	v_fma_f64 v[42:43], v[34:35], v[38:39], -v[42:43]
	v_fma_f64 v[44:45], v[36:37], v[38:39], v[44:45]
	s_delay_alu instid0(VALU_DEP_2) | instskip(NEXT) | instid1(VALU_DEP_2)
	v_add_f64 v[2:3], v[2:3], v[42:43]
	v_add_f64 v[71:72], v[71:72], v[44:45]
	ds_load_b128 v[42:45], v55 offset:13056
	s_waitcnt lgkmcnt(0)
	v_mul_f64 v[73:74], v[36:37], v[44:45]
	s_delay_alu instid0(VALU_DEP_1) | instskip(SKIP_1) | instid1(VALU_DEP_2)
	v_fma_f64 v[73:74], v[34:35], v[42:43], -v[73:74]
	v_mul_f64 v[34:35], v[34:35], v[44:45]
	v_add_f64 v[52:53], v[52:53], v[73:74]
	s_delay_alu instid0(VALU_DEP_2) | instskip(NEXT) | instid1(VALU_DEP_1)
	v_fma_f64 v[34:35], v[36:37], v[42:43], v[34:35]
	v_add_f64 v[50:51], v[50:51], v[34:35]
	ds_load_b128 v[34:37], v57 offset:8592
	s_waitcnt lgkmcnt(0)
	v_mul_f64 v[73:74], v[36:37], v[40:41]
	v_mul_f64 v[40:41], v[34:35], v[40:41]
	s_delay_alu instid0(VALU_DEP_2) | instskip(NEXT) | instid1(VALU_DEP_2)
	v_fma_f64 v[73:74], v[34:35], v[38:39], -v[73:74]
	v_fma_f64 v[38:39], v[36:37], v[38:39], v[40:41]
	s_delay_alu instid0(VALU_DEP_2) | instskip(NEXT) | instid1(VALU_DEP_2)
	v_add_f64 v[67:68], v[67:68], v[73:74]
	v_add_f64 v[69:70], v[69:70], v[38:39]
	v_mul_f64 v[38:39], v[36:37], v[44:45]
	s_delay_alu instid0(VALU_DEP_1) | instskip(SKIP_1) | instid1(VALU_DEP_2)
	v_fma_f64 v[38:39], v[34:35], v[42:43], -v[38:39]
	v_mul_f64 v[34:35], v[34:35], v[44:45]
	v_add_f64 v[48:49], v[48:49], v[38:39]
	s_delay_alu instid0(VALU_DEP_2) | instskip(NEXT) | instid1(VALU_DEP_1)
	v_fma_f64 v[34:35], v[36:37], v[42:43], v[34:35]
	v_add_f64 v[46:47], v[46:47], v[34:35]
	ds_load_b128 v[34:37], v57 offset:416
	ds_load_b128 v[38:41], v55 offset:13312
	s_waitcnt lgkmcnt(0)
	v_mul_f64 v[42:43], v[36:37], v[40:41]
	v_mul_f64 v[44:45], v[34:35], v[40:41]
	s_delay_alu instid0(VALU_DEP_2) | instskip(NEXT) | instid1(VALU_DEP_2)
	v_fma_f64 v[42:43], v[34:35], v[38:39], -v[42:43]
	v_fma_f64 v[44:45], v[36:37], v[38:39], v[44:45]
	s_delay_alu instid0(VALU_DEP_2) | instskip(NEXT) | instid1(VALU_DEP_2)
	v_add_f64 v[2:3], v[2:3], v[42:43]
	v_add_f64 v[71:72], v[71:72], v[44:45]
	ds_load_b128 v[42:45], v55 offset:13568
	s_waitcnt lgkmcnt(0)
	v_mul_f64 v[73:74], v[36:37], v[44:45]
	s_delay_alu instid0(VALU_DEP_1) | instskip(SKIP_1) | instid1(VALU_DEP_2)
	v_fma_f64 v[73:74], v[34:35], v[42:43], -v[73:74]
	v_mul_f64 v[34:35], v[34:35], v[44:45]
	v_add_f64 v[52:53], v[52:53], v[73:74]
	s_delay_alu instid0(VALU_DEP_2) | instskip(NEXT) | instid1(VALU_DEP_1)
	v_fma_f64 v[34:35], v[36:37], v[42:43], v[34:35]
	v_add_f64 v[50:51], v[50:51], v[34:35]
	ds_load_b128 v[34:37], v57 offset:8608
	s_waitcnt lgkmcnt(0)
	v_mul_f64 v[73:74], v[36:37], v[40:41]
	v_mul_f64 v[40:41], v[34:35], v[40:41]
	s_delay_alu instid0(VALU_DEP_2) | instskip(NEXT) | instid1(VALU_DEP_2)
	v_fma_f64 v[73:74], v[34:35], v[38:39], -v[73:74]
	v_fma_f64 v[38:39], v[36:37], v[38:39], v[40:41]
	s_delay_alu instid0(VALU_DEP_2) | instskip(NEXT) | instid1(VALU_DEP_2)
	v_add_f64 v[67:68], v[67:68], v[73:74]
	v_add_f64 v[69:70], v[69:70], v[38:39]
	v_mul_f64 v[38:39], v[36:37], v[44:45]
	s_delay_alu instid0(VALU_DEP_1) | instskip(SKIP_1) | instid1(VALU_DEP_2)
	v_fma_f64 v[38:39], v[34:35], v[42:43], -v[38:39]
	v_mul_f64 v[34:35], v[34:35], v[44:45]
	v_add_f64 v[48:49], v[48:49], v[38:39]
	s_delay_alu instid0(VALU_DEP_2) | instskip(NEXT) | instid1(VALU_DEP_1)
	v_fma_f64 v[34:35], v[36:37], v[42:43], v[34:35]
	v_add_f64 v[46:47], v[46:47], v[34:35]
	ds_load_b128 v[34:37], v57 offset:432
	ds_load_b128 v[38:41], v55 offset:13824
	s_waitcnt lgkmcnt(0)
	v_mul_f64 v[42:43], v[36:37], v[40:41]
	v_mul_f64 v[44:45], v[34:35], v[40:41]
	s_delay_alu instid0(VALU_DEP_2) | instskip(NEXT) | instid1(VALU_DEP_2)
	v_fma_f64 v[42:43], v[34:35], v[38:39], -v[42:43]
	v_fma_f64 v[44:45], v[36:37], v[38:39], v[44:45]
	s_delay_alu instid0(VALU_DEP_2) | instskip(NEXT) | instid1(VALU_DEP_2)
	v_add_f64 v[2:3], v[2:3], v[42:43]
	v_add_f64 v[71:72], v[71:72], v[44:45]
	ds_load_b128 v[42:45], v55 offset:14080
	s_waitcnt lgkmcnt(0)
	v_mul_f64 v[73:74], v[36:37], v[44:45]
	s_delay_alu instid0(VALU_DEP_1) | instskip(SKIP_1) | instid1(VALU_DEP_2)
	v_fma_f64 v[73:74], v[34:35], v[42:43], -v[73:74]
	v_mul_f64 v[34:35], v[34:35], v[44:45]
	v_add_f64 v[52:53], v[52:53], v[73:74]
	s_delay_alu instid0(VALU_DEP_2) | instskip(NEXT) | instid1(VALU_DEP_1)
	v_fma_f64 v[34:35], v[36:37], v[42:43], v[34:35]
	v_add_f64 v[50:51], v[50:51], v[34:35]
	ds_load_b128 v[34:37], v57 offset:8624
	s_waitcnt lgkmcnt(0)
	v_mul_f64 v[73:74], v[36:37], v[40:41]
	v_mul_f64 v[40:41], v[34:35], v[40:41]
	s_delay_alu instid0(VALU_DEP_2) | instskip(NEXT) | instid1(VALU_DEP_2)
	v_fma_f64 v[73:74], v[34:35], v[38:39], -v[73:74]
	v_fma_f64 v[38:39], v[36:37], v[38:39], v[40:41]
	s_delay_alu instid0(VALU_DEP_2) | instskip(NEXT) | instid1(VALU_DEP_2)
	v_add_f64 v[67:68], v[67:68], v[73:74]
	v_add_f64 v[69:70], v[69:70], v[38:39]
	v_mul_f64 v[38:39], v[36:37], v[44:45]
	s_delay_alu instid0(VALU_DEP_1) | instskip(SKIP_1) | instid1(VALU_DEP_2)
	v_fma_f64 v[38:39], v[34:35], v[42:43], -v[38:39]
	v_mul_f64 v[34:35], v[34:35], v[44:45]
	v_add_f64 v[48:49], v[48:49], v[38:39]
	s_delay_alu instid0(VALU_DEP_2) | instskip(NEXT) | instid1(VALU_DEP_1)
	v_fma_f64 v[34:35], v[36:37], v[42:43], v[34:35]
	v_add_f64 v[46:47], v[46:47], v[34:35]
	ds_load_b128 v[34:37], v57 offset:448
	ds_load_b128 v[38:41], v55 offset:14336
	s_waitcnt lgkmcnt(0)
	v_mul_f64 v[42:43], v[36:37], v[40:41]
	v_mul_f64 v[44:45], v[34:35], v[40:41]
	s_delay_alu instid0(VALU_DEP_2) | instskip(NEXT) | instid1(VALU_DEP_2)
	v_fma_f64 v[42:43], v[34:35], v[38:39], -v[42:43]
	v_fma_f64 v[44:45], v[36:37], v[38:39], v[44:45]
	s_delay_alu instid0(VALU_DEP_2) | instskip(NEXT) | instid1(VALU_DEP_2)
	v_add_f64 v[2:3], v[2:3], v[42:43]
	v_add_f64 v[71:72], v[71:72], v[44:45]
	ds_load_b128 v[42:45], v55 offset:14592
	s_waitcnt lgkmcnt(0)
	v_mul_f64 v[73:74], v[36:37], v[44:45]
	s_delay_alu instid0(VALU_DEP_1) | instskip(SKIP_1) | instid1(VALU_DEP_2)
	v_fma_f64 v[73:74], v[34:35], v[42:43], -v[73:74]
	v_mul_f64 v[34:35], v[34:35], v[44:45]
	v_add_f64 v[52:53], v[52:53], v[73:74]
	s_delay_alu instid0(VALU_DEP_2) | instskip(NEXT) | instid1(VALU_DEP_1)
	v_fma_f64 v[34:35], v[36:37], v[42:43], v[34:35]
	v_add_f64 v[50:51], v[50:51], v[34:35]
	ds_load_b128 v[34:37], v57 offset:8640
	s_waitcnt lgkmcnt(0)
	v_mul_f64 v[73:74], v[36:37], v[40:41]
	v_mul_f64 v[40:41], v[34:35], v[40:41]
	s_delay_alu instid0(VALU_DEP_2) | instskip(NEXT) | instid1(VALU_DEP_2)
	v_fma_f64 v[73:74], v[34:35], v[38:39], -v[73:74]
	v_fma_f64 v[38:39], v[36:37], v[38:39], v[40:41]
	s_delay_alu instid0(VALU_DEP_2) | instskip(NEXT) | instid1(VALU_DEP_2)
	v_add_f64 v[67:68], v[67:68], v[73:74]
	v_add_f64 v[69:70], v[69:70], v[38:39]
	v_mul_f64 v[38:39], v[36:37], v[44:45]
	s_delay_alu instid0(VALU_DEP_1) | instskip(SKIP_1) | instid1(VALU_DEP_2)
	v_fma_f64 v[38:39], v[34:35], v[42:43], -v[38:39]
	v_mul_f64 v[34:35], v[34:35], v[44:45]
	v_add_f64 v[48:49], v[48:49], v[38:39]
	s_delay_alu instid0(VALU_DEP_2) | instskip(NEXT) | instid1(VALU_DEP_1)
	v_fma_f64 v[34:35], v[36:37], v[42:43], v[34:35]
	v_add_f64 v[46:47], v[46:47], v[34:35]
	ds_load_b128 v[34:37], v57 offset:464
	ds_load_b128 v[38:41], v55 offset:14848
	s_waitcnt lgkmcnt(0)
	v_mul_f64 v[42:43], v[36:37], v[40:41]
	v_mul_f64 v[44:45], v[34:35], v[40:41]
	s_delay_alu instid0(VALU_DEP_2) | instskip(NEXT) | instid1(VALU_DEP_2)
	v_fma_f64 v[42:43], v[34:35], v[38:39], -v[42:43]
	v_fma_f64 v[44:45], v[36:37], v[38:39], v[44:45]
	s_delay_alu instid0(VALU_DEP_2) | instskip(NEXT) | instid1(VALU_DEP_2)
	v_add_f64 v[2:3], v[2:3], v[42:43]
	v_add_f64 v[71:72], v[71:72], v[44:45]
	ds_load_b128 v[42:45], v55 offset:15104
	s_waitcnt lgkmcnt(0)
	v_mul_f64 v[73:74], v[36:37], v[44:45]
	s_delay_alu instid0(VALU_DEP_1) | instskip(SKIP_1) | instid1(VALU_DEP_2)
	v_fma_f64 v[73:74], v[34:35], v[42:43], -v[73:74]
	v_mul_f64 v[34:35], v[34:35], v[44:45]
	v_add_f64 v[52:53], v[52:53], v[73:74]
	s_delay_alu instid0(VALU_DEP_2) | instskip(NEXT) | instid1(VALU_DEP_1)
	v_fma_f64 v[34:35], v[36:37], v[42:43], v[34:35]
	v_add_f64 v[50:51], v[50:51], v[34:35]
	ds_load_b128 v[34:37], v57 offset:8656
	s_waitcnt lgkmcnt(0)
	v_mul_f64 v[73:74], v[36:37], v[40:41]
	v_mul_f64 v[40:41], v[34:35], v[40:41]
	s_delay_alu instid0(VALU_DEP_2) | instskip(NEXT) | instid1(VALU_DEP_2)
	v_fma_f64 v[73:74], v[34:35], v[38:39], -v[73:74]
	v_fma_f64 v[38:39], v[36:37], v[38:39], v[40:41]
	s_delay_alu instid0(VALU_DEP_2) | instskip(NEXT) | instid1(VALU_DEP_2)
	v_add_f64 v[67:68], v[67:68], v[73:74]
	v_add_f64 v[69:70], v[69:70], v[38:39]
	v_mul_f64 v[38:39], v[36:37], v[44:45]
	s_delay_alu instid0(VALU_DEP_1) | instskip(SKIP_1) | instid1(VALU_DEP_2)
	v_fma_f64 v[38:39], v[34:35], v[42:43], -v[38:39]
	v_mul_f64 v[34:35], v[34:35], v[44:45]
	v_add_f64 v[48:49], v[48:49], v[38:39]
	s_delay_alu instid0(VALU_DEP_2) | instskip(NEXT) | instid1(VALU_DEP_1)
	v_fma_f64 v[34:35], v[36:37], v[42:43], v[34:35]
	v_add_f64 v[46:47], v[46:47], v[34:35]
	ds_load_b128 v[34:37], v57 offset:480
	ds_load_b128 v[38:41], v55 offset:15360
	s_waitcnt lgkmcnt(0)
	v_mul_f64 v[42:43], v[36:37], v[40:41]
	v_mul_f64 v[44:45], v[34:35], v[40:41]
	s_delay_alu instid0(VALU_DEP_2) | instskip(NEXT) | instid1(VALU_DEP_2)
	v_fma_f64 v[42:43], v[34:35], v[38:39], -v[42:43]
	v_fma_f64 v[44:45], v[36:37], v[38:39], v[44:45]
	s_delay_alu instid0(VALU_DEP_2) | instskip(NEXT) | instid1(VALU_DEP_2)
	v_add_f64 v[73:74], v[2:3], v[42:43]
	v_add_f64 v[71:72], v[71:72], v[44:45]
	ds_load_b128 v[42:45], v55 offset:15616
	s_waitcnt lgkmcnt(0)
	v_mul_f64 v[2:3], v[36:37], v[44:45]
	s_delay_alu instid0(VALU_DEP_1) | instskip(SKIP_1) | instid1(VALU_DEP_2)
	v_fma_f64 v[2:3], v[34:35], v[42:43], -v[2:3]
	v_mul_f64 v[34:35], v[34:35], v[44:45]
	v_add_f64 v[52:53], v[52:53], v[2:3]
	s_delay_alu instid0(VALU_DEP_2) | instskip(NEXT) | instid1(VALU_DEP_1)
	v_fma_f64 v[34:35], v[36:37], v[42:43], v[34:35]
	v_add_f64 v[75:76], v[50:51], v[34:35]
	ds_load_b128 v[34:37], v57 offset:8672
	s_waitcnt lgkmcnt(0)
	v_mul_f64 v[2:3], v[36:37], v[40:41]
	v_mul_f64 v[40:41], v[34:35], v[40:41]
	s_delay_alu instid0(VALU_DEP_2) | instskip(NEXT) | instid1(VALU_DEP_2)
	v_fma_f64 v[2:3], v[34:35], v[38:39], -v[2:3]
	v_fma_f64 v[38:39], v[36:37], v[38:39], v[40:41]
	s_delay_alu instid0(VALU_DEP_2) | instskip(SKIP_1) | instid1(VALU_DEP_3)
	v_add_f64 v[77:78], v[67:68], v[2:3]
	v_mul_f64 v[2:3], v[36:37], v[44:45]
	v_add_f64 v[79:80], v[69:70], v[38:39]
	s_delay_alu instid0(VALU_DEP_2) | instskip(SKIP_1) | instid1(VALU_DEP_2)
	v_fma_f64 v[2:3], v[34:35], v[42:43], -v[2:3]
	v_mul_f64 v[34:35], v[34:35], v[44:45]
	v_add_f64 v[2:3], v[48:49], v[2:3]
	s_delay_alu instid0(VALU_DEP_2) | instskip(NEXT) | instid1(VALU_DEP_1)
	v_fma_f64 v[34:35], v[36:37], v[42:43], v[34:35]
	v_add_f64 v[46:47], v[46:47], v[34:35]
	ds_load_b128 v[34:37], v57 offset:496
	ds_load_b128 v[38:41], v55 offset:15872
	ds_load_b128 v[48:51], v55 offset:16128
	s_waitcnt lgkmcnt(1)
	v_mul_f64 v[42:43], v[36:37], v[40:41]
	s_waitcnt lgkmcnt(0)
	v_mul_f64 v[67:68], v[36:37], v[50:51]
	v_mul_f64 v[44:45], v[34:35], v[40:41]
	s_delay_alu instid0(VALU_DEP_3) | instskip(NEXT) | instid1(VALU_DEP_3)
	v_fma_f64 v[42:43], v[34:35], v[38:39], -v[42:43]
	v_fma_f64 v[67:68], v[34:35], v[48:49], -v[67:68]
	v_mul_f64 v[34:35], v[34:35], v[50:51]
	s_delay_alu instid0(VALU_DEP_4) | instskip(NEXT) | instid1(VALU_DEP_4)
	v_fma_f64 v[44:45], v[36:37], v[38:39], v[44:45]
	v_add_f64 v[42:43], v[73:74], v[42:43]
	s_delay_alu instid0(VALU_DEP_3)
	v_fma_f64 v[36:37], v[36:37], v[48:49], v[34:35]
	v_add_f64 v[34:35], v[52:53], v[67:68]
	ds_load_b128 v[67:70], v57 offset:8688
	v_add_f64 v[44:45], v[71:72], v[44:45]
	s_waitcnt lgkmcnt(0)
	s_barrier
	buffer_gl0_inv
	v_mul_f64 v[52:53], v[69:70], v[40:41]
	v_mul_f64 v[40:41], v[67:68], v[40:41]
	v_add_f64 v[36:37], v[75:76], v[36:37]
	s_delay_alu instid0(VALU_DEP_3) | instskip(NEXT) | instid1(VALU_DEP_3)
	v_fma_f64 v[52:53], v[67:68], v[38:39], -v[52:53]
	v_fma_f64 v[40:41], v[69:70], v[38:39], v[40:41]
	s_delay_alu instid0(VALU_DEP_2) | instskip(SKIP_2) | instid1(VALU_DEP_4)
	v_add_f64 v[38:39], v[77:78], v[52:53]
	v_mul_f64 v[52:53], v[69:70], v[50:51]
	v_mul_f64 v[50:51], v[67:68], v[50:51]
	v_add_f64 v[40:41], v[79:80], v[40:41]
	s_delay_alu instid0(VALU_DEP_3) | instskip(NEXT) | instid1(VALU_DEP_3)
	v_fma_f64 v[52:53], v[67:68], v[48:49], -v[52:53]
	v_fma_f64 v[50:51], v[69:70], v[48:49], v[50:51]
	s_delay_alu instid0(VALU_DEP_2) | instskip(NEXT) | instid1(VALU_DEP_2)
	v_add_f64 v[48:49], v[2:3], v[52:53]
	v_add_f64 v[46:47], v[46:47], v[50:51]
	s_cbranch_scc1 .LBB111_55
.LBB111_7:                              ;   Parent Loop BB111_4 Depth=1
                                        ; =>  This Inner Loop Header: Depth=2
	v_add_co_u32 v50, s5, v4, s16
	s_delay_alu instid0(VALU_DEP_1) | instskip(SKIP_1) | instid1(VALU_DEP_2)
	v_add_co_ci_u32_e64 v51, s5, s17, v5, s5
	v_cmp_eq_u64_e64 s7, s[16:17], v[12:13]
	v_cmp_le_i64_e64 s6, s[12:13], v[50:51]
	v_cmp_lt_i64_e64 s5, v[50:51], v[6:7]
	s_delay_alu instid0(VALU_DEP_3) | instskip(NEXT) | instid1(VALU_DEP_1)
	s_and_b32 s18, s48, s7
	s_or_b32 s7, s6, s5
	s_delay_alu instid0(SALU_CYCLE_1) | instskip(SKIP_1) | instid1(VALU_DEP_1)
	s_or_b32 s8, s7, s18
	v_add_co_u32 v52, s7, v32, v18
	v_add_co_ci_u32_e64 v53, s7, v33, v19, s7
	s_or_b32 s7, s0, s8
	s_delay_alu instid0(SALU_CYCLE_1) | instskip(NEXT) | instid1(SALU_CYCLE_1)
	s_xor_b32 s7, s7, -1
	s_and_saveexec_b32 s8, s7
	s_delay_alu instid0(SALU_CYCLE_1)
	s_xor_b32 s7, exec_lo, s8
	s_cbranch_execz .LBB111_9
; %bb.8:                                ;   in Loop: Header=BB111_7 Depth=2
	global_load_b128 v[67:70], v[52:53], off offset:-256
	s_waitcnt vmcnt(0)
	ds_store_2addr_b64 v56, v[67:68], v[69:70] offset1:1
.LBB111_9:                              ;   in Loop: Header=BB111_7 Depth=2
	s_or_saveexec_b32 s7, s7
	s_xor_b32 s15, s18, -1
	s_xor_b32 exec_lo, exec_lo, s7
	s_cbranch_execz .LBB111_15
; %bb.10:                               ;   in Loop: Header=BB111_7 Depth=2
	s_and_saveexec_b32 s8, s15
	s_delay_alu instid0(SALU_CYCLE_1)
	s_xor_b32 s8, exec_lo, s8
	s_cbranch_execz .LBB111_12
; %bb.11:                               ;   in Loop: Header=BB111_7 Depth=2
	v_mov_b32_e32 v67, v0
	v_mov_b32_e32 v68, v0
	;; [unrolled: 1-line block ×4, first 2 shown]
	ds_store_b128 v56, v[67:70]
.LBB111_12:                             ;   in Loop: Header=BB111_7 Depth=2
	s_and_not1_saveexec_b32 s8, s8
	s_cbranch_execz .LBB111_14
; %bb.13:                               ;   in Loop: Header=BB111_7 Depth=2
	v_mov_b32_e32 v2, v0
	v_mov_b32_e32 v3, v0
	ds_store_b128 v56, v[0:3]
.LBB111_14:                             ;   in Loop: Header=BB111_7 Depth=2
	s_or_b32 exec_lo, exec_lo, s8
.LBB111_15:                             ;   in Loop: Header=BB111_7 Depth=2
	s_delay_alu instid0(SALU_CYCLE_1) | instskip(SKIP_2) | instid1(VALU_DEP_2)
	s_or_b32 exec_lo, exec_lo, s7
	v_cmp_eq_u64_e64 s7, s[16:17], v[14:15]
	v_cmp_gt_i64_e64 s8, v[10:11], v[50:51]
	s_and_b32 s7, s48, s7
	s_delay_alu instid0(VALU_DEP_1) | instskip(NEXT) | instid1(SALU_CYCLE_1)
	s_or_b32 s6, s6, s8
	s_or_b32 s6, s6, s7
	s_delay_alu instid0(SALU_CYCLE_1) | instskip(NEXT) | instid1(SALU_CYCLE_1)
	s_or_b32 s6, s1, s6
	s_xor_b32 s6, s6, -1
	s_delay_alu instid0(SALU_CYCLE_1) | instskip(NEXT) | instid1(SALU_CYCLE_1)
	s_and_saveexec_b32 s8, s6
	s_xor_b32 s6, exec_lo, s8
	s_cbranch_execz .LBB111_17
; %bb.16:                               ;   in Loop: Header=BB111_7 Depth=2
	global_load_b128 v[67:70], v[52:53], off
	s_waitcnt vmcnt(0)
	ds_store_2addr_b64 v58, v[67:68], v[69:70] offset1:1
.LBB111_17:                             ;   in Loop: Header=BB111_7 Depth=2
	s_and_not1_saveexec_b32 s6, s6
	s_cbranch_execz .LBB111_23
; %bb.18:                               ;   in Loop: Header=BB111_7 Depth=2
	s_xor_b32 s7, s7, -1
	s_delay_alu instid0(SALU_CYCLE_1) | instskip(NEXT) | instid1(SALU_CYCLE_1)
	s_and_saveexec_b32 s8, s7
	s_xor_b32 s7, exec_lo, s8
	s_cbranch_execz .LBB111_20
; %bb.19:                               ;   in Loop: Header=BB111_7 Depth=2
	v_mov_b32_e32 v67, v0
	v_mov_b32_e32 v68, v0
	;; [unrolled: 1-line block ×4, first 2 shown]
	ds_store_b128 v58, v[67:70]
.LBB111_20:                             ;   in Loop: Header=BB111_7 Depth=2
	s_and_not1_saveexec_b32 s7, s7
	s_cbranch_execz .LBB111_22
; %bb.21:                               ;   in Loop: Header=BB111_7 Depth=2
	v_mov_b32_e32 v2, v0
	v_mov_b32_e32 v3, v0
	ds_store_b128 v58, v[0:3]
.LBB111_22:                             ;   in Loop: Header=BB111_7 Depth=2
	s_or_b32 exec_lo, exec_lo, s7
.LBB111_23:                             ;   in Loop: Header=BB111_7 Depth=2
	s_delay_alu instid0(SALU_CYCLE_1) | instskip(SKIP_1) | instid1(VALU_DEP_1)
	s_or_b32 exec_lo, exec_lo, s6
	v_add_co_u32 v2, s6, v50, 16
	v_add_co_ci_u32_e64 v3, s6, 0, v51, s6
	v_cmp_eq_u64_e64 s7, s[16:17], v[16:17]
	s_delay_alu instid0(VALU_DEP_2) | instskip(SKIP_1) | instid1(VALU_DEP_3)
	v_cmp_le_i64_e64 s6, s[12:13], v[2:3]
	v_cmp_lt_i64_e64 s8, v[2:3], v[6:7]
	s_and_b32 s19, s48, s7
	s_delay_alu instid0(VALU_DEP_1) | instskip(NEXT) | instid1(SALU_CYCLE_1)
	s_or_b32 s7, s6, s8
	s_or_b32 s7, s7, s19
	s_delay_alu instid0(SALU_CYCLE_1) | instskip(NEXT) | instid1(SALU_CYCLE_1)
	s_or_b32 s7, s0, s7
	s_xor_b32 s7, s7, -1
	s_delay_alu instid0(SALU_CYCLE_1) | instskip(NEXT) | instid1(SALU_CYCLE_1)
	s_and_saveexec_b32 s8, s7
	s_xor_b32 s8, exec_lo, s8
	s_cbranch_execz .LBB111_25
; %bb.24:                               ;   in Loop: Header=BB111_7 Depth=2
	v_add_co_u32 v2, s7, v30, v18
	s_delay_alu instid0(VALU_DEP_1)
	v_add_co_ci_u32_e64 v3, s7, v31, v19, s7
	global_load_b128 v[50:53], v[2:3], off
	s_waitcnt vmcnt(0)
	ds_store_2addr_b64 v59, v[50:51], v[52:53] offset1:1
.LBB111_25:                             ;   in Loop: Header=BB111_7 Depth=2
	s_and_not1_saveexec_b32 s7, s8
	s_cbranch_execz .LBB111_31
; %bb.26:                               ;   in Loop: Header=BB111_7 Depth=2
	s_xor_b32 s8, s19, -1
	s_delay_alu instid0(SALU_CYCLE_1) | instskip(NEXT) | instid1(SALU_CYCLE_1)
	s_and_saveexec_b32 s19, s8
	s_xor_b32 s8, exec_lo, s19
	s_cbranch_execz .LBB111_28
; %bb.27:                               ;   in Loop: Header=BB111_7 Depth=2
	v_mov_b32_e32 v50, v0
	v_mov_b32_e32 v51, v0
	;; [unrolled: 1-line block ×4, first 2 shown]
	ds_store_b128 v59, v[50:53]
.LBB111_28:                             ;   in Loop: Header=BB111_7 Depth=2
	s_and_not1_saveexec_b32 s8, s8
	s_cbranch_execz .LBB111_30
; %bb.29:                               ;   in Loop: Header=BB111_7 Depth=2
	v_mov_b32_e32 v2, v0
	v_mov_b32_e32 v3, v0
	ds_store_b128 v59, v[0:3]
.LBB111_30:                             ;   in Loop: Header=BB111_7 Depth=2
	s_or_b32 exec_lo, exec_lo, s8
.LBB111_31:                             ;   in Loop: Header=BB111_7 Depth=2
	s_delay_alu instid0(SALU_CYCLE_1) | instskip(SKIP_1) | instid1(SALU_CYCLE_1)
	s_or_b32 exec_lo, exec_lo, s7
	s_or_b32 s5, s6, s5
	s_or_b32 s5, s5, s18
	s_delay_alu instid0(SALU_CYCLE_1) | instskip(NEXT) | instid1(SALU_CYCLE_1)
	s_or_b32 s5, s1, s5
	s_xor_b32 s5, s5, -1
	s_delay_alu instid0(SALU_CYCLE_1) | instskip(NEXT) | instid1(SALU_CYCLE_1)
	s_and_saveexec_b32 s6, s5
	s_xor_b32 s6, exec_lo, s6
	s_cbranch_execz .LBB111_33
; %bb.32:                               ;   in Loop: Header=BB111_7 Depth=2
	v_add_co_u32 v2, s5, v30, v18
	s_delay_alu instid0(VALU_DEP_1)
	v_add_co_ci_u32_e64 v3, s5, v31, v19, s5
	global_load_b128 v[50:53], v[2:3], off offset:256
	s_waitcnt vmcnt(0)
	ds_store_2addr_b64 v61, v[50:51], v[52:53] offset1:1
.LBB111_33:                             ;   in Loop: Header=BB111_7 Depth=2
	s_and_not1_saveexec_b32 s5, s6
	s_cbranch_execz .LBB111_39
; %bb.34:                               ;   in Loop: Header=BB111_7 Depth=2
	s_and_saveexec_b32 s6, s15
	s_delay_alu instid0(SALU_CYCLE_1)
	s_xor_b32 s6, exec_lo, s6
	s_cbranch_execz .LBB111_36
; %bb.35:                               ;   in Loop: Header=BB111_7 Depth=2
	v_mov_b32_e32 v50, v0
	v_mov_b32_e32 v51, v0
	;; [unrolled: 1-line block ×4, first 2 shown]
	ds_store_b128 v61, v[50:53]
.LBB111_36:                             ;   in Loop: Header=BB111_7 Depth=2
	s_and_not1_saveexec_b32 s6, s6
	s_cbranch_execz .LBB111_38
; %bb.37:                               ;   in Loop: Header=BB111_7 Depth=2
	v_mov_b32_e32 v2, v0
	v_mov_b32_e32 v3, v0
	ds_store_b128 v61, v[0:3]
.LBB111_38:                             ;   in Loop: Header=BB111_7 Depth=2
	s_or_b32 exec_lo, exec_lo, s6
.LBB111_39:                             ;   in Loop: Header=BB111_7 Depth=2
	s_delay_alu instid0(SALU_CYCLE_1) | instskip(SKIP_1) | instid1(VALU_DEP_1)
	s_or_b32 exec_lo, exec_lo, s5
	v_add_co_u32 v2, s5, v6, s16
	v_add_co_ci_u32_e64 v3, s5, s17, v7, s5
	s_delay_alu instid0(VALU_DEP_1) | instskip(NEXT) | instid1(VALU_DEP_1)
	v_cmp_gt_i64_e64 s5, s[12:13], v[2:3]
	s_and_b32 s6, vcc_lo, s5
	s_delay_alu instid0(SALU_CYCLE_1) | instskip(NEXT) | instid1(SALU_CYCLE_1)
	s_xor_b32 s6, s6, -1
	s_and_saveexec_b32 s7, s6
	s_delay_alu instid0(SALU_CYCLE_1)
	s_xor_b32 s6, exec_lo, s7
	s_cbranch_execz .LBB111_41
; %bb.40:                               ;   in Loop: Header=BB111_7 Depth=2
	v_mov_b32_e32 v50, v0
	v_mov_b32_e32 v51, v0
	;; [unrolled: 1-line block ×4, first 2 shown]
	ds_store_b128 v60, v[50:53]
.LBB111_41:                             ;   in Loop: Header=BB111_7 Depth=2
	s_or_saveexec_b32 s7, s6
	v_add_co_u32 v50, s6, v26, v18
	s_delay_alu instid0(VALU_DEP_1)
	v_add_co_ci_u32_e64 v51, s6, v27, v19, s6
	s_xor_b32 exec_lo, exec_lo, s7
	s_cbranch_execz .LBB111_43
; %bb.42:                               ;   in Loop: Header=BB111_7 Depth=2
	global_load_b128 v[67:70], v[50:51], off offset:-256
	s_waitcnt vmcnt(0)
	ds_store_2addr_b64 v60, v[67:68], v[69:70] offset1:1
.LBB111_43:                             ;   in Loop: Header=BB111_7 Depth=2
	s_or_b32 exec_lo, exec_lo, s7
	v_cmp_gt_i64_e64 s6, s[36:37], v[2:3]
	s_delay_alu instid0(VALU_DEP_1) | instskip(NEXT) | instid1(SALU_CYCLE_1)
	s_and_b32 s7, vcc_lo, s6
	s_xor_b32 s7, s7, -1
	s_delay_alu instid0(SALU_CYCLE_1) | instskip(NEXT) | instid1(SALU_CYCLE_1)
	s_and_saveexec_b32 s8, s7
	s_xor_b32 s7, exec_lo, s8
	s_cbranch_execz .LBB111_45
; %bb.44:                               ;   in Loop: Header=BB111_7 Depth=2
	v_mov_b32_e32 v50, v0
	v_mov_b32_e32 v51, v0
	;; [unrolled: 1-line block ×4, first 2 shown]
	ds_store_b128 v62, v[50:53]
                                        ; implicit-def: $vgpr50_vgpr51
.LBB111_45:                             ;   in Loop: Header=BB111_7 Depth=2
	s_and_not1_saveexec_b32 s7, s7
	s_cbranch_execz .LBB111_47
; %bb.46:                               ;   in Loop: Header=BB111_7 Depth=2
	global_load_b128 v[50:53], v[50:51], off
	s_waitcnt vmcnt(0)
	ds_store_2addr_b64 v62, v[50:51], v[52:53] offset1:1
.LBB111_47:                             ;   in Loop: Header=BB111_7 Depth=2
	s_or_b32 exec_lo, exec_lo, s7
	s_and_b32 s5, s4, s5
	s_delay_alu instid0(SALU_CYCLE_1) | instskip(NEXT) | instid1(SALU_CYCLE_1)
	s_xor_b32 s5, s5, -1
	s_and_saveexec_b32 s7, s5
	s_delay_alu instid0(SALU_CYCLE_1)
	s_xor_b32 s5, exec_lo, s7
	s_cbranch_execz .LBB111_49
; %bb.48:                               ;   in Loop: Header=BB111_7 Depth=2
	v_mov_b32_e32 v50, v0
	v_mov_b32_e32 v51, v0
	;; [unrolled: 1-line block ×4, first 2 shown]
	ds_store_b128 v63, v[50:53]
.LBB111_49:                             ;   in Loop: Header=BB111_7 Depth=2
	s_and_not1_saveexec_b32 s7, s5
	s_cbranch_execz .LBB111_51
; %bb.50:                               ;   in Loop: Header=BB111_7 Depth=2
	v_add_co_u32 v2, s5, v28, v18
	s_delay_alu instid0(VALU_DEP_1)
	v_add_co_ci_u32_e64 v3, s5, v29, v19, s5
	global_load_b128 v[50:53], v[2:3], off offset:-256
	s_waitcnt vmcnt(0)
	ds_store_2addr_b64 v63, v[50:51], v[52:53] offset1:1
.LBB111_51:                             ;   in Loop: Header=BB111_7 Depth=2
	s_or_b32 exec_lo, exec_lo, s7
	s_and_b32 s5, s4, s6
	s_delay_alu instid0(SALU_CYCLE_1) | instskip(NEXT) | instid1(SALU_CYCLE_1)
	s_xor_b32 s5, s5, -1
	s_and_saveexec_b32 s6, s5
	s_delay_alu instid0(SALU_CYCLE_1)
	s_xor_b32 s5, exec_lo, s6
	s_cbranch_execz .LBB111_53
; %bb.52:                               ;   in Loop: Header=BB111_7 Depth=2
	v_mov_b32_e32 v50, v0
	v_mov_b32_e32 v51, v0
	;; [unrolled: 1-line block ×4, first 2 shown]
	ds_store_b128 v64, v[50:53]
.LBB111_53:                             ;   in Loop: Header=BB111_7 Depth=2
	s_and_not1_saveexec_b32 s6, s5
	s_cbranch_execz .LBB111_6
; %bb.54:                               ;   in Loop: Header=BB111_7 Depth=2
	v_add_co_u32 v2, s5, v28, v18
	s_delay_alu instid0(VALU_DEP_1)
	v_add_co_ci_u32_e64 v3, s5, v29, v19, s5
	global_load_b128 v[50:53], v[2:3], off
	s_waitcnt vmcnt(0)
	ds_store_2addr_b64 v64, v[50:51], v[52:53] offset1:1
	s_branch .LBB111_6
.LBB111_55:                             ;   in Loop: Header=BB111_4 Depth=1
	v_mul_lo_u32 v23, v66, s40
	v_mul_lo_u32 v26, v65, s41
	v_mad_u64_u32 v[2:3], null, v65, s40, 0
	v_cmp_gt_i32_e32 vcc_lo, s10, v65
	s_delay_alu instid0(VALU_DEP_2) | instskip(NEXT) | instid1(VALU_DEP_1)
	v_add3_u32 v3, v3, v26, v23
	v_lshlrev_b64 v[2:3], 4, v[2:3]
	s_delay_alu instid0(VALU_DEP_1) | instskip(NEXT) | instid1(VALU_DEP_1)
	v_add_co_u32 v2, s4, s38, v2
	v_add_co_ci_u32_e64 v3, s4, s39, v3, s4
	s_and_b32 s4, s2, vcc_lo
	s_delay_alu instid0(SALU_CYCLE_1)
	s_and_saveexec_b32 s5, s4
	s_cbranch_execz .LBB111_57
; %bb.56:                               ;   in Loop: Header=BB111_4 Depth=1
	v_add_co_u32 v30, s4, v2, v18
	s_delay_alu instid0(VALU_DEP_1)
	v_add_co_ci_u32_e64 v31, s4, v3, v19, s4
	v_mul_f64 v[32:33], s[46:47], v[44:45]
	v_mul_f64 v[44:45], s[44:45], v[44:45]
	global_load_b128 v[26:29], v[30:31], off
	v_fma_f64 v[32:33], s[44:45], v[42:43], -v[32:33]
	v_fma_f64 v[42:43], s[46:47], v[42:43], v[44:45]
	s_waitcnt vmcnt(0)
	s_delay_alu instid0(VALU_DEP_2) | instskip(NEXT) | instid1(VALU_DEP_2)
	v_add_f64 v[26:27], v[26:27], v[32:33]
	v_add_f64 v[28:29], v[28:29], v[42:43]
	global_store_b128 v[30:31], v[26:29], off
.LBB111_57:                             ;   in Loop: Header=BB111_4 Depth=1
	s_or_b32 exec_lo, exec_lo, s5
	s_and_b32 s5, s3, vcc_lo
	s_delay_alu instid0(SALU_CYCLE_1)
	s_and_saveexec_b32 s4, s5
	s_cbranch_execz .LBB111_59
; %bb.58:                               ;   in Loop: Header=BB111_4 Depth=1
	v_lshlrev_b64 v[26:27], 4, v[8:9]
	v_mul_f64 v[30:31], s[46:47], v[36:37]
	v_mul_f64 v[32:33], s[44:45], v[36:37]
	s_delay_alu instid0(VALU_DEP_3) | instskip(NEXT) | instid1(VALU_DEP_4)
	v_add_co_u32 v2, vcc_lo, v2, v26
	v_add_co_ci_u32_e32 v3, vcc_lo, v3, v27, vcc_lo
	global_load_b128 v[26:29], v[2:3], off
	v_fma_f64 v[30:31], s[44:45], v[34:35], -v[30:31]
	v_fma_f64 v[32:33], s[46:47], v[34:35], v[32:33]
	s_waitcnt vmcnt(0)
	s_delay_alu instid0(VALU_DEP_2) | instskip(NEXT) | instid1(VALU_DEP_2)
	v_add_f64 v[26:27], v[26:27], v[30:31]
	v_add_f64 v[28:29], v[28:29], v[32:33]
	global_store_b128 v[2:3], v[26:29], off
.LBB111_59:                             ;   in Loop: Header=BB111_4 Depth=1
	s_or_b32 exec_lo, exec_lo, s4
	v_add_nc_u32_e32 v23, 16, v65
	s_delay_alu instid0(VALU_DEP_1) | instskip(SKIP_3) | instid1(VALU_DEP_4)
	v_ashrrev_i32_e32 v26, 31, v23
	v_mul_lo_u32 v27, v23, s41
	v_mad_u64_u32 v[2:3], null, v23, s40, 0
	v_cmp_gt_i32_e32 vcc_lo, s10, v23
	v_mul_lo_u32 v26, v26, s40
	s_delay_alu instid0(VALU_DEP_1) | instskip(NEXT) | instid1(VALU_DEP_1)
	v_add3_u32 v3, v3, v27, v26
	v_lshlrev_b64 v[2:3], 4, v[2:3]
	s_delay_alu instid0(VALU_DEP_1) | instskip(NEXT) | instid1(VALU_DEP_1)
	v_add_co_u32 v2, s4, s38, v2
	v_add_co_ci_u32_e64 v3, s4, s39, v3, s4
	s_and_b32 s4, s2, vcc_lo
	s_delay_alu instid0(SALU_CYCLE_1)
	s_and_saveexec_b32 s5, s4
	s_cbranch_execz .LBB111_61
; %bb.60:                               ;   in Loop: Header=BB111_4 Depth=1
	v_add_co_u32 v30, s4, v2, v18
	s_delay_alu instid0(VALU_DEP_1)
	v_add_co_ci_u32_e64 v31, s4, v3, v19, s4
	v_mul_f64 v[32:33], s[46:47], v[40:41]
	v_mul_f64 v[34:35], s[44:45], v[40:41]
	global_load_b128 v[26:29], v[30:31], off
	v_fma_f64 v[32:33], s[44:45], v[38:39], -v[32:33]
	v_fma_f64 v[34:35], s[46:47], v[38:39], v[34:35]
	s_waitcnt vmcnt(0)
	s_delay_alu instid0(VALU_DEP_2) | instskip(NEXT) | instid1(VALU_DEP_2)
	v_add_f64 v[26:27], v[26:27], v[32:33]
	v_add_f64 v[28:29], v[28:29], v[34:35]
	global_store_b128 v[30:31], v[26:29], off
.LBB111_61:                             ;   in Loop: Header=BB111_4 Depth=1
	s_or_b32 exec_lo, exec_lo, s5
	s_and_b32 s5, s3, vcc_lo
	s_delay_alu instid0(SALU_CYCLE_1)
	s_and_saveexec_b32 s4, s5
	s_cbranch_execz .LBB111_3
; %bb.62:                               ;   in Loop: Header=BB111_4 Depth=1
	v_lshlrev_b64 v[26:27], 4, v[8:9]
	v_mul_f64 v[30:31], s[46:47], v[46:47]
	v_mul_f64 v[32:33], s[44:45], v[46:47]
	s_delay_alu instid0(VALU_DEP_3) | instskip(NEXT) | instid1(VALU_DEP_4)
	v_add_co_u32 v2, vcc_lo, v2, v26
	v_add_co_ci_u32_e32 v3, vcc_lo, v3, v27, vcc_lo
	global_load_b128 v[26:29], v[2:3], off
	v_fma_f64 v[30:31], s[44:45], v[48:49], -v[30:31]
	v_fma_f64 v[32:33], s[46:47], v[48:49], v[32:33]
	s_waitcnt vmcnt(0)
	s_delay_alu instid0(VALU_DEP_2) | instskip(NEXT) | instid1(VALU_DEP_2)
	v_add_f64 v[26:27], v[26:27], v[30:31]
	v_add_f64 v[28:29], v[28:29], v[32:33]
	global_store_b128 v[2:3], v[26:29], off
	s_branch .LBB111_3
.LBB111_63:
	s_nop 0
	s_sendmsg sendmsg(MSG_DEALLOC_VGPRS)
	s_endpgm
	.section	.rodata,"a",@progbits
	.p2align	6, 0x0
	.amdhsa_kernel _ZL30rocblas_trmm_outofplace_kernelI19rocblas_complex_numIdELi32ELi2ELb1ELb1ELb0ELb0ES1_KS1_S1_Ev17rocblas_diagonal_iiT6_lPT7_lllS6_lllPT8_llli
		.amdhsa_group_segment_fixed_size 32768
		.amdhsa_private_segment_fixed_size 0
		.amdhsa_kernarg_size 400
		.amdhsa_user_sgpr_count 13
		.amdhsa_user_sgpr_dispatch_ptr 0
		.amdhsa_user_sgpr_queue_ptr 0
		.amdhsa_user_sgpr_kernarg_segment_ptr 1
		.amdhsa_user_sgpr_dispatch_id 0
		.amdhsa_user_sgpr_private_segment_size 0
		.amdhsa_wavefront_size32 1
		.amdhsa_uses_dynamic_stack 0
		.amdhsa_enable_private_segment 0
		.amdhsa_system_sgpr_workgroup_id_x 1
		.amdhsa_system_sgpr_workgroup_id_y 1
		.amdhsa_system_sgpr_workgroup_id_z 1
		.amdhsa_system_sgpr_workgroup_info 0
		.amdhsa_system_vgpr_workitem_id 1
		.amdhsa_next_free_vgpr 87
		.amdhsa_next_free_sgpr 50
		.amdhsa_reserve_vcc 1
		.amdhsa_float_round_mode_32 0
		.amdhsa_float_round_mode_16_64 0
		.amdhsa_float_denorm_mode_32 3
		.amdhsa_float_denorm_mode_16_64 3
		.amdhsa_dx10_clamp 1
		.amdhsa_ieee_mode 1
		.amdhsa_fp16_overflow 0
		.amdhsa_workgroup_processor_mode 1
		.amdhsa_memory_ordered 1
		.amdhsa_forward_progress 0
		.amdhsa_shared_vgpr_count 0
		.amdhsa_exception_fp_ieee_invalid_op 0
		.amdhsa_exception_fp_denorm_src 0
		.amdhsa_exception_fp_ieee_div_zero 0
		.amdhsa_exception_fp_ieee_overflow 0
		.amdhsa_exception_fp_ieee_underflow 0
		.amdhsa_exception_fp_ieee_inexact 0
		.amdhsa_exception_int_div_zero 0
	.end_amdhsa_kernel
	.section	.text._ZL30rocblas_trmm_outofplace_kernelI19rocblas_complex_numIdELi32ELi2ELb1ELb1ELb0ELb0ES1_KS1_S1_Ev17rocblas_diagonal_iiT6_lPT7_lllS6_lllPT8_llli,"axG",@progbits,_ZL30rocblas_trmm_outofplace_kernelI19rocblas_complex_numIdELi32ELi2ELb1ELb1ELb0ELb0ES1_KS1_S1_Ev17rocblas_diagonal_iiT6_lPT7_lllS6_lllPT8_llli,comdat
.Lfunc_end111:
	.size	_ZL30rocblas_trmm_outofplace_kernelI19rocblas_complex_numIdELi32ELi2ELb1ELb1ELb0ELb0ES1_KS1_S1_Ev17rocblas_diagonal_iiT6_lPT7_lllS6_lllPT8_llli, .Lfunc_end111-_ZL30rocblas_trmm_outofplace_kernelI19rocblas_complex_numIdELi32ELi2ELb1ELb1ELb0ELb0ES1_KS1_S1_Ev17rocblas_diagonal_iiT6_lPT7_lllS6_lllPT8_llli
                                        ; -- End function
	.section	.AMDGPU.csdata,"",@progbits
; Kernel info:
; codeLenInByte = 11532
; NumSgprs: 52
; NumVgprs: 87
; ScratchSize: 0
; MemoryBound: 0
; FloatMode: 240
; IeeeMode: 1
; LDSByteSize: 32768 bytes/workgroup (compile time only)
; SGPRBlocks: 6
; VGPRBlocks: 10
; NumSGPRsForWavesPerEU: 52
; NumVGPRsForWavesPerEU: 87
; Occupancy: 16
; WaveLimiterHint : 0
; COMPUTE_PGM_RSRC2:SCRATCH_EN: 0
; COMPUTE_PGM_RSRC2:USER_SGPR: 13
; COMPUTE_PGM_RSRC2:TRAP_HANDLER: 0
; COMPUTE_PGM_RSRC2:TGID_X_EN: 1
; COMPUTE_PGM_RSRC2:TGID_Y_EN: 1
; COMPUTE_PGM_RSRC2:TGID_Z_EN: 1
; COMPUTE_PGM_RSRC2:TIDIG_COMP_CNT: 1
	.section	.text._ZL30rocblas_trmm_outofplace_kernelI19rocblas_complex_numIdELi32ELi2ELb1ELb0ELb1ELb0EPKS1_S2_S1_Ev17rocblas_diagonal_iiT6_lPT7_lllS7_lllPT8_llli,"axG",@progbits,_ZL30rocblas_trmm_outofplace_kernelI19rocblas_complex_numIdELi32ELi2ELb1ELb0ELb1ELb0EPKS1_S2_S1_Ev17rocblas_diagonal_iiT6_lPT7_lllS7_lllPT8_llli,comdat
	.globl	_ZL30rocblas_trmm_outofplace_kernelI19rocblas_complex_numIdELi32ELi2ELb1ELb0ELb1ELb0EPKS1_S2_S1_Ev17rocblas_diagonal_iiT6_lPT7_lllS7_lllPT8_llli ; -- Begin function _ZL30rocblas_trmm_outofplace_kernelI19rocblas_complex_numIdELi32ELi2ELb1ELb0ELb1ELb0EPKS1_S2_S1_Ev17rocblas_diagonal_iiT6_lPT7_lllS7_lllPT8_llli
	.p2align	8
	.type	_ZL30rocblas_trmm_outofplace_kernelI19rocblas_complex_numIdELi32ELi2ELb1ELb0ELb1ELb0EPKS1_S2_S1_Ev17rocblas_diagonal_iiT6_lPT7_lllS7_lllPT8_llli,@function
_ZL30rocblas_trmm_outofplace_kernelI19rocblas_complex_numIdELi32ELi2ELb1ELb0ELb1ELb0EPKS1_S2_S1_Ev17rocblas_diagonal_iiT6_lPT7_lllS7_lllPT8_llli: ; @_ZL30rocblas_trmm_outofplace_kernelI19rocblas_complex_numIdELi32ELi2ELb1ELb0ELb1ELb0EPKS1_S2_S1_Ev17rocblas_diagonal_iiT6_lPT7_lllS7_lllPT8_llli
; %bb.0:
	s_load_b512 s[16:31], s[0:1], 0x10
	s_waitcnt lgkmcnt(0)
	s_mul_i32 s3, s15, s19
	s_mul_hi_u32 s4, s15, s18
	s_mul_i32 s2, s15, s18
	s_add_i32 s3, s4, s3
	s_delay_alu instid0(SALU_CYCLE_1) | instskip(NEXT) | instid1(SALU_CYCLE_1)
	s_lshl_b64 s[2:3], s[2:3], 4
	s_add_u32 s2, s16, s2
	s_addc_u32 s3, s17, s3
	s_load_b128 s[16:19], s[2:3], 0x0
	s_waitcnt lgkmcnt(0)
	v_cmp_eq_f64_e64 s2, s[16:17], 0
	v_cmp_eq_f64_e64 s3, s[18:19], 0
	s_delay_alu instid0(VALU_DEP_1) | instskip(NEXT) | instid1(SALU_CYCLE_1)
	s_and_b32 s2, s2, s3
	s_and_b32 vcc_lo, exec_lo, s2
	s_cbranch_vccnz .LBB112_63
; %bb.1:
	s_load_b128 s[8:11], s[0:1], 0x0
	s_waitcnt lgkmcnt(0)
	s_add_i32 s2, s10, -1
	s_delay_alu instid0(SALU_CYCLE_1) | instskip(NEXT) | instid1(SALU_CYCLE_1)
	s_ashr_i32 s3, s2, 31
	s_lshr_b32 s3, s3, 27
	s_delay_alu instid0(SALU_CYCLE_1) | instskip(NEXT) | instid1(SALU_CYCLE_1)
	s_add_i32 s2, s2, s3
	s_ashr_i32 s11, s2, 5
	s_delay_alu instid0(SALU_CYCLE_1)
	s_cmp_gt_i32 s14, s11
	s_cbranch_scc1 .LBB112_63
; %bb.2:
	s_clause 0x2
	s_load_b128 s[44:47], s[0:1], 0x70
	s_load_b32 s33, s[0:1], 0x8c
	s_load_b256 s[36:43], s[0:1], 0x50
	v_bfe_u32 v48, v0, 10, 10
	v_and_b32_e32 v0, 0x3ff, v0
	s_mov_b32 s12, s9
	s_delay_alu instid0(VALU_DEP_2) | instskip(NEXT) | instid1(VALU_DEP_2)
	v_lshlrev_b32_e32 v1, 9, v48
	v_lshlrev_b32_e32 v49, 4, v0
	s_delay_alu instid0(VALU_DEP_2) | instskip(NEXT) | instid1(VALU_DEP_2)
	v_add_nc_u32_e32 v51, 0x4000, v1
	v_add_nc_u32_e32 v50, v49, v1
	s_delay_alu instid0(VALU_DEP_2)
	v_add_nc_u32_e32 v54, v51, v49
	s_waitcnt lgkmcnt(0)
	s_mul_i32 s1, s15, s47
	s_mul_hi_u32 s2, s15, s46
	s_mul_i32 s0, s15, s46
	s_add_i32 s1, s2, s1
	s_mul_i32 s4, s39, s15
	s_lshl_b64 s[0:1], s[0:1], 4
	s_mul_hi_u32 s5, s38, s15
	s_add_u32 s2, s40, s0
	s_addc_u32 s3, s41, s1
	s_lshl_b64 s[0:1], s[42:43], 4
	v_add_nc_u32_e32 v56, 0x100, v54
	s_add_u32 s40, s2, s0
	s_addc_u32 s41, s3, s1
	s_lshl_b32 s0, s13, 5
	v_add_nc_u32_e32 v57, 0x2000, v54
	v_add_nc_u32_e32 v6, s0, v0
	;; [unrolled: 1-line block ×3, first 2 shown]
	s_sub_i32 s42, s9, s0
	v_add_nc_u32_e32 v58, 0x2100, v54
	s_cmp_gt_i32 s42, 0
	v_ashrrev_i32_e32 v7, 31, v6
	v_ashrrev_i32_e32 v5, 31, v4
	v_add_co_u32 v10, vcc_lo, v6, 16
	s_cselect_b32 s43, -1, 0
	s_delay_alu instid0(VALU_DEP_3) | instskip(SKIP_3) | instid1(VALU_DEP_2)
	v_add_co_ci_u32_e32 v11, vcc_lo, 0, v7, vcc_lo
	v_sub_co_u32 v12, vcc_lo, v6, v4
	v_sub_co_ci_u32_e32 v13, vcc_lo, v7, v5, vcc_lo
	s_cmpk_eq_i32 s8, 0x84
	v_add_co_u32 v14, vcc_lo, v12, 16
	v_lshlrev_b64 v[18:19], 4, v[6:7]
	s_cselect_b32 s46, -1, 0
	s_ashr_i32 s13, s9, 31
	s_ashr_i32 s47, s10, 31
	s_add_u32 s34, s9, -16
	v_add_co_ci_u32_e32 v15, vcc_lo, 0, v13, vcc_lo
	v_mul_lo_u32 v2, s24, v7
	v_mul_lo_u32 v3, s25, v6
	v_mad_u64_u32 v[0:1], null, s24, v6, 0
	s_addc_u32 s35, s13, -1
	s_add_i32 s5, s5, s4
	s_mul_i32 s4, s38, s15
	v_add_co_u32 v16, vcc_lo, v12, -16
	v_add_co_ci_u32_e32 v17, vcc_lo, -1, v13, vcc_lo
	s_lshl_b64 s[4:5], s[4:5], 4
	s_lshl_b64 s[6:7], s[30:31], 4
	v_add_co_u32 v22, vcc_lo, 0x100, v18
	s_add_u32 s4, s4, s6
	s_addc_u32 s5, s5, s7
	v_add_co_ci_u32_e32 v23, vcc_lo, 0, v19, vcc_lo
	s_add_u32 s4, s28, s4
	v_add3_u32 v1, v1, v2, v3
	s_addc_u32 s5, s29, s5
	v_add_co_u32 v20, vcc_lo, v22, s4
	v_add_nc_u32_e32 v8, 16, v6
	v_add_co_ci_u32_e32 v21, vcc_lo, s5, v23, vcc_lo
	s_mul_i32 s4, s27, s15
	s_mul_hi_u32 s5, s26, s15
	v_lshlrev_b64 v[0:1], 4, v[0:1]
	s_add_i32 s5, s5, s4
	s_mul_i32 s4, s26, s15
	s_lshl_b64 s[6:7], s[22:23], 4
	s_lshl_b64 s[4:5], s[4:5], 4
	v_cmp_le_i32_e64 s0, s9, v6
	v_cmp_gt_i32_e64 s2, s9, v6
	v_cmp_gt_i32_e64 s3, s9, v8
	s_lshl_b64 s[28:29], s[36:37], 4
	s_lshl_b32 s9, s33, 5
	s_add_u32 s4, s6, s4
	v_lshlrev_b64 v[2:3], 4, v[4:5]
	s_addc_u32 s5, s7, s5
	v_add_co_u32 v0, vcc_lo, s4, v0
	v_mul_lo_u32 v25, s24, v23
	v_mul_lo_u32 v26, s25, v22
	v_mad_u64_u32 v[23:24], null, s24, v22, s[4:5]
	v_add_co_ci_u32_e32 v1, vcc_lo, s5, v1, vcc_lo
	v_add_co_u32 v0, vcc_lo, v0, v2
	v_cmp_le_i64_e64 s1, s[12:13], v[10:11]
	s_delay_alu instid0(VALU_DEP_3) | instskip(SKIP_1) | instid1(VALU_DEP_4)
	v_add_co_ci_u32_e32 v1, vcc_lo, v1, v3, vcc_lo
	v_add3_u32 v24, v26, v24, v25
	v_add_co_u32 v0, vcc_lo, v0, s20
	s_delay_alu instid0(VALU_DEP_3) | instskip(SKIP_1) | instid1(VALU_DEP_4)
	v_add_co_ci_u32_e32 v1, vcc_lo, s21, v1, vcc_lo
	v_add_co_u32 v2, vcc_lo, v23, v2
	v_add_co_ci_u32_e32 v3, vcc_lo, v24, v3, vcc_lo
	s_delay_alu instid0(VALU_DEP_4) | instskip(NEXT) | instid1(VALU_DEP_4)
	v_add_co_u32 v59, vcc_lo, 0x100, v0
	v_add_co_ci_u32_e32 v60, vcc_lo, 0, v1, vcc_lo
	v_mov_b32_e32 v1, 0x3ff00000
	v_add_co_u32 v61, vcc_lo, s20, v2
	v_add_nc_u32_e32 v52, 0x100, v50
	v_add_nc_u32_e32 v53, 0x2000, v50
	;; [unrolled: 1-line block ×3, first 2 shown]
	v_ashrrev_i32_e32 v9, 31, v8
	v_lshl_add_u32 v22, s14, 5, v48
	v_add_co_ci_u32_e32 v62, vcc_lo, s21, v3, vcc_lo
	v_mov_b32_e32 v0, 0
	s_branch .LBB112_4
.LBB112_3:                              ;   in Loop: Header=BB112_4 Depth=1
	s_or_b32 exec_lo, exec_lo, s4
	v_add_nc_u32_e32 v22, s9, v22
	s_add_i32 s14, s33, s14
	s_delay_alu instid0(SALU_CYCLE_1)
	s_cmp_le_i32 s14, s11
	s_cbranch_scc0 .LBB112_63
.LBB112_4:                              ; =>This Loop Header: Depth=1
                                        ;     Child Loop BB112_7 Depth 2
	v_mov_b32_e32 v40, 0
	v_lshl_add_u32 v63, s14, 5, v48
	v_mov_b32_e32 v41, 0
	s_delay_alu instid0(VALU_DEP_3)
	v_mov_b32_e32 v30, v40
	v_mov_b32_e32 v32, v40
	;; [unrolled: 1-line block ×3, first 2 shown]
	v_ashrrev_i32_e32 v64, 31, v63
	v_mov_b32_e32 v37, v41
	v_dual_mov_b32 v43, v41 :: v_dual_mov_b32 v42, v40
	v_mov_b32_e32 v31, v41
	v_dual_mov_b32 v33, v41 :: v_dual_mov_b32 v38, v40
	v_dual_mov_b32 v39, v41 :: v_dual_mov_b32 v34, v40
	;; [unrolled: 1-line block ×3, first 2 shown]
	v_mov_b32_e32 v29, v41
	s_and_not1_b32 vcc_lo, exec_lo, s43
	s_mov_b64 s[20:21], 0
	s_cbranch_vccnz .LBB112_55
; %bb.5:                                ;   in Loop: Header=BB112_4 Depth=1
	v_ashrrev_i32_e32 v23, 31, v22
	v_mad_u64_u32 v[24:25], null, s28, v22, v[20:21]
	v_mul_lo_u32 v30, s29, v22
	v_mov_b32_e32 v28, 0
	s_delay_alu instid0(VALU_DEP_4) | instskip(SKIP_3) | instid1(VALU_DEP_3)
	v_lshlrev_b64 v[2:3], 4, v[22:23]
	v_mul_lo_u32 v23, s28, v23
	v_mov_b32_e32 v29, 0
	s_mov_b64 s[22:23], 0
	v_add_co_u32 v31, vcc_lo, 0x100, v2
	s_delay_alu instid0(VALU_DEP_4) | instskip(SKIP_1) | instid1(VALU_DEP_3)
	v_add_co_ci_u32_e32 v26, vcc_lo, 0, v3, vcc_lo
	v_sub_co_u32 v2, vcc_lo, s10, v63
	v_mul_lo_u32 v33, s37, v31
	s_delay_alu instid0(VALU_DEP_3) | instskip(SKIP_4) | instid1(VALU_DEP_3)
	v_mul_lo_u32 v32, s36, v26
	v_mad_u64_u32 v[26:27], null, s36, v31, v[20:21]
	v_sub_co_ci_u32_e32 v3, vcc_lo, s47, v64, vcc_lo
	v_dual_mov_b32 v35, v29 :: v_dual_mov_b32 v34, v28
	v_dual_mov_b32 v39, v29 :: v_dual_mov_b32 v38, v28
	v_cmp_lt_i64_e32 vcc_lo, 0, v[2:3]
	v_cmp_lt_i64_e64 s4, 16, v[2:3]
	v_add3_u32 v25, v30, v25, v23
	v_add3_u32 v27, v33, v27, v32
	v_dual_mov_b32 v37, v29 :: v_dual_mov_b32 v36, v28
	v_dual_mov_b32 v33, v29 :: v_dual_mov_b32 v32, v28
	;; [unrolled: 1-line block ×5, first 2 shown]
	s_branch .LBB112_7
.LBB112_6:                              ;   in Loop: Header=BB112_7 Depth=2
	s_or_b32 exec_lo, exec_lo, s6
	s_waitcnt lgkmcnt(0)
	s_waitcnt_vscnt null, 0x0
	s_barrier
	buffer_gl0_inv
	ds_load_b128 v[44:47], v51
	ds_load_b128 v[65:68], v51 offset:16
	ds_load_b128 v[69:72], v51 offset:32
	;; [unrolled: 1-line block ×3, first 2 shown]
	ds_load_b128 v[77:80], v49
	s_add_u32 s22, s22, 32
	s_addc_u32 s23, s23, 0
	s_add_u32 s20, s20, 0x200
	s_addc_u32 s21, s21, 0
	s_cmp_ge_i32 s22, s42
	s_waitcnt lgkmcnt(0)
	v_mul_f64 v[2:3], v[46:47], v[79:80]
	v_mul_f64 v[81:82], v[44:45], v[79:80]
	s_delay_alu instid0(VALU_DEP_2) | instskip(NEXT) | instid1(VALU_DEP_2)
	v_fma_f64 v[2:3], v[44:45], v[77:78], -v[2:3]
	v_fma_f64 v[81:82], v[46:47], v[77:78], v[81:82]
	s_delay_alu instid0(VALU_DEP_2) | instskip(NEXT) | instid1(VALU_DEP_2)
	v_add_f64 v[2:3], v[40:41], v[2:3]
	v_add_f64 v[81:82], v[42:43], v[81:82]
	ds_load_b128 v[40:43], v49 offset:256
	s_waitcnt lgkmcnt(0)
	v_mul_f64 v[83:84], v[46:47], v[42:43]
	s_delay_alu instid0(VALU_DEP_1) | instskip(SKIP_1) | instid1(VALU_DEP_1)
	v_fma_f64 v[83:84], v[44:45], v[40:41], -v[83:84]
	v_mul_f64 v[44:45], v[44:45], v[42:43]
	v_fma_f64 v[44:45], v[46:47], v[40:41], v[44:45]
	s_delay_alu instid0(VALU_DEP_3) | instskip(NEXT) | instid1(VALU_DEP_2)
	v_add_f64 v[46:47], v[30:31], v[83:84]
	v_add_f64 v[44:45], v[32:33], v[44:45]
	ds_load_b128 v[30:33], v51 offset:8192
	s_waitcnt lgkmcnt(0)
	v_mul_f64 v[83:84], v[32:33], v[79:80]
	v_mul_f64 v[79:80], v[30:31], v[79:80]
	s_delay_alu instid0(VALU_DEP_2) | instskip(NEXT) | instid1(VALU_DEP_2)
	v_fma_f64 v[83:84], v[30:31], v[77:78], -v[83:84]
	v_fma_f64 v[77:78], v[32:33], v[77:78], v[79:80]
	s_delay_alu instid0(VALU_DEP_2) | instskip(SKIP_1) | instid1(VALU_DEP_3)
	v_add_f64 v[79:80], v[36:37], v[83:84]
	v_mul_f64 v[36:37], v[32:33], v[42:43]
	v_add_f64 v[77:78], v[38:39], v[77:78]
	s_delay_alu instid0(VALU_DEP_2) | instskip(SKIP_1) | instid1(VALU_DEP_1)
	v_fma_f64 v[36:37], v[30:31], v[40:41], -v[36:37]
	v_mul_f64 v[30:31], v[30:31], v[42:43]
	v_fma_f64 v[30:31], v[32:33], v[40:41], v[30:31]
	s_delay_alu instid0(VALU_DEP_3) | instskip(NEXT) | instid1(VALU_DEP_2)
	v_add_f64 v[40:41], v[34:35], v[36:37]
	v_add_f64 v[42:43], v[28:29], v[30:31]
	ds_load_b128 v[28:31], v49 offset:512
	s_waitcnt lgkmcnt(0)
	v_mul_f64 v[32:33], v[67:68], v[30:31]
	v_mul_f64 v[34:35], v[65:66], v[30:31]
	s_delay_alu instid0(VALU_DEP_2) | instskip(NEXT) | instid1(VALU_DEP_2)
	v_fma_f64 v[32:33], v[65:66], v[28:29], -v[32:33]
	v_fma_f64 v[34:35], v[67:68], v[28:29], v[34:35]
	s_delay_alu instid0(VALU_DEP_2) | instskip(NEXT) | instid1(VALU_DEP_2)
	v_add_f64 v[2:3], v[2:3], v[32:33]
	v_add_f64 v[81:82], v[81:82], v[34:35]
	ds_load_b128 v[32:35], v49 offset:768
	s_waitcnt lgkmcnt(0)
	v_mul_f64 v[36:37], v[67:68], v[34:35]
	v_mul_f64 v[38:39], v[65:66], v[34:35]
	s_delay_alu instid0(VALU_DEP_2) | instskip(NEXT) | instid1(VALU_DEP_2)
	v_fma_f64 v[36:37], v[65:66], v[32:33], -v[36:37]
	v_fma_f64 v[38:39], v[67:68], v[32:33], v[38:39]
	s_delay_alu instid0(VALU_DEP_2) | instskip(NEXT) | instid1(VALU_DEP_2)
	v_add_f64 v[46:47], v[46:47], v[36:37]
	v_add_f64 v[44:45], v[44:45], v[38:39]
	ds_load_b128 v[36:39], v51 offset:8208
	s_waitcnt lgkmcnt(0)
	v_mul_f64 v[65:66], v[38:39], v[30:31]
	v_mul_f64 v[30:31], v[36:37], v[30:31]
	s_delay_alu instid0(VALU_DEP_2) | instskip(NEXT) | instid1(VALU_DEP_2)
	v_fma_f64 v[65:66], v[36:37], v[28:29], -v[65:66]
	v_fma_f64 v[28:29], v[38:39], v[28:29], v[30:31]
	v_mul_f64 v[30:31], v[36:37], v[34:35]
	s_delay_alu instid0(VALU_DEP_3) | instskip(NEXT) | instid1(VALU_DEP_3)
	v_add_f64 v[65:66], v[79:80], v[65:66]
	v_add_f64 v[67:68], v[77:78], v[28:29]
	v_mul_f64 v[28:29], v[38:39], v[34:35]
	s_delay_alu instid0(VALU_DEP_4) | instskip(NEXT) | instid1(VALU_DEP_2)
	v_fma_f64 v[30:31], v[38:39], v[32:33], v[30:31]
	v_fma_f64 v[28:29], v[36:37], v[32:33], -v[28:29]
	s_delay_alu instid0(VALU_DEP_2) | instskip(NEXT) | instid1(VALU_DEP_2)
	v_add_f64 v[42:43], v[42:43], v[30:31]
	v_add_f64 v[40:41], v[40:41], v[28:29]
	ds_load_b128 v[28:31], v49 offset:1024
	s_waitcnt lgkmcnt(0)
	v_mul_f64 v[32:33], v[71:72], v[30:31]
	v_mul_f64 v[34:35], v[69:70], v[30:31]
	s_delay_alu instid0(VALU_DEP_2) | instskip(NEXT) | instid1(VALU_DEP_2)
	v_fma_f64 v[32:33], v[69:70], v[28:29], -v[32:33]
	v_fma_f64 v[34:35], v[71:72], v[28:29], v[34:35]
	s_delay_alu instid0(VALU_DEP_2) | instskip(NEXT) | instid1(VALU_DEP_2)
	v_add_f64 v[2:3], v[2:3], v[32:33]
	v_add_f64 v[77:78], v[81:82], v[34:35]
	ds_load_b128 v[32:35], v49 offset:1280
	s_waitcnt lgkmcnt(0)
	v_mul_f64 v[36:37], v[71:72], v[34:35]
	v_mul_f64 v[38:39], v[69:70], v[34:35]
	s_delay_alu instid0(VALU_DEP_2) | instskip(NEXT) | instid1(VALU_DEP_2)
	v_fma_f64 v[36:37], v[69:70], v[32:33], -v[36:37]
	v_fma_f64 v[38:39], v[71:72], v[32:33], v[38:39]
	s_delay_alu instid0(VALU_DEP_2) | instskip(NEXT) | instid1(VALU_DEP_2)
	v_add_f64 v[46:47], v[46:47], v[36:37]
	v_add_f64 v[44:45], v[44:45], v[38:39]
	ds_load_b128 v[36:39], v51 offset:8224
	s_waitcnt lgkmcnt(0)
	v_mul_f64 v[69:70], v[38:39], v[30:31]
	v_mul_f64 v[30:31], v[36:37], v[30:31]
	s_delay_alu instid0(VALU_DEP_2) | instskip(NEXT) | instid1(VALU_DEP_2)
	v_fma_f64 v[69:70], v[36:37], v[28:29], -v[69:70]
	v_fma_f64 v[28:29], v[38:39], v[28:29], v[30:31]
	v_mul_f64 v[30:31], v[36:37], v[34:35]
	s_delay_alu instid0(VALU_DEP_3) | instskip(NEXT) | instid1(VALU_DEP_3)
	v_add_f64 v[65:66], v[65:66], v[69:70]
	v_add_f64 v[67:68], v[67:68], v[28:29]
	v_mul_f64 v[28:29], v[38:39], v[34:35]
	s_delay_alu instid0(VALU_DEP_4) | instskip(NEXT) | instid1(VALU_DEP_2)
	v_fma_f64 v[30:31], v[38:39], v[32:33], v[30:31]
	v_fma_f64 v[28:29], v[36:37], v[32:33], -v[28:29]
	s_delay_alu instid0(VALU_DEP_2) | instskip(NEXT) | instid1(VALU_DEP_2)
	;; [unrolled: 38-line block ×3, first 2 shown]
	v_add_f64 v[42:43], v[42:43], v[30:31]
	v_add_f64 v[40:41], v[40:41], v[28:29]
	ds_load_b128 v[28:31], v51 offset:64
	ds_load_b128 v[32:35], v49 offset:2048
	s_waitcnt lgkmcnt(0)
	v_mul_f64 v[36:37], v[30:31], v[34:35]
	v_mul_f64 v[38:39], v[28:29], v[34:35]
	s_delay_alu instid0(VALU_DEP_2) | instskip(NEXT) | instid1(VALU_DEP_2)
	v_fma_f64 v[36:37], v[28:29], v[32:33], -v[36:37]
	v_fma_f64 v[38:39], v[30:31], v[32:33], v[38:39]
	s_delay_alu instid0(VALU_DEP_2) | instskip(NEXT) | instid1(VALU_DEP_2)
	v_add_f64 v[2:3], v[2:3], v[36:37]
	v_add_f64 v[69:70], v[69:70], v[38:39]
	ds_load_b128 v[36:39], v49 offset:2304
	s_waitcnt lgkmcnt(0)
	v_mul_f64 v[71:72], v[30:31], v[38:39]
	s_delay_alu instid0(VALU_DEP_1) | instskip(SKIP_1) | instid1(VALU_DEP_2)
	v_fma_f64 v[71:72], v[28:29], v[36:37], -v[71:72]
	v_mul_f64 v[28:29], v[28:29], v[38:39]
	v_add_f64 v[46:47], v[46:47], v[71:72]
	s_delay_alu instid0(VALU_DEP_2) | instskip(NEXT) | instid1(VALU_DEP_1)
	v_fma_f64 v[28:29], v[30:31], v[36:37], v[28:29]
	v_add_f64 v[44:45], v[44:45], v[28:29]
	ds_load_b128 v[28:31], v51 offset:8256
	s_waitcnt lgkmcnt(0)
	v_mul_f64 v[71:72], v[30:31], v[34:35]
	v_mul_f64 v[34:35], v[28:29], v[34:35]
	s_delay_alu instid0(VALU_DEP_2) | instskip(NEXT) | instid1(VALU_DEP_2)
	v_fma_f64 v[71:72], v[28:29], v[32:33], -v[71:72]
	v_fma_f64 v[32:33], v[30:31], v[32:33], v[34:35]
	s_delay_alu instid0(VALU_DEP_2) | instskip(NEXT) | instid1(VALU_DEP_2)
	v_add_f64 v[65:66], v[65:66], v[71:72]
	v_add_f64 v[67:68], v[67:68], v[32:33]
	v_mul_f64 v[32:33], v[30:31], v[38:39]
	s_delay_alu instid0(VALU_DEP_1) | instskip(SKIP_1) | instid1(VALU_DEP_2)
	v_fma_f64 v[32:33], v[28:29], v[36:37], -v[32:33]
	v_mul_f64 v[28:29], v[28:29], v[38:39]
	v_add_f64 v[40:41], v[40:41], v[32:33]
	s_delay_alu instid0(VALU_DEP_2) | instskip(NEXT) | instid1(VALU_DEP_1)
	v_fma_f64 v[28:29], v[30:31], v[36:37], v[28:29]
	v_add_f64 v[42:43], v[42:43], v[28:29]
	ds_load_b128 v[28:31], v51 offset:80
	ds_load_b128 v[32:35], v49 offset:2560
	s_waitcnt lgkmcnt(0)
	v_mul_f64 v[36:37], v[30:31], v[34:35]
	v_mul_f64 v[38:39], v[28:29], v[34:35]
	s_delay_alu instid0(VALU_DEP_2) | instskip(NEXT) | instid1(VALU_DEP_2)
	v_fma_f64 v[36:37], v[28:29], v[32:33], -v[36:37]
	v_fma_f64 v[38:39], v[30:31], v[32:33], v[38:39]
	s_delay_alu instid0(VALU_DEP_2) | instskip(NEXT) | instid1(VALU_DEP_2)
	v_add_f64 v[2:3], v[2:3], v[36:37]
	v_add_f64 v[69:70], v[69:70], v[38:39]
	ds_load_b128 v[36:39], v49 offset:2816
	s_waitcnt lgkmcnt(0)
	v_mul_f64 v[71:72], v[30:31], v[38:39]
	s_delay_alu instid0(VALU_DEP_1) | instskip(SKIP_1) | instid1(VALU_DEP_2)
	v_fma_f64 v[71:72], v[28:29], v[36:37], -v[71:72]
	v_mul_f64 v[28:29], v[28:29], v[38:39]
	v_add_f64 v[46:47], v[46:47], v[71:72]
	s_delay_alu instid0(VALU_DEP_2) | instskip(NEXT) | instid1(VALU_DEP_1)
	v_fma_f64 v[28:29], v[30:31], v[36:37], v[28:29]
	v_add_f64 v[44:45], v[44:45], v[28:29]
	ds_load_b128 v[28:31], v51 offset:8272
	s_waitcnt lgkmcnt(0)
	v_mul_f64 v[71:72], v[30:31], v[34:35]
	v_mul_f64 v[34:35], v[28:29], v[34:35]
	s_delay_alu instid0(VALU_DEP_2) | instskip(NEXT) | instid1(VALU_DEP_2)
	v_fma_f64 v[71:72], v[28:29], v[32:33], -v[71:72]
	v_fma_f64 v[32:33], v[30:31], v[32:33], v[34:35]
	s_delay_alu instid0(VALU_DEP_2) | instskip(NEXT) | instid1(VALU_DEP_2)
	v_add_f64 v[65:66], v[65:66], v[71:72]
	v_add_f64 v[67:68], v[67:68], v[32:33]
	v_mul_f64 v[32:33], v[30:31], v[38:39]
	s_delay_alu instid0(VALU_DEP_1) | instskip(SKIP_1) | instid1(VALU_DEP_2)
	v_fma_f64 v[32:33], v[28:29], v[36:37], -v[32:33]
	v_mul_f64 v[28:29], v[28:29], v[38:39]
	v_add_f64 v[40:41], v[40:41], v[32:33]
	s_delay_alu instid0(VALU_DEP_2) | instskip(NEXT) | instid1(VALU_DEP_1)
	v_fma_f64 v[28:29], v[30:31], v[36:37], v[28:29]
	;; [unrolled: 39-line block ×27, first 2 shown]
	v_add_f64 v[81:82], v[42:43], v[28:29]
	ds_load_b128 v[28:31], v51 offset:496
	ds_load_b128 v[34:37], v49 offset:15872
	;; [unrolled: 1-line block ×4, first 2 shown]
	s_waitcnt lgkmcnt(0)
	s_barrier
	buffer_gl0_inv
	v_mul_f64 v[32:33], v[30:31], v[36:37]
	v_mul_f64 v[38:39], v[28:29], v[36:37]
	s_delay_alu instid0(VALU_DEP_2) | instskip(NEXT) | instid1(VALU_DEP_2)
	v_fma_f64 v[32:33], v[28:29], v[34:35], -v[32:33]
	v_fma_f64 v[38:39], v[30:31], v[34:35], v[38:39]
	s_delay_alu instid0(VALU_DEP_2) | instskip(SKIP_1) | instid1(VALU_DEP_3)
	v_add_f64 v[40:41], v[2:3], v[32:33]
	v_mul_f64 v[2:3], v[30:31], v[46:47]
	v_add_f64 v[42:43], v[69:70], v[38:39]
	s_delay_alu instid0(VALU_DEP_2) | instskip(SKIP_1) | instid1(VALU_DEP_1)
	v_fma_f64 v[2:3], v[28:29], v[44:45], -v[2:3]
	v_mul_f64 v[28:29], v[28:29], v[46:47]
	v_fma_f64 v[28:29], v[30:31], v[44:45], v[28:29]
	s_delay_alu instid0(VALU_DEP_3) | instskip(SKIP_1) | instid1(VALU_DEP_3)
	v_add_f64 v[30:31], v[71:72], v[2:3]
	v_mul_f64 v[2:3], v[67:68], v[36:37]
	v_add_f64 v[32:33], v[73:74], v[28:29]
	v_mul_f64 v[28:29], v[65:66], v[36:37]
	s_delay_alu instid0(VALU_DEP_3) | instskip(NEXT) | instid1(VALU_DEP_2)
	v_fma_f64 v[2:3], v[65:66], v[34:35], -v[2:3]
	v_fma_f64 v[28:29], v[67:68], v[34:35], v[28:29]
	s_delay_alu instid0(VALU_DEP_2) | instskip(SKIP_1) | instid1(VALU_DEP_3)
	v_add_f64 v[36:37], v[75:76], v[2:3]
	v_mul_f64 v[2:3], v[67:68], v[46:47]
	v_add_f64 v[38:39], v[77:78], v[28:29]
	v_mul_f64 v[28:29], v[65:66], v[46:47]
	s_delay_alu instid0(VALU_DEP_3) | instskip(NEXT) | instid1(VALU_DEP_2)
	v_fma_f64 v[2:3], v[65:66], v[44:45], -v[2:3]
	v_fma_f64 v[28:29], v[67:68], v[44:45], v[28:29]
	s_delay_alu instid0(VALU_DEP_2) | instskip(NEXT) | instid1(VALU_DEP_2)
	v_add_f64 v[34:35], v[79:80], v[2:3]
	v_add_f64 v[28:29], v[81:82], v[28:29]
	s_cbranch_scc1 .LBB112_55
.LBB112_7:                              ;   Parent Loop BB112_4 Depth=1
                                        ; =>  This Inner Loop Header: Depth=2
	v_add_co_u32 v46, s5, v4, s22
	s_delay_alu instid0(VALU_DEP_1) | instskip(SKIP_1) | instid1(VALU_DEP_2)
	v_add_co_ci_u32_e64 v47, s5, s23, v5, s5
	v_cmp_eq_u64_e64 s7, s[22:23], v[12:13]
	v_cmp_le_i64_e64 s6, s[12:13], v[46:47]
	v_cmp_lt_i64_e64 s5, v[46:47], v[6:7]
	s_delay_alu instid0(VALU_DEP_3) | instskip(NEXT) | instid1(VALU_DEP_1)
	s_and_b32 s24, s46, s7
	s_or_b32 s7, s6, s5
	s_delay_alu instid0(SALU_CYCLE_1) | instskip(SKIP_1) | instid1(VALU_DEP_1)
	s_or_b32 s8, s7, s24
	v_add_co_u32 v44, s7, v59, s20
	v_add_co_ci_u32_e64 v45, s7, s21, v60, s7
	s_or_b32 s7, s0, s8
	s_delay_alu instid0(SALU_CYCLE_1) | instskip(NEXT) | instid1(SALU_CYCLE_1)
	s_xor_b32 s7, s7, -1
	s_and_saveexec_b32 s8, s7
	s_delay_alu instid0(SALU_CYCLE_1)
	s_xor_b32 s7, exec_lo, s8
	s_cbranch_execz .LBB112_9
; %bb.8:                                ;   in Loop: Header=BB112_7 Depth=2
	global_load_b128 v[65:68], v[44:45], off offset:-256
	s_waitcnt vmcnt(0)
	ds_store_2addr_b64 v50, v[65:66], v[67:68] offset1:1
.LBB112_9:                              ;   in Loop: Header=BB112_7 Depth=2
	s_or_saveexec_b32 s7, s7
	s_xor_b32 s15, s24, -1
	s_xor_b32 exec_lo, exec_lo, s7
	s_cbranch_execz .LBB112_15
; %bb.10:                               ;   in Loop: Header=BB112_7 Depth=2
	s_and_saveexec_b32 s8, s15
	s_delay_alu instid0(SALU_CYCLE_1)
	s_xor_b32 s8, exec_lo, s8
	s_cbranch_execz .LBB112_12
; %bb.11:                               ;   in Loop: Header=BB112_7 Depth=2
	v_mov_b32_e32 v65, v0
	v_mov_b32_e32 v66, v0
	;; [unrolled: 1-line block ×4, first 2 shown]
	ds_store_b128 v50, v[65:68]
.LBB112_12:                             ;   in Loop: Header=BB112_7 Depth=2
	s_and_not1_saveexec_b32 s8, s8
	s_cbranch_execz .LBB112_14
; %bb.13:                               ;   in Loop: Header=BB112_7 Depth=2
	v_mov_b32_e32 v2, v0
	v_mov_b32_e32 v3, v0
	ds_store_b128 v50, v[0:3]
.LBB112_14:                             ;   in Loop: Header=BB112_7 Depth=2
	s_or_b32 exec_lo, exec_lo, s8
.LBB112_15:                             ;   in Loop: Header=BB112_7 Depth=2
	s_delay_alu instid0(SALU_CYCLE_1) | instskip(SKIP_2) | instid1(VALU_DEP_2)
	s_or_b32 exec_lo, exec_lo, s7
	v_cmp_eq_u64_e64 s7, s[22:23], v[14:15]
	v_cmp_gt_i64_e64 s8, v[10:11], v[46:47]
	s_and_b32 s7, s46, s7
	s_delay_alu instid0(VALU_DEP_1) | instskip(NEXT) | instid1(SALU_CYCLE_1)
	s_or_b32 s6, s6, s8
	s_or_b32 s6, s6, s7
	s_delay_alu instid0(SALU_CYCLE_1) | instskip(NEXT) | instid1(SALU_CYCLE_1)
	s_or_b32 s6, s1, s6
	s_xor_b32 s6, s6, -1
	s_delay_alu instid0(SALU_CYCLE_1) | instskip(NEXT) | instid1(SALU_CYCLE_1)
	s_and_saveexec_b32 s8, s6
	s_xor_b32 s8, exec_lo, s8
	s_cbranch_execz .LBB112_17
; %bb.16:                               ;   in Loop: Header=BB112_7 Depth=2
	v_add_co_u32 v2, s6, v61, s20
	s_delay_alu instid0(VALU_DEP_1)
	v_add_co_ci_u32_e64 v3, s6, s21, v62, s6
	global_load_b128 v[65:68], v[2:3], off
	s_waitcnt vmcnt(0)
	ds_store_2addr_b64 v52, v[65:66], v[67:68] offset1:1
.LBB112_17:                             ;   in Loop: Header=BB112_7 Depth=2
	s_and_not1_saveexec_b32 s6, s8
	s_cbranch_execz .LBB112_23
; %bb.18:                               ;   in Loop: Header=BB112_7 Depth=2
	s_xor_b32 s7, s7, -1
	s_delay_alu instid0(SALU_CYCLE_1) | instskip(NEXT) | instid1(SALU_CYCLE_1)
	s_and_saveexec_b32 s8, s7
	s_xor_b32 s7, exec_lo, s8
	s_cbranch_execz .LBB112_20
; %bb.19:                               ;   in Loop: Header=BB112_7 Depth=2
	v_mov_b32_e32 v65, v0
	v_mov_b32_e32 v66, v0
	;; [unrolled: 1-line block ×4, first 2 shown]
	ds_store_b128 v52, v[65:68]
.LBB112_20:                             ;   in Loop: Header=BB112_7 Depth=2
	s_and_not1_saveexec_b32 s7, s7
	s_cbranch_execz .LBB112_22
; %bb.21:                               ;   in Loop: Header=BB112_7 Depth=2
	v_mov_b32_e32 v2, v0
	v_mov_b32_e32 v3, v0
	ds_store_b128 v52, v[0:3]
.LBB112_22:                             ;   in Loop: Header=BB112_7 Depth=2
	s_or_b32 exec_lo, exec_lo, s7
.LBB112_23:                             ;   in Loop: Header=BB112_7 Depth=2
	s_delay_alu instid0(SALU_CYCLE_1) | instskip(SKIP_1) | instid1(VALU_DEP_1)
	s_or_b32 exec_lo, exec_lo, s6
	v_add_co_u32 v2, s6, v46, 16
	v_add_co_ci_u32_e64 v3, s6, 0, v47, s6
	v_cmp_eq_u64_e64 s7, s[22:23], v[16:17]
	s_delay_alu instid0(VALU_DEP_2) | instskip(SKIP_1) | instid1(VALU_DEP_3)
	v_cmp_le_i64_e64 s6, s[12:13], v[2:3]
	v_cmp_lt_i64_e64 s8, v[2:3], v[6:7]
	s_and_b32 s25, s46, s7
	s_delay_alu instid0(VALU_DEP_1) | instskip(NEXT) | instid1(SALU_CYCLE_1)
	s_or_b32 s7, s6, s8
	s_or_b32 s7, s7, s25
	s_delay_alu instid0(SALU_CYCLE_1) | instskip(NEXT) | instid1(SALU_CYCLE_1)
	s_or_b32 s7, s0, s7
	s_xor_b32 s7, s7, -1
	s_delay_alu instid0(SALU_CYCLE_1) | instskip(NEXT) | instid1(SALU_CYCLE_1)
	s_and_saveexec_b32 s8, s7
	s_xor_b32 s7, exec_lo, s8
	s_cbranch_execz .LBB112_25
; %bb.24:                               ;   in Loop: Header=BB112_7 Depth=2
	global_load_b128 v[44:47], v[44:45], off
	s_waitcnt vmcnt(0)
	ds_store_2addr_b64 v53, v[44:45], v[46:47] offset1:1
.LBB112_25:                             ;   in Loop: Header=BB112_7 Depth=2
	s_and_not1_saveexec_b32 s7, s7
	s_cbranch_execz .LBB112_31
; %bb.26:                               ;   in Loop: Header=BB112_7 Depth=2
	s_xor_b32 s8, s25, -1
	s_delay_alu instid0(SALU_CYCLE_1) | instskip(NEXT) | instid1(SALU_CYCLE_1)
	s_and_saveexec_b32 s25, s8
	s_xor_b32 s8, exec_lo, s25
	s_cbranch_execz .LBB112_28
; %bb.27:                               ;   in Loop: Header=BB112_7 Depth=2
	v_mov_b32_e32 v44, v0
	v_mov_b32_e32 v45, v0
	;; [unrolled: 1-line block ×4, first 2 shown]
	ds_store_b128 v53, v[44:47]
.LBB112_28:                             ;   in Loop: Header=BB112_7 Depth=2
	s_and_not1_saveexec_b32 s8, s8
	s_cbranch_execz .LBB112_30
; %bb.29:                               ;   in Loop: Header=BB112_7 Depth=2
	v_mov_b32_e32 v2, v0
	v_mov_b32_e32 v3, v0
	ds_store_b128 v53, v[0:3]
.LBB112_30:                             ;   in Loop: Header=BB112_7 Depth=2
	s_or_b32 exec_lo, exec_lo, s8
.LBB112_31:                             ;   in Loop: Header=BB112_7 Depth=2
	s_delay_alu instid0(SALU_CYCLE_1) | instskip(SKIP_1) | instid1(SALU_CYCLE_1)
	s_or_b32 exec_lo, exec_lo, s7
	s_or_b32 s5, s6, s5
	s_or_b32 s5, s5, s24
	s_delay_alu instid0(SALU_CYCLE_1) | instskip(NEXT) | instid1(SALU_CYCLE_1)
	s_or_b32 s5, s1, s5
	s_xor_b32 s5, s5, -1
	s_delay_alu instid0(SALU_CYCLE_1) | instskip(NEXT) | instid1(SALU_CYCLE_1)
	s_and_saveexec_b32 s6, s5
	s_xor_b32 s6, exec_lo, s6
	s_cbranch_execz .LBB112_33
; %bb.32:                               ;   in Loop: Header=BB112_7 Depth=2
	v_add_co_u32 v2, s5, v61, s20
	s_delay_alu instid0(VALU_DEP_1)
	v_add_co_ci_u32_e64 v3, s5, s21, v62, s5
	global_load_b128 v[44:47], v[2:3], off offset:256
	s_waitcnt vmcnt(0)
	ds_store_2addr_b64 v55, v[44:45], v[46:47] offset1:1
.LBB112_33:                             ;   in Loop: Header=BB112_7 Depth=2
	s_and_not1_saveexec_b32 s5, s6
	s_cbranch_execz .LBB112_39
; %bb.34:                               ;   in Loop: Header=BB112_7 Depth=2
	s_and_saveexec_b32 s6, s15
	s_delay_alu instid0(SALU_CYCLE_1)
	s_xor_b32 s6, exec_lo, s6
	s_cbranch_execz .LBB112_36
; %bb.35:                               ;   in Loop: Header=BB112_7 Depth=2
	v_mov_b32_e32 v44, v0
	v_mov_b32_e32 v45, v0
	;; [unrolled: 1-line block ×4, first 2 shown]
	ds_store_b128 v55, v[44:47]
.LBB112_36:                             ;   in Loop: Header=BB112_7 Depth=2
	s_and_not1_saveexec_b32 s6, s6
	s_cbranch_execz .LBB112_38
; %bb.37:                               ;   in Loop: Header=BB112_7 Depth=2
	v_mov_b32_e32 v2, v0
	v_mov_b32_e32 v3, v0
	ds_store_b128 v55, v[0:3]
.LBB112_38:                             ;   in Loop: Header=BB112_7 Depth=2
	s_or_b32 exec_lo, exec_lo, s6
.LBB112_39:                             ;   in Loop: Header=BB112_7 Depth=2
	s_delay_alu instid0(SALU_CYCLE_1) | instskip(SKIP_1) | instid1(VALU_DEP_1)
	s_or_b32 exec_lo, exec_lo, s5
	v_add_co_u32 v2, s5, v6, s22
	v_add_co_ci_u32_e64 v3, s5, s23, v7, s5
	s_delay_alu instid0(VALU_DEP_1) | instskip(NEXT) | instid1(VALU_DEP_1)
	v_cmp_gt_i64_e64 s5, s[12:13], v[2:3]
	s_and_b32 s6, vcc_lo, s5
	s_delay_alu instid0(SALU_CYCLE_1) | instskip(NEXT) | instid1(SALU_CYCLE_1)
	s_xor_b32 s6, s6, -1
	s_and_saveexec_b32 s7, s6
	s_delay_alu instid0(SALU_CYCLE_1)
	s_xor_b32 s6, exec_lo, s7
	s_cbranch_execz .LBB112_41
; %bb.40:                               ;   in Loop: Header=BB112_7 Depth=2
	v_mov_b32_e32 v44, v0
	v_mov_b32_e32 v45, v0
	;; [unrolled: 1-line block ×4, first 2 shown]
	ds_store_b128 v54, v[44:47]
.LBB112_41:                             ;   in Loop: Header=BB112_7 Depth=2
	s_or_saveexec_b32 s7, s6
	v_add_co_u32 v44, s6, v24, s20
	s_delay_alu instid0(VALU_DEP_1)
	v_add_co_ci_u32_e64 v45, s6, s21, v25, s6
	s_xor_b32 exec_lo, exec_lo, s7
	s_cbranch_execz .LBB112_43
; %bb.42:                               ;   in Loop: Header=BB112_7 Depth=2
	global_load_b128 v[65:68], v[44:45], off offset:-256
	s_waitcnt vmcnt(0)
	ds_store_2addr_b64 v54, v[65:66], v[67:68] offset1:1
.LBB112_43:                             ;   in Loop: Header=BB112_7 Depth=2
	s_or_b32 exec_lo, exec_lo, s7
	v_cmp_gt_i64_e64 s6, s[34:35], v[2:3]
	s_delay_alu instid0(VALU_DEP_1) | instskip(NEXT) | instid1(SALU_CYCLE_1)
	s_and_b32 s7, vcc_lo, s6
	s_xor_b32 s7, s7, -1
	s_delay_alu instid0(SALU_CYCLE_1) | instskip(NEXT) | instid1(SALU_CYCLE_1)
	s_and_saveexec_b32 s8, s7
	s_xor_b32 s7, exec_lo, s8
	s_cbranch_execz .LBB112_45
; %bb.44:                               ;   in Loop: Header=BB112_7 Depth=2
	v_mov_b32_e32 v44, v0
	v_mov_b32_e32 v45, v0
	;; [unrolled: 1-line block ×4, first 2 shown]
	ds_store_b128 v56, v[44:47]
                                        ; implicit-def: $vgpr44_vgpr45
.LBB112_45:                             ;   in Loop: Header=BB112_7 Depth=2
	s_and_not1_saveexec_b32 s7, s7
	s_cbranch_execz .LBB112_47
; %bb.46:                               ;   in Loop: Header=BB112_7 Depth=2
	global_load_b128 v[44:47], v[44:45], off
	s_waitcnt vmcnt(0)
	ds_store_2addr_b64 v56, v[44:45], v[46:47] offset1:1
.LBB112_47:                             ;   in Loop: Header=BB112_7 Depth=2
	s_or_b32 exec_lo, exec_lo, s7
	s_and_b32 s5, s4, s5
	s_delay_alu instid0(SALU_CYCLE_1) | instskip(NEXT) | instid1(SALU_CYCLE_1)
	s_xor_b32 s5, s5, -1
	s_and_saveexec_b32 s7, s5
	s_delay_alu instid0(SALU_CYCLE_1)
	s_xor_b32 s5, exec_lo, s7
	s_cbranch_execz .LBB112_49
; %bb.48:                               ;   in Loop: Header=BB112_7 Depth=2
	v_mov_b32_e32 v44, v0
	v_mov_b32_e32 v45, v0
	;; [unrolled: 1-line block ×4, first 2 shown]
	ds_store_b128 v57, v[44:47]
.LBB112_49:                             ;   in Loop: Header=BB112_7 Depth=2
	s_and_not1_saveexec_b32 s7, s5
	s_cbranch_execz .LBB112_51
; %bb.50:                               ;   in Loop: Header=BB112_7 Depth=2
	v_add_co_u32 v2, s5, v26, s20
	s_delay_alu instid0(VALU_DEP_1)
	v_add_co_ci_u32_e64 v3, s5, s21, v27, s5
	global_load_b128 v[44:47], v[2:3], off offset:-256
	s_waitcnt vmcnt(0)
	ds_store_2addr_b64 v57, v[44:45], v[46:47] offset1:1
.LBB112_51:                             ;   in Loop: Header=BB112_7 Depth=2
	s_or_b32 exec_lo, exec_lo, s7
	s_and_b32 s5, s4, s6
	s_delay_alu instid0(SALU_CYCLE_1) | instskip(NEXT) | instid1(SALU_CYCLE_1)
	s_xor_b32 s5, s5, -1
	s_and_saveexec_b32 s6, s5
	s_delay_alu instid0(SALU_CYCLE_1)
	s_xor_b32 s5, exec_lo, s6
	s_cbranch_execz .LBB112_53
; %bb.52:                               ;   in Loop: Header=BB112_7 Depth=2
	v_mov_b32_e32 v44, v0
	v_mov_b32_e32 v45, v0
	;; [unrolled: 1-line block ×4, first 2 shown]
	ds_store_b128 v58, v[44:47]
.LBB112_53:                             ;   in Loop: Header=BB112_7 Depth=2
	s_and_not1_saveexec_b32 s6, s5
	s_cbranch_execz .LBB112_6
; %bb.54:                               ;   in Loop: Header=BB112_7 Depth=2
	v_add_co_u32 v2, s5, v26, s20
	s_delay_alu instid0(VALU_DEP_1)
	v_add_co_ci_u32_e64 v3, s5, s21, v27, s5
	global_load_b128 v[44:47], v[2:3], off
	s_waitcnt vmcnt(0)
	ds_store_2addr_b64 v58, v[44:45], v[46:47] offset1:1
	s_branch .LBB112_6
.LBB112_55:                             ;   in Loop: Header=BB112_4 Depth=1
	v_mul_lo_u32 v23, v64, s44
	v_mul_lo_u32 v24, v63, s45
	v_mad_u64_u32 v[2:3], null, v63, s44, 0
	v_cmp_gt_i32_e32 vcc_lo, s10, v63
	s_delay_alu instid0(VALU_DEP_2) | instskip(NEXT) | instid1(VALU_DEP_1)
	v_add3_u32 v3, v3, v24, v23
	v_lshlrev_b64 v[2:3], 4, v[2:3]
	s_delay_alu instid0(VALU_DEP_1) | instskip(NEXT) | instid1(VALU_DEP_1)
	v_add_co_u32 v2, s4, s40, v2
	v_add_co_ci_u32_e64 v3, s4, s41, v3, s4
	s_and_b32 s4, s2, vcc_lo
	s_delay_alu instid0(SALU_CYCLE_1)
	s_and_saveexec_b32 s5, s4
	s_cbranch_execz .LBB112_57
; %bb.56:                               ;   in Loop: Header=BB112_4 Depth=1
	v_add_co_u32 v44, s4, v2, v18
	s_delay_alu instid0(VALU_DEP_1)
	v_add_co_ci_u32_e64 v45, s4, v3, v19, s4
	v_mul_f64 v[46:47], s[18:19], v[42:43]
	v_mul_f64 v[42:43], s[16:17], v[42:43]
	global_load_b128 v[23:26], v[44:45], off
	v_fma_f64 v[46:47], s[16:17], v[40:41], -v[46:47]
	v_fma_f64 v[40:41], s[18:19], v[40:41], v[42:43]
	s_waitcnt vmcnt(0)
	s_delay_alu instid0(VALU_DEP_2) | instskip(NEXT) | instid1(VALU_DEP_2)
	v_add_f64 v[23:24], v[23:24], v[46:47]
	v_add_f64 v[25:26], v[25:26], v[40:41]
	global_store_b128 v[44:45], v[23:26], off
.LBB112_57:                             ;   in Loop: Header=BB112_4 Depth=1
	s_or_b32 exec_lo, exec_lo, s5
	s_and_b32 s5, s3, vcc_lo
	s_delay_alu instid0(SALU_CYCLE_1)
	s_and_saveexec_b32 s4, s5
	s_cbranch_execz .LBB112_59
; %bb.58:                               ;   in Loop: Header=BB112_4 Depth=1
	v_lshlrev_b64 v[23:24], 4, v[8:9]
	v_mul_f64 v[40:41], s[18:19], v[32:33]
	v_mul_f64 v[32:33], s[16:17], v[32:33]
	s_delay_alu instid0(VALU_DEP_3) | instskip(NEXT) | instid1(VALU_DEP_4)
	v_add_co_u32 v2, vcc_lo, v2, v23
	v_add_co_ci_u32_e32 v3, vcc_lo, v3, v24, vcc_lo
	global_load_b128 v[23:26], v[2:3], off
	v_fma_f64 v[40:41], s[16:17], v[30:31], -v[40:41]
	v_fma_f64 v[30:31], s[18:19], v[30:31], v[32:33]
	s_waitcnt vmcnt(0)
	s_delay_alu instid0(VALU_DEP_2) | instskip(NEXT) | instid1(VALU_DEP_2)
	v_add_f64 v[23:24], v[23:24], v[40:41]
	v_add_f64 v[25:26], v[25:26], v[30:31]
	global_store_b128 v[2:3], v[23:26], off
.LBB112_59:                             ;   in Loop: Header=BB112_4 Depth=1
	s_or_b32 exec_lo, exec_lo, s4
	v_add_nc_u32_e32 v23, 16, v63
	s_delay_alu instid0(VALU_DEP_1) | instskip(SKIP_3) | instid1(VALU_DEP_4)
	v_ashrrev_i32_e32 v24, 31, v23
	v_mul_lo_u32 v25, v23, s45
	v_mad_u64_u32 v[2:3], null, v23, s44, 0
	v_cmp_gt_i32_e32 vcc_lo, s10, v23
	v_mul_lo_u32 v24, v24, s44
	s_delay_alu instid0(VALU_DEP_1) | instskip(NEXT) | instid1(VALU_DEP_1)
	v_add3_u32 v3, v3, v25, v24
	v_lshlrev_b64 v[2:3], 4, v[2:3]
	s_delay_alu instid0(VALU_DEP_1) | instskip(NEXT) | instid1(VALU_DEP_1)
	v_add_co_u32 v2, s4, s40, v2
	v_add_co_ci_u32_e64 v3, s4, s41, v3, s4
	s_and_b32 s4, s2, vcc_lo
	s_delay_alu instid0(SALU_CYCLE_1)
	s_and_saveexec_b32 s5, s4
	s_cbranch_execz .LBB112_61
; %bb.60:                               ;   in Loop: Header=BB112_4 Depth=1
	v_add_co_u32 v30, s4, v2, v18
	s_delay_alu instid0(VALU_DEP_1)
	v_add_co_ci_u32_e64 v31, s4, v3, v19, s4
	v_mul_f64 v[32:33], s[18:19], v[38:39]
	v_mul_f64 v[38:39], s[16:17], v[38:39]
	global_load_b128 v[23:26], v[30:31], off
	v_fma_f64 v[32:33], s[16:17], v[36:37], -v[32:33]
	v_fma_f64 v[36:37], s[18:19], v[36:37], v[38:39]
	s_waitcnt vmcnt(0)
	s_delay_alu instid0(VALU_DEP_2) | instskip(NEXT) | instid1(VALU_DEP_2)
	v_add_f64 v[23:24], v[23:24], v[32:33]
	v_add_f64 v[25:26], v[25:26], v[36:37]
	global_store_b128 v[30:31], v[23:26], off
.LBB112_61:                             ;   in Loop: Header=BB112_4 Depth=1
	s_or_b32 exec_lo, exec_lo, s5
	s_and_b32 s5, s3, vcc_lo
	s_delay_alu instid0(SALU_CYCLE_1)
	s_and_saveexec_b32 s4, s5
	s_cbranch_execz .LBB112_3
; %bb.62:                               ;   in Loop: Header=BB112_4 Depth=1
	v_lshlrev_b64 v[23:24], 4, v[8:9]
	v_mul_f64 v[30:31], s[18:19], v[28:29]
	v_mul_f64 v[27:28], s[16:17], v[28:29]
	s_delay_alu instid0(VALU_DEP_3) | instskip(NEXT) | instid1(VALU_DEP_4)
	v_add_co_u32 v2, vcc_lo, v2, v23
	v_add_co_ci_u32_e32 v3, vcc_lo, v3, v24, vcc_lo
	global_load_b128 v[23:26], v[2:3], off
	v_fma_f64 v[29:30], s[16:17], v[34:35], -v[30:31]
	v_fma_f64 v[27:28], s[18:19], v[34:35], v[27:28]
	s_waitcnt vmcnt(0)
	s_delay_alu instid0(VALU_DEP_2) | instskip(NEXT) | instid1(VALU_DEP_2)
	v_add_f64 v[23:24], v[23:24], v[29:30]
	v_add_f64 v[25:26], v[25:26], v[27:28]
	global_store_b128 v[2:3], v[23:26], off
	s_branch .LBB112_3
.LBB112_63:
	s_nop 0
	s_sendmsg sendmsg(MSG_DEALLOC_VGPRS)
	s_endpgm
	.section	.rodata,"a",@progbits
	.p2align	6, 0x0
	.amdhsa_kernel _ZL30rocblas_trmm_outofplace_kernelI19rocblas_complex_numIdELi32ELi2ELb1ELb0ELb1ELb0EPKS1_S2_S1_Ev17rocblas_diagonal_iiT6_lPT7_lllS7_lllPT8_llli
		.amdhsa_group_segment_fixed_size 32768
		.amdhsa_private_segment_fixed_size 0
		.amdhsa_kernarg_size 392
		.amdhsa_user_sgpr_count 13
		.amdhsa_user_sgpr_dispatch_ptr 0
		.amdhsa_user_sgpr_queue_ptr 0
		.amdhsa_user_sgpr_kernarg_segment_ptr 1
		.amdhsa_user_sgpr_dispatch_id 0
		.amdhsa_user_sgpr_private_segment_size 0
		.amdhsa_wavefront_size32 1
		.amdhsa_uses_dynamic_stack 0
		.amdhsa_enable_private_segment 0
		.amdhsa_system_sgpr_workgroup_id_x 1
		.amdhsa_system_sgpr_workgroup_id_y 1
		.amdhsa_system_sgpr_workgroup_id_z 1
		.amdhsa_system_sgpr_workgroup_info 0
		.amdhsa_system_vgpr_workitem_id 1
		.amdhsa_next_free_vgpr 85
		.amdhsa_next_free_sgpr 48
		.amdhsa_reserve_vcc 1
		.amdhsa_float_round_mode_32 0
		.amdhsa_float_round_mode_16_64 0
		.amdhsa_float_denorm_mode_32 3
		.amdhsa_float_denorm_mode_16_64 3
		.amdhsa_dx10_clamp 1
		.amdhsa_ieee_mode 1
		.amdhsa_fp16_overflow 0
		.amdhsa_workgroup_processor_mode 1
		.amdhsa_memory_ordered 1
		.amdhsa_forward_progress 0
		.amdhsa_shared_vgpr_count 0
		.amdhsa_exception_fp_ieee_invalid_op 0
		.amdhsa_exception_fp_denorm_src 0
		.amdhsa_exception_fp_ieee_div_zero 0
		.amdhsa_exception_fp_ieee_overflow 0
		.amdhsa_exception_fp_ieee_underflow 0
		.amdhsa_exception_fp_ieee_inexact 0
		.amdhsa_exception_int_div_zero 0
	.end_amdhsa_kernel
	.section	.text._ZL30rocblas_trmm_outofplace_kernelI19rocblas_complex_numIdELi32ELi2ELb1ELb0ELb1ELb0EPKS1_S2_S1_Ev17rocblas_diagonal_iiT6_lPT7_lllS7_lllPT8_llli,"axG",@progbits,_ZL30rocblas_trmm_outofplace_kernelI19rocblas_complex_numIdELi32ELi2ELb1ELb0ELb1ELb0EPKS1_S2_S1_Ev17rocblas_diagonal_iiT6_lPT7_lllS7_lllPT8_llli,comdat
.Lfunc_end112:
	.size	_ZL30rocblas_trmm_outofplace_kernelI19rocblas_complex_numIdELi32ELi2ELb1ELb0ELb1ELb0EPKS1_S2_S1_Ev17rocblas_diagonal_iiT6_lPT7_lllS7_lllPT8_llli, .Lfunc_end112-_ZL30rocblas_trmm_outofplace_kernelI19rocblas_complex_numIdELi32ELi2ELb1ELb0ELb1ELb0EPKS1_S2_S1_Ev17rocblas_diagonal_iiT6_lPT7_lllS7_lllPT8_llli
                                        ; -- End function
	.section	.AMDGPU.csdata,"",@progbits
; Kernel info:
; codeLenInByte = 11536
; NumSgprs: 50
; NumVgprs: 85
; ScratchSize: 0
; MemoryBound: 0
; FloatMode: 240
; IeeeMode: 1
; LDSByteSize: 32768 bytes/workgroup (compile time only)
; SGPRBlocks: 6
; VGPRBlocks: 10
; NumSGPRsForWavesPerEU: 50
; NumVGPRsForWavesPerEU: 85
; Occupancy: 16
; WaveLimiterHint : 0
; COMPUTE_PGM_RSRC2:SCRATCH_EN: 0
; COMPUTE_PGM_RSRC2:USER_SGPR: 13
; COMPUTE_PGM_RSRC2:TRAP_HANDLER: 0
; COMPUTE_PGM_RSRC2:TGID_X_EN: 1
; COMPUTE_PGM_RSRC2:TGID_Y_EN: 1
; COMPUTE_PGM_RSRC2:TGID_Z_EN: 1
; COMPUTE_PGM_RSRC2:TIDIG_COMP_CNT: 1
	.section	.text._ZL30rocblas_trmm_outofplace_kernelI19rocblas_complex_numIdELi32ELi2ELb1ELb0ELb1ELb0ES1_KS1_S1_Ev17rocblas_diagonal_iiT6_lPT7_lllS6_lllPT8_llli,"axG",@progbits,_ZL30rocblas_trmm_outofplace_kernelI19rocblas_complex_numIdELi32ELi2ELb1ELb0ELb1ELb0ES1_KS1_S1_Ev17rocblas_diagonal_iiT6_lPT7_lllS6_lllPT8_llli,comdat
	.globl	_ZL30rocblas_trmm_outofplace_kernelI19rocblas_complex_numIdELi32ELi2ELb1ELb0ELb1ELb0ES1_KS1_S1_Ev17rocblas_diagonal_iiT6_lPT7_lllS6_lllPT8_llli ; -- Begin function _ZL30rocblas_trmm_outofplace_kernelI19rocblas_complex_numIdELi32ELi2ELb1ELb0ELb1ELb0ES1_KS1_S1_Ev17rocblas_diagonal_iiT6_lPT7_lllS6_lllPT8_llli
	.p2align	8
	.type	_ZL30rocblas_trmm_outofplace_kernelI19rocblas_complex_numIdELi32ELi2ELb1ELb0ELb1ELb0ES1_KS1_S1_Ev17rocblas_diagonal_iiT6_lPT7_lllS6_lllPT8_llli,@function
_ZL30rocblas_trmm_outofplace_kernelI19rocblas_complex_numIdELi32ELi2ELb1ELb0ELb1ELb0ES1_KS1_S1_Ev17rocblas_diagonal_iiT6_lPT7_lllS6_lllPT8_llli: ; @_ZL30rocblas_trmm_outofplace_kernelI19rocblas_complex_numIdELi32ELi2ELb1ELb0ELb1ELb0ES1_KS1_S1_Ev17rocblas_diagonal_iiT6_lPT7_lllS6_lllPT8_llli
; %bb.0:
	s_load_b128 s[44:47], s[0:1], 0x10
	s_waitcnt lgkmcnt(0)
	v_cmp_eq_f64_e64 s2, s[44:45], 0
	v_cmp_eq_f64_e64 s3, s[46:47], 0
	s_delay_alu instid0(VALU_DEP_1) | instskip(NEXT) | instid1(SALU_CYCLE_1)
	s_and_b32 s2, s2, s3
	s_and_b32 vcc_lo, exec_lo, s2
	s_cbranch_vccnz .LBB113_63
; %bb.1:
	s_load_b128 s[8:11], s[0:1], 0x0
	s_waitcnt lgkmcnt(0)
	s_add_i32 s2, s10, -1
	s_delay_alu instid0(SALU_CYCLE_1) | instskip(NEXT) | instid1(SALU_CYCLE_1)
	s_ashr_i32 s3, s2, 31
	s_lshr_b32 s3, s3, 27
	s_delay_alu instid0(SALU_CYCLE_1) | instskip(NEXT) | instid1(SALU_CYCLE_1)
	s_add_i32 s2, s2, s3
	s_ashr_i32 s11, s2, 5
	s_delay_alu instid0(SALU_CYCLE_1)
	s_cmp_gt_i32 s14, s11
	s_cbranch_scc1 .LBB113_63
; %bb.2:
	s_clause 0x2
	s_load_b256 s[36:43], s[0:1], 0x68
	s_load_b512 s[16:31], s[0:1], 0x28
	s_load_b32 s33, s[0:1], 0x94
	v_bfe_u32 v48, v0, 10, 10
	v_and_b32_e32 v0, 0x3ff, v0
	s_mov_b32 s12, s9
	s_delay_alu instid0(VALU_DEP_2) | instskip(NEXT) | instid1(VALU_DEP_2)
	v_lshlrev_b32_e32 v1, 9, v48
	v_lshlrev_b32_e32 v49, 4, v0
	s_delay_alu instid0(VALU_DEP_2) | instskip(NEXT) | instid1(VALU_DEP_2)
	v_add_nc_u32_e32 v51, 0x4000, v1
	v_add_nc_u32_e32 v50, v49, v1
	s_delay_alu instid0(VALU_DEP_2)
	v_add_nc_u32_e32 v54, v51, v49
	s_waitcnt lgkmcnt(0)
	s_mul_i32 s1, s15, s43
	s_mul_hi_u32 s2, s15, s42
	s_mul_i32 s0, s15, s42
	s_add_i32 s1, s2, s1
	s_mul_i32 s4, s31, s15
	s_lshl_b64 s[0:1], s[0:1], 4
	s_mul_hi_u32 s5, s30, s15
	s_add_u32 s2, s36, s0
	s_addc_u32 s3, s37, s1
	s_lshl_b64 s[0:1], s[38:39], 4
	v_add_nc_u32_e32 v56, 0x100, v54
	s_add_u32 s36, s2, s0
	s_addc_u32 s37, s3, s1
	s_lshl_b32 s0, s13, 5
	v_add_nc_u32_e32 v57, 0x2000, v54
	v_add_nc_u32_e32 v6, s0, v0
	;; [unrolled: 1-line block ×3, first 2 shown]
	s_sub_i32 s38, s9, s0
	v_add_nc_u32_e32 v58, 0x2100, v54
	s_cmp_gt_i32 s38, 0
	v_ashrrev_i32_e32 v7, 31, v6
	v_ashrrev_i32_e32 v5, 31, v4
	v_add_co_u32 v10, vcc_lo, v6, 16
	s_cselect_b32 s39, -1, 0
	s_delay_alu instid0(VALU_DEP_3) | instskip(SKIP_3) | instid1(VALU_DEP_2)
	v_add_co_ci_u32_e32 v11, vcc_lo, 0, v7, vcc_lo
	v_sub_co_u32 v12, vcc_lo, v6, v4
	v_sub_co_ci_u32_e32 v13, vcc_lo, v7, v5, vcc_lo
	s_cmpk_eq_i32 s8, 0x84
	v_add_co_u32 v14, vcc_lo, v12, 16
	v_lshlrev_b64 v[18:19], 4, v[6:7]
	s_cselect_b32 s42, -1, 0
	s_ashr_i32 s13, s9, 31
	s_ashr_i32 s43, s10, 31
	s_add_u32 s34, s9, -16
	v_add_co_ci_u32_e32 v15, vcc_lo, 0, v13, vcc_lo
	v_mul_lo_u32 v2, s20, v7
	v_mul_lo_u32 v3, s21, v6
	v_mad_u64_u32 v[0:1], null, s20, v6, 0
	s_addc_u32 s35, s13, -1
	s_add_i32 s5, s5, s4
	s_mul_i32 s4, s30, s15
	v_add_co_u32 v16, vcc_lo, v12, -16
	v_add_co_ci_u32_e32 v17, vcc_lo, -1, v13, vcc_lo
	s_lshl_b64 s[4:5], s[4:5], 4
	s_lshl_b64 s[6:7], s[26:27], 4
	v_add_co_u32 v22, vcc_lo, 0x100, v18
	s_add_u32 s4, s4, s6
	s_addc_u32 s5, s5, s7
	v_add_co_ci_u32_e32 v23, vcc_lo, 0, v19, vcc_lo
	s_add_u32 s4, s24, s4
	v_add3_u32 v1, v1, v2, v3
	s_addc_u32 s5, s25, s5
	v_add_co_u32 v20, vcc_lo, v22, s4
	v_add_nc_u32_e32 v8, 16, v6
	v_add_co_ci_u32_e32 v21, vcc_lo, s5, v23, vcc_lo
	s_mul_i32 s4, s23, s15
	s_mul_hi_u32 s5, s22, s15
	v_lshlrev_b64 v[0:1], 4, v[0:1]
	s_add_i32 s5, s5, s4
	s_mul_i32 s4, s22, s15
	s_lshl_b64 s[6:7], s[18:19], 4
	s_lshl_b64 s[4:5], s[4:5], 4
	v_cmp_le_i32_e64 s0, s9, v6
	v_cmp_gt_i32_e64 s2, s9, v6
	v_cmp_gt_i32_e64 s3, s9, v8
	s_lshl_b64 s[24:25], s[28:29], 4
	s_lshl_b32 s9, s33, 5
	s_add_u32 s4, s6, s4
	v_lshlrev_b64 v[2:3], 4, v[4:5]
	s_addc_u32 s5, s7, s5
	v_add_co_u32 v0, vcc_lo, s4, v0
	v_mul_lo_u32 v25, s20, v23
	v_mul_lo_u32 v26, s21, v22
	v_mad_u64_u32 v[23:24], null, s20, v22, s[4:5]
	v_add_co_ci_u32_e32 v1, vcc_lo, s5, v1, vcc_lo
	v_add_co_u32 v0, vcc_lo, v0, v2
	v_cmp_le_i64_e64 s1, s[12:13], v[10:11]
	s_delay_alu instid0(VALU_DEP_3) | instskip(SKIP_1) | instid1(VALU_DEP_4)
	v_add_co_ci_u32_e32 v1, vcc_lo, v1, v3, vcc_lo
	v_add3_u32 v24, v26, v24, v25
	v_add_co_u32 v0, vcc_lo, v0, s16
	s_delay_alu instid0(VALU_DEP_3) | instskip(SKIP_1) | instid1(VALU_DEP_4)
	v_add_co_ci_u32_e32 v1, vcc_lo, s17, v1, vcc_lo
	v_add_co_u32 v2, vcc_lo, v23, v2
	v_add_co_ci_u32_e32 v3, vcc_lo, v24, v3, vcc_lo
	s_delay_alu instid0(VALU_DEP_4) | instskip(NEXT) | instid1(VALU_DEP_4)
	v_add_co_u32 v59, vcc_lo, 0x100, v0
	v_add_co_ci_u32_e32 v60, vcc_lo, 0, v1, vcc_lo
	v_mov_b32_e32 v1, 0x3ff00000
	v_add_co_u32 v61, vcc_lo, s16, v2
	v_add_nc_u32_e32 v52, 0x100, v50
	v_add_nc_u32_e32 v53, 0x2000, v50
	;; [unrolled: 1-line block ×3, first 2 shown]
	v_ashrrev_i32_e32 v9, 31, v8
	v_lshl_add_u32 v22, s14, 5, v48
	v_add_co_ci_u32_e32 v62, vcc_lo, s17, v3, vcc_lo
	v_mov_b32_e32 v0, 0
	s_branch .LBB113_4
.LBB113_3:                              ;   in Loop: Header=BB113_4 Depth=1
	s_or_b32 exec_lo, exec_lo, s4
	v_add_nc_u32_e32 v22, s9, v22
	s_add_i32 s14, s33, s14
	s_delay_alu instid0(SALU_CYCLE_1)
	s_cmp_le_i32 s14, s11
	s_cbranch_scc0 .LBB113_63
.LBB113_4:                              ; =>This Loop Header: Depth=1
                                        ;     Child Loop BB113_7 Depth 2
	v_mov_b32_e32 v40, 0
	v_lshl_add_u32 v63, s14, 5, v48
	v_mov_b32_e32 v41, 0
	s_delay_alu instid0(VALU_DEP_3)
	v_mov_b32_e32 v30, v40
	v_mov_b32_e32 v32, v40
	;; [unrolled: 1-line block ×3, first 2 shown]
	v_ashrrev_i32_e32 v64, 31, v63
	v_mov_b32_e32 v37, v41
	v_dual_mov_b32 v43, v41 :: v_dual_mov_b32 v42, v40
	v_mov_b32_e32 v31, v41
	v_dual_mov_b32 v33, v41 :: v_dual_mov_b32 v38, v40
	v_dual_mov_b32 v39, v41 :: v_dual_mov_b32 v34, v40
	;; [unrolled: 1-line block ×3, first 2 shown]
	v_mov_b32_e32 v29, v41
	s_and_not1_b32 vcc_lo, exec_lo, s39
	s_mov_b64 s[16:17], 0
	s_cbranch_vccnz .LBB113_55
; %bb.5:                                ;   in Loop: Header=BB113_4 Depth=1
	v_ashrrev_i32_e32 v23, 31, v22
	v_mad_u64_u32 v[24:25], null, s24, v22, v[20:21]
	v_mul_lo_u32 v30, s25, v22
	v_mov_b32_e32 v28, 0
	s_delay_alu instid0(VALU_DEP_4) | instskip(SKIP_3) | instid1(VALU_DEP_3)
	v_lshlrev_b64 v[2:3], 4, v[22:23]
	v_mul_lo_u32 v23, s24, v23
	v_mov_b32_e32 v29, 0
	s_mov_b64 s[18:19], 0
	v_add_co_u32 v31, vcc_lo, 0x100, v2
	s_delay_alu instid0(VALU_DEP_4) | instskip(SKIP_1) | instid1(VALU_DEP_3)
	v_add_co_ci_u32_e32 v26, vcc_lo, 0, v3, vcc_lo
	v_sub_co_u32 v2, vcc_lo, s10, v63
	v_mul_lo_u32 v33, s29, v31
	s_delay_alu instid0(VALU_DEP_3) | instskip(SKIP_4) | instid1(VALU_DEP_3)
	v_mul_lo_u32 v32, s28, v26
	v_mad_u64_u32 v[26:27], null, s28, v31, v[20:21]
	v_sub_co_ci_u32_e32 v3, vcc_lo, s43, v64, vcc_lo
	v_dual_mov_b32 v35, v29 :: v_dual_mov_b32 v34, v28
	v_dual_mov_b32 v39, v29 :: v_dual_mov_b32 v38, v28
	v_cmp_lt_i64_e32 vcc_lo, 0, v[2:3]
	v_cmp_lt_i64_e64 s4, 16, v[2:3]
	v_add3_u32 v25, v30, v25, v23
	v_add3_u32 v27, v33, v27, v32
	v_dual_mov_b32 v37, v29 :: v_dual_mov_b32 v36, v28
	v_dual_mov_b32 v33, v29 :: v_dual_mov_b32 v32, v28
	;; [unrolled: 1-line block ×5, first 2 shown]
	s_branch .LBB113_7
.LBB113_6:                              ;   in Loop: Header=BB113_7 Depth=2
	s_or_b32 exec_lo, exec_lo, s6
	s_waitcnt lgkmcnt(0)
	s_waitcnt_vscnt null, 0x0
	s_barrier
	buffer_gl0_inv
	ds_load_b128 v[44:47], v51
	ds_load_b128 v[65:68], v51 offset:16
	ds_load_b128 v[69:72], v51 offset:32
	;; [unrolled: 1-line block ×3, first 2 shown]
	ds_load_b128 v[77:80], v49
	s_add_u32 s18, s18, 32
	s_addc_u32 s19, s19, 0
	s_add_u32 s16, s16, 0x200
	s_addc_u32 s17, s17, 0
	s_cmp_ge_i32 s18, s38
	s_waitcnt lgkmcnt(0)
	v_mul_f64 v[2:3], v[46:47], v[79:80]
	v_mul_f64 v[81:82], v[44:45], v[79:80]
	s_delay_alu instid0(VALU_DEP_2) | instskip(NEXT) | instid1(VALU_DEP_2)
	v_fma_f64 v[2:3], v[44:45], v[77:78], -v[2:3]
	v_fma_f64 v[81:82], v[46:47], v[77:78], v[81:82]
	s_delay_alu instid0(VALU_DEP_2) | instskip(NEXT) | instid1(VALU_DEP_2)
	v_add_f64 v[2:3], v[40:41], v[2:3]
	v_add_f64 v[81:82], v[42:43], v[81:82]
	ds_load_b128 v[40:43], v49 offset:256
	s_waitcnt lgkmcnt(0)
	v_mul_f64 v[83:84], v[46:47], v[42:43]
	s_delay_alu instid0(VALU_DEP_1) | instskip(SKIP_1) | instid1(VALU_DEP_1)
	v_fma_f64 v[83:84], v[44:45], v[40:41], -v[83:84]
	v_mul_f64 v[44:45], v[44:45], v[42:43]
	v_fma_f64 v[44:45], v[46:47], v[40:41], v[44:45]
	s_delay_alu instid0(VALU_DEP_3) | instskip(NEXT) | instid1(VALU_DEP_2)
	v_add_f64 v[46:47], v[30:31], v[83:84]
	v_add_f64 v[44:45], v[32:33], v[44:45]
	ds_load_b128 v[30:33], v51 offset:8192
	s_waitcnt lgkmcnt(0)
	v_mul_f64 v[83:84], v[32:33], v[79:80]
	v_mul_f64 v[79:80], v[30:31], v[79:80]
	s_delay_alu instid0(VALU_DEP_2) | instskip(NEXT) | instid1(VALU_DEP_2)
	v_fma_f64 v[83:84], v[30:31], v[77:78], -v[83:84]
	v_fma_f64 v[77:78], v[32:33], v[77:78], v[79:80]
	s_delay_alu instid0(VALU_DEP_2) | instskip(SKIP_1) | instid1(VALU_DEP_3)
	v_add_f64 v[79:80], v[36:37], v[83:84]
	v_mul_f64 v[36:37], v[32:33], v[42:43]
	v_add_f64 v[77:78], v[38:39], v[77:78]
	s_delay_alu instid0(VALU_DEP_2) | instskip(SKIP_1) | instid1(VALU_DEP_1)
	v_fma_f64 v[36:37], v[30:31], v[40:41], -v[36:37]
	v_mul_f64 v[30:31], v[30:31], v[42:43]
	v_fma_f64 v[30:31], v[32:33], v[40:41], v[30:31]
	s_delay_alu instid0(VALU_DEP_3) | instskip(NEXT) | instid1(VALU_DEP_2)
	v_add_f64 v[40:41], v[34:35], v[36:37]
	v_add_f64 v[42:43], v[28:29], v[30:31]
	ds_load_b128 v[28:31], v49 offset:512
	s_waitcnt lgkmcnt(0)
	v_mul_f64 v[32:33], v[67:68], v[30:31]
	v_mul_f64 v[34:35], v[65:66], v[30:31]
	s_delay_alu instid0(VALU_DEP_2) | instskip(NEXT) | instid1(VALU_DEP_2)
	v_fma_f64 v[32:33], v[65:66], v[28:29], -v[32:33]
	v_fma_f64 v[34:35], v[67:68], v[28:29], v[34:35]
	s_delay_alu instid0(VALU_DEP_2) | instskip(NEXT) | instid1(VALU_DEP_2)
	v_add_f64 v[2:3], v[2:3], v[32:33]
	v_add_f64 v[81:82], v[81:82], v[34:35]
	ds_load_b128 v[32:35], v49 offset:768
	s_waitcnt lgkmcnt(0)
	v_mul_f64 v[36:37], v[67:68], v[34:35]
	v_mul_f64 v[38:39], v[65:66], v[34:35]
	s_delay_alu instid0(VALU_DEP_2) | instskip(NEXT) | instid1(VALU_DEP_2)
	v_fma_f64 v[36:37], v[65:66], v[32:33], -v[36:37]
	v_fma_f64 v[38:39], v[67:68], v[32:33], v[38:39]
	s_delay_alu instid0(VALU_DEP_2) | instskip(NEXT) | instid1(VALU_DEP_2)
	v_add_f64 v[46:47], v[46:47], v[36:37]
	v_add_f64 v[44:45], v[44:45], v[38:39]
	ds_load_b128 v[36:39], v51 offset:8208
	s_waitcnt lgkmcnt(0)
	v_mul_f64 v[65:66], v[38:39], v[30:31]
	v_mul_f64 v[30:31], v[36:37], v[30:31]
	s_delay_alu instid0(VALU_DEP_2) | instskip(NEXT) | instid1(VALU_DEP_2)
	v_fma_f64 v[65:66], v[36:37], v[28:29], -v[65:66]
	v_fma_f64 v[28:29], v[38:39], v[28:29], v[30:31]
	v_mul_f64 v[30:31], v[36:37], v[34:35]
	s_delay_alu instid0(VALU_DEP_3) | instskip(NEXT) | instid1(VALU_DEP_3)
	v_add_f64 v[65:66], v[79:80], v[65:66]
	v_add_f64 v[67:68], v[77:78], v[28:29]
	v_mul_f64 v[28:29], v[38:39], v[34:35]
	s_delay_alu instid0(VALU_DEP_4) | instskip(NEXT) | instid1(VALU_DEP_2)
	v_fma_f64 v[30:31], v[38:39], v[32:33], v[30:31]
	v_fma_f64 v[28:29], v[36:37], v[32:33], -v[28:29]
	s_delay_alu instid0(VALU_DEP_2) | instskip(NEXT) | instid1(VALU_DEP_2)
	v_add_f64 v[42:43], v[42:43], v[30:31]
	v_add_f64 v[40:41], v[40:41], v[28:29]
	ds_load_b128 v[28:31], v49 offset:1024
	s_waitcnt lgkmcnt(0)
	v_mul_f64 v[32:33], v[71:72], v[30:31]
	v_mul_f64 v[34:35], v[69:70], v[30:31]
	s_delay_alu instid0(VALU_DEP_2) | instskip(NEXT) | instid1(VALU_DEP_2)
	v_fma_f64 v[32:33], v[69:70], v[28:29], -v[32:33]
	v_fma_f64 v[34:35], v[71:72], v[28:29], v[34:35]
	s_delay_alu instid0(VALU_DEP_2) | instskip(NEXT) | instid1(VALU_DEP_2)
	v_add_f64 v[2:3], v[2:3], v[32:33]
	v_add_f64 v[77:78], v[81:82], v[34:35]
	ds_load_b128 v[32:35], v49 offset:1280
	s_waitcnt lgkmcnt(0)
	v_mul_f64 v[36:37], v[71:72], v[34:35]
	v_mul_f64 v[38:39], v[69:70], v[34:35]
	s_delay_alu instid0(VALU_DEP_2) | instskip(NEXT) | instid1(VALU_DEP_2)
	v_fma_f64 v[36:37], v[69:70], v[32:33], -v[36:37]
	v_fma_f64 v[38:39], v[71:72], v[32:33], v[38:39]
	s_delay_alu instid0(VALU_DEP_2) | instskip(NEXT) | instid1(VALU_DEP_2)
	v_add_f64 v[46:47], v[46:47], v[36:37]
	v_add_f64 v[44:45], v[44:45], v[38:39]
	ds_load_b128 v[36:39], v51 offset:8224
	s_waitcnt lgkmcnt(0)
	v_mul_f64 v[69:70], v[38:39], v[30:31]
	v_mul_f64 v[30:31], v[36:37], v[30:31]
	s_delay_alu instid0(VALU_DEP_2) | instskip(NEXT) | instid1(VALU_DEP_2)
	v_fma_f64 v[69:70], v[36:37], v[28:29], -v[69:70]
	v_fma_f64 v[28:29], v[38:39], v[28:29], v[30:31]
	v_mul_f64 v[30:31], v[36:37], v[34:35]
	s_delay_alu instid0(VALU_DEP_3) | instskip(NEXT) | instid1(VALU_DEP_3)
	v_add_f64 v[65:66], v[65:66], v[69:70]
	v_add_f64 v[67:68], v[67:68], v[28:29]
	v_mul_f64 v[28:29], v[38:39], v[34:35]
	s_delay_alu instid0(VALU_DEP_4) | instskip(NEXT) | instid1(VALU_DEP_2)
	v_fma_f64 v[30:31], v[38:39], v[32:33], v[30:31]
	v_fma_f64 v[28:29], v[36:37], v[32:33], -v[28:29]
	s_delay_alu instid0(VALU_DEP_2) | instskip(NEXT) | instid1(VALU_DEP_2)
	;; [unrolled: 38-line block ×3, first 2 shown]
	v_add_f64 v[42:43], v[42:43], v[30:31]
	v_add_f64 v[40:41], v[40:41], v[28:29]
	ds_load_b128 v[28:31], v51 offset:64
	ds_load_b128 v[32:35], v49 offset:2048
	s_waitcnt lgkmcnt(0)
	v_mul_f64 v[36:37], v[30:31], v[34:35]
	v_mul_f64 v[38:39], v[28:29], v[34:35]
	s_delay_alu instid0(VALU_DEP_2) | instskip(NEXT) | instid1(VALU_DEP_2)
	v_fma_f64 v[36:37], v[28:29], v[32:33], -v[36:37]
	v_fma_f64 v[38:39], v[30:31], v[32:33], v[38:39]
	s_delay_alu instid0(VALU_DEP_2) | instskip(NEXT) | instid1(VALU_DEP_2)
	v_add_f64 v[2:3], v[2:3], v[36:37]
	v_add_f64 v[69:70], v[69:70], v[38:39]
	ds_load_b128 v[36:39], v49 offset:2304
	s_waitcnt lgkmcnt(0)
	v_mul_f64 v[71:72], v[30:31], v[38:39]
	s_delay_alu instid0(VALU_DEP_1) | instskip(SKIP_1) | instid1(VALU_DEP_2)
	v_fma_f64 v[71:72], v[28:29], v[36:37], -v[71:72]
	v_mul_f64 v[28:29], v[28:29], v[38:39]
	v_add_f64 v[46:47], v[46:47], v[71:72]
	s_delay_alu instid0(VALU_DEP_2) | instskip(NEXT) | instid1(VALU_DEP_1)
	v_fma_f64 v[28:29], v[30:31], v[36:37], v[28:29]
	v_add_f64 v[44:45], v[44:45], v[28:29]
	ds_load_b128 v[28:31], v51 offset:8256
	s_waitcnt lgkmcnt(0)
	v_mul_f64 v[71:72], v[30:31], v[34:35]
	v_mul_f64 v[34:35], v[28:29], v[34:35]
	s_delay_alu instid0(VALU_DEP_2) | instskip(NEXT) | instid1(VALU_DEP_2)
	v_fma_f64 v[71:72], v[28:29], v[32:33], -v[71:72]
	v_fma_f64 v[32:33], v[30:31], v[32:33], v[34:35]
	s_delay_alu instid0(VALU_DEP_2) | instskip(NEXT) | instid1(VALU_DEP_2)
	v_add_f64 v[65:66], v[65:66], v[71:72]
	v_add_f64 v[67:68], v[67:68], v[32:33]
	v_mul_f64 v[32:33], v[30:31], v[38:39]
	s_delay_alu instid0(VALU_DEP_1) | instskip(SKIP_1) | instid1(VALU_DEP_2)
	v_fma_f64 v[32:33], v[28:29], v[36:37], -v[32:33]
	v_mul_f64 v[28:29], v[28:29], v[38:39]
	v_add_f64 v[40:41], v[40:41], v[32:33]
	s_delay_alu instid0(VALU_DEP_2) | instskip(NEXT) | instid1(VALU_DEP_1)
	v_fma_f64 v[28:29], v[30:31], v[36:37], v[28:29]
	v_add_f64 v[42:43], v[42:43], v[28:29]
	ds_load_b128 v[28:31], v51 offset:80
	ds_load_b128 v[32:35], v49 offset:2560
	s_waitcnt lgkmcnt(0)
	v_mul_f64 v[36:37], v[30:31], v[34:35]
	v_mul_f64 v[38:39], v[28:29], v[34:35]
	s_delay_alu instid0(VALU_DEP_2) | instskip(NEXT) | instid1(VALU_DEP_2)
	v_fma_f64 v[36:37], v[28:29], v[32:33], -v[36:37]
	v_fma_f64 v[38:39], v[30:31], v[32:33], v[38:39]
	s_delay_alu instid0(VALU_DEP_2) | instskip(NEXT) | instid1(VALU_DEP_2)
	v_add_f64 v[2:3], v[2:3], v[36:37]
	v_add_f64 v[69:70], v[69:70], v[38:39]
	ds_load_b128 v[36:39], v49 offset:2816
	s_waitcnt lgkmcnt(0)
	v_mul_f64 v[71:72], v[30:31], v[38:39]
	s_delay_alu instid0(VALU_DEP_1) | instskip(SKIP_1) | instid1(VALU_DEP_2)
	v_fma_f64 v[71:72], v[28:29], v[36:37], -v[71:72]
	v_mul_f64 v[28:29], v[28:29], v[38:39]
	v_add_f64 v[46:47], v[46:47], v[71:72]
	s_delay_alu instid0(VALU_DEP_2) | instskip(NEXT) | instid1(VALU_DEP_1)
	v_fma_f64 v[28:29], v[30:31], v[36:37], v[28:29]
	v_add_f64 v[44:45], v[44:45], v[28:29]
	ds_load_b128 v[28:31], v51 offset:8272
	s_waitcnt lgkmcnt(0)
	v_mul_f64 v[71:72], v[30:31], v[34:35]
	v_mul_f64 v[34:35], v[28:29], v[34:35]
	s_delay_alu instid0(VALU_DEP_2) | instskip(NEXT) | instid1(VALU_DEP_2)
	v_fma_f64 v[71:72], v[28:29], v[32:33], -v[71:72]
	v_fma_f64 v[32:33], v[30:31], v[32:33], v[34:35]
	s_delay_alu instid0(VALU_DEP_2) | instskip(NEXT) | instid1(VALU_DEP_2)
	v_add_f64 v[65:66], v[65:66], v[71:72]
	v_add_f64 v[67:68], v[67:68], v[32:33]
	v_mul_f64 v[32:33], v[30:31], v[38:39]
	s_delay_alu instid0(VALU_DEP_1) | instskip(SKIP_1) | instid1(VALU_DEP_2)
	v_fma_f64 v[32:33], v[28:29], v[36:37], -v[32:33]
	v_mul_f64 v[28:29], v[28:29], v[38:39]
	v_add_f64 v[40:41], v[40:41], v[32:33]
	s_delay_alu instid0(VALU_DEP_2) | instskip(NEXT) | instid1(VALU_DEP_1)
	v_fma_f64 v[28:29], v[30:31], v[36:37], v[28:29]
	;; [unrolled: 39-line block ×27, first 2 shown]
	v_add_f64 v[81:82], v[42:43], v[28:29]
	ds_load_b128 v[28:31], v51 offset:496
	ds_load_b128 v[34:37], v49 offset:15872
	;; [unrolled: 1-line block ×4, first 2 shown]
	s_waitcnt lgkmcnt(0)
	s_barrier
	buffer_gl0_inv
	v_mul_f64 v[32:33], v[30:31], v[36:37]
	v_mul_f64 v[38:39], v[28:29], v[36:37]
	s_delay_alu instid0(VALU_DEP_2) | instskip(NEXT) | instid1(VALU_DEP_2)
	v_fma_f64 v[32:33], v[28:29], v[34:35], -v[32:33]
	v_fma_f64 v[38:39], v[30:31], v[34:35], v[38:39]
	s_delay_alu instid0(VALU_DEP_2) | instskip(SKIP_1) | instid1(VALU_DEP_3)
	v_add_f64 v[40:41], v[2:3], v[32:33]
	v_mul_f64 v[2:3], v[30:31], v[46:47]
	v_add_f64 v[42:43], v[69:70], v[38:39]
	s_delay_alu instid0(VALU_DEP_2) | instskip(SKIP_1) | instid1(VALU_DEP_1)
	v_fma_f64 v[2:3], v[28:29], v[44:45], -v[2:3]
	v_mul_f64 v[28:29], v[28:29], v[46:47]
	v_fma_f64 v[28:29], v[30:31], v[44:45], v[28:29]
	s_delay_alu instid0(VALU_DEP_3) | instskip(SKIP_1) | instid1(VALU_DEP_3)
	v_add_f64 v[30:31], v[71:72], v[2:3]
	v_mul_f64 v[2:3], v[67:68], v[36:37]
	v_add_f64 v[32:33], v[73:74], v[28:29]
	v_mul_f64 v[28:29], v[65:66], v[36:37]
	s_delay_alu instid0(VALU_DEP_3) | instskip(NEXT) | instid1(VALU_DEP_2)
	v_fma_f64 v[2:3], v[65:66], v[34:35], -v[2:3]
	v_fma_f64 v[28:29], v[67:68], v[34:35], v[28:29]
	s_delay_alu instid0(VALU_DEP_2) | instskip(SKIP_1) | instid1(VALU_DEP_3)
	v_add_f64 v[36:37], v[75:76], v[2:3]
	v_mul_f64 v[2:3], v[67:68], v[46:47]
	v_add_f64 v[38:39], v[77:78], v[28:29]
	v_mul_f64 v[28:29], v[65:66], v[46:47]
	s_delay_alu instid0(VALU_DEP_3) | instskip(NEXT) | instid1(VALU_DEP_2)
	v_fma_f64 v[2:3], v[65:66], v[44:45], -v[2:3]
	v_fma_f64 v[28:29], v[67:68], v[44:45], v[28:29]
	s_delay_alu instid0(VALU_DEP_2) | instskip(NEXT) | instid1(VALU_DEP_2)
	v_add_f64 v[34:35], v[79:80], v[2:3]
	v_add_f64 v[28:29], v[81:82], v[28:29]
	s_cbranch_scc1 .LBB113_55
.LBB113_7:                              ;   Parent Loop BB113_4 Depth=1
                                        ; =>  This Inner Loop Header: Depth=2
	v_add_co_u32 v46, s5, v4, s18
	s_delay_alu instid0(VALU_DEP_1) | instskip(SKIP_1) | instid1(VALU_DEP_2)
	v_add_co_ci_u32_e64 v47, s5, s19, v5, s5
	v_cmp_eq_u64_e64 s7, s[18:19], v[12:13]
	v_cmp_le_i64_e64 s6, s[12:13], v[46:47]
	v_cmp_lt_i64_e64 s5, v[46:47], v[6:7]
	s_delay_alu instid0(VALU_DEP_3) | instskip(NEXT) | instid1(VALU_DEP_1)
	s_and_b32 s20, s42, s7
	s_or_b32 s7, s6, s5
	s_delay_alu instid0(SALU_CYCLE_1) | instskip(SKIP_1) | instid1(VALU_DEP_1)
	s_or_b32 s8, s7, s20
	v_add_co_u32 v44, s7, v59, s16
	v_add_co_ci_u32_e64 v45, s7, s17, v60, s7
	s_or_b32 s7, s0, s8
	s_delay_alu instid0(SALU_CYCLE_1) | instskip(NEXT) | instid1(SALU_CYCLE_1)
	s_xor_b32 s7, s7, -1
	s_and_saveexec_b32 s8, s7
	s_delay_alu instid0(SALU_CYCLE_1)
	s_xor_b32 s7, exec_lo, s8
	s_cbranch_execz .LBB113_9
; %bb.8:                                ;   in Loop: Header=BB113_7 Depth=2
	global_load_b128 v[65:68], v[44:45], off offset:-256
	s_waitcnt vmcnt(0)
	ds_store_2addr_b64 v50, v[65:66], v[67:68] offset1:1
.LBB113_9:                              ;   in Loop: Header=BB113_7 Depth=2
	s_or_saveexec_b32 s7, s7
	s_xor_b32 s15, s20, -1
	s_xor_b32 exec_lo, exec_lo, s7
	s_cbranch_execz .LBB113_15
; %bb.10:                               ;   in Loop: Header=BB113_7 Depth=2
	s_and_saveexec_b32 s8, s15
	s_delay_alu instid0(SALU_CYCLE_1)
	s_xor_b32 s8, exec_lo, s8
	s_cbranch_execz .LBB113_12
; %bb.11:                               ;   in Loop: Header=BB113_7 Depth=2
	v_mov_b32_e32 v65, v0
	v_mov_b32_e32 v66, v0
	;; [unrolled: 1-line block ×4, first 2 shown]
	ds_store_b128 v50, v[65:68]
.LBB113_12:                             ;   in Loop: Header=BB113_7 Depth=2
	s_and_not1_saveexec_b32 s8, s8
	s_cbranch_execz .LBB113_14
; %bb.13:                               ;   in Loop: Header=BB113_7 Depth=2
	v_mov_b32_e32 v2, v0
	v_mov_b32_e32 v3, v0
	ds_store_b128 v50, v[0:3]
.LBB113_14:                             ;   in Loop: Header=BB113_7 Depth=2
	s_or_b32 exec_lo, exec_lo, s8
.LBB113_15:                             ;   in Loop: Header=BB113_7 Depth=2
	s_delay_alu instid0(SALU_CYCLE_1) | instskip(SKIP_2) | instid1(VALU_DEP_2)
	s_or_b32 exec_lo, exec_lo, s7
	v_cmp_eq_u64_e64 s7, s[18:19], v[14:15]
	v_cmp_gt_i64_e64 s8, v[10:11], v[46:47]
	s_and_b32 s7, s42, s7
	s_delay_alu instid0(VALU_DEP_1) | instskip(NEXT) | instid1(SALU_CYCLE_1)
	s_or_b32 s6, s6, s8
	s_or_b32 s6, s6, s7
	s_delay_alu instid0(SALU_CYCLE_1) | instskip(NEXT) | instid1(SALU_CYCLE_1)
	s_or_b32 s6, s1, s6
	s_xor_b32 s6, s6, -1
	s_delay_alu instid0(SALU_CYCLE_1) | instskip(NEXT) | instid1(SALU_CYCLE_1)
	s_and_saveexec_b32 s8, s6
	s_xor_b32 s8, exec_lo, s8
	s_cbranch_execz .LBB113_17
; %bb.16:                               ;   in Loop: Header=BB113_7 Depth=2
	v_add_co_u32 v2, s6, v61, s16
	s_delay_alu instid0(VALU_DEP_1)
	v_add_co_ci_u32_e64 v3, s6, s17, v62, s6
	global_load_b128 v[65:68], v[2:3], off
	s_waitcnt vmcnt(0)
	ds_store_2addr_b64 v52, v[65:66], v[67:68] offset1:1
.LBB113_17:                             ;   in Loop: Header=BB113_7 Depth=2
	s_and_not1_saveexec_b32 s6, s8
	s_cbranch_execz .LBB113_23
; %bb.18:                               ;   in Loop: Header=BB113_7 Depth=2
	s_xor_b32 s7, s7, -1
	s_delay_alu instid0(SALU_CYCLE_1) | instskip(NEXT) | instid1(SALU_CYCLE_1)
	s_and_saveexec_b32 s8, s7
	s_xor_b32 s7, exec_lo, s8
	s_cbranch_execz .LBB113_20
; %bb.19:                               ;   in Loop: Header=BB113_7 Depth=2
	v_mov_b32_e32 v65, v0
	v_mov_b32_e32 v66, v0
	;; [unrolled: 1-line block ×4, first 2 shown]
	ds_store_b128 v52, v[65:68]
.LBB113_20:                             ;   in Loop: Header=BB113_7 Depth=2
	s_and_not1_saveexec_b32 s7, s7
	s_cbranch_execz .LBB113_22
; %bb.21:                               ;   in Loop: Header=BB113_7 Depth=2
	v_mov_b32_e32 v2, v0
	v_mov_b32_e32 v3, v0
	ds_store_b128 v52, v[0:3]
.LBB113_22:                             ;   in Loop: Header=BB113_7 Depth=2
	s_or_b32 exec_lo, exec_lo, s7
.LBB113_23:                             ;   in Loop: Header=BB113_7 Depth=2
	s_delay_alu instid0(SALU_CYCLE_1) | instskip(SKIP_1) | instid1(VALU_DEP_1)
	s_or_b32 exec_lo, exec_lo, s6
	v_add_co_u32 v2, s6, v46, 16
	v_add_co_ci_u32_e64 v3, s6, 0, v47, s6
	v_cmp_eq_u64_e64 s7, s[18:19], v[16:17]
	s_delay_alu instid0(VALU_DEP_2) | instskip(SKIP_1) | instid1(VALU_DEP_3)
	v_cmp_le_i64_e64 s6, s[12:13], v[2:3]
	v_cmp_lt_i64_e64 s8, v[2:3], v[6:7]
	s_and_b32 s21, s42, s7
	s_delay_alu instid0(VALU_DEP_1) | instskip(NEXT) | instid1(SALU_CYCLE_1)
	s_or_b32 s7, s6, s8
	s_or_b32 s7, s7, s21
	s_delay_alu instid0(SALU_CYCLE_1) | instskip(NEXT) | instid1(SALU_CYCLE_1)
	s_or_b32 s7, s0, s7
	s_xor_b32 s7, s7, -1
	s_delay_alu instid0(SALU_CYCLE_1) | instskip(NEXT) | instid1(SALU_CYCLE_1)
	s_and_saveexec_b32 s8, s7
	s_xor_b32 s7, exec_lo, s8
	s_cbranch_execz .LBB113_25
; %bb.24:                               ;   in Loop: Header=BB113_7 Depth=2
	global_load_b128 v[44:47], v[44:45], off
	s_waitcnt vmcnt(0)
	ds_store_2addr_b64 v53, v[44:45], v[46:47] offset1:1
.LBB113_25:                             ;   in Loop: Header=BB113_7 Depth=2
	s_and_not1_saveexec_b32 s7, s7
	s_cbranch_execz .LBB113_31
; %bb.26:                               ;   in Loop: Header=BB113_7 Depth=2
	s_xor_b32 s8, s21, -1
	s_delay_alu instid0(SALU_CYCLE_1) | instskip(NEXT) | instid1(SALU_CYCLE_1)
	s_and_saveexec_b32 s21, s8
	s_xor_b32 s8, exec_lo, s21
	s_cbranch_execz .LBB113_28
; %bb.27:                               ;   in Loop: Header=BB113_7 Depth=2
	v_mov_b32_e32 v44, v0
	v_mov_b32_e32 v45, v0
	;; [unrolled: 1-line block ×4, first 2 shown]
	ds_store_b128 v53, v[44:47]
.LBB113_28:                             ;   in Loop: Header=BB113_7 Depth=2
	s_and_not1_saveexec_b32 s8, s8
	s_cbranch_execz .LBB113_30
; %bb.29:                               ;   in Loop: Header=BB113_7 Depth=2
	v_mov_b32_e32 v2, v0
	v_mov_b32_e32 v3, v0
	ds_store_b128 v53, v[0:3]
.LBB113_30:                             ;   in Loop: Header=BB113_7 Depth=2
	s_or_b32 exec_lo, exec_lo, s8
.LBB113_31:                             ;   in Loop: Header=BB113_7 Depth=2
	s_delay_alu instid0(SALU_CYCLE_1) | instskip(SKIP_1) | instid1(SALU_CYCLE_1)
	s_or_b32 exec_lo, exec_lo, s7
	s_or_b32 s5, s6, s5
	s_or_b32 s5, s5, s20
	s_delay_alu instid0(SALU_CYCLE_1) | instskip(NEXT) | instid1(SALU_CYCLE_1)
	s_or_b32 s5, s1, s5
	s_xor_b32 s5, s5, -1
	s_delay_alu instid0(SALU_CYCLE_1) | instskip(NEXT) | instid1(SALU_CYCLE_1)
	s_and_saveexec_b32 s6, s5
	s_xor_b32 s6, exec_lo, s6
	s_cbranch_execz .LBB113_33
; %bb.32:                               ;   in Loop: Header=BB113_7 Depth=2
	v_add_co_u32 v2, s5, v61, s16
	s_delay_alu instid0(VALU_DEP_1)
	v_add_co_ci_u32_e64 v3, s5, s17, v62, s5
	global_load_b128 v[44:47], v[2:3], off offset:256
	s_waitcnt vmcnt(0)
	ds_store_2addr_b64 v55, v[44:45], v[46:47] offset1:1
.LBB113_33:                             ;   in Loop: Header=BB113_7 Depth=2
	s_and_not1_saveexec_b32 s5, s6
	s_cbranch_execz .LBB113_39
; %bb.34:                               ;   in Loop: Header=BB113_7 Depth=2
	s_and_saveexec_b32 s6, s15
	s_delay_alu instid0(SALU_CYCLE_1)
	s_xor_b32 s6, exec_lo, s6
	s_cbranch_execz .LBB113_36
; %bb.35:                               ;   in Loop: Header=BB113_7 Depth=2
	v_mov_b32_e32 v44, v0
	v_mov_b32_e32 v45, v0
	;; [unrolled: 1-line block ×4, first 2 shown]
	ds_store_b128 v55, v[44:47]
.LBB113_36:                             ;   in Loop: Header=BB113_7 Depth=2
	s_and_not1_saveexec_b32 s6, s6
	s_cbranch_execz .LBB113_38
; %bb.37:                               ;   in Loop: Header=BB113_7 Depth=2
	v_mov_b32_e32 v2, v0
	v_mov_b32_e32 v3, v0
	ds_store_b128 v55, v[0:3]
.LBB113_38:                             ;   in Loop: Header=BB113_7 Depth=2
	s_or_b32 exec_lo, exec_lo, s6
.LBB113_39:                             ;   in Loop: Header=BB113_7 Depth=2
	s_delay_alu instid0(SALU_CYCLE_1) | instskip(SKIP_1) | instid1(VALU_DEP_1)
	s_or_b32 exec_lo, exec_lo, s5
	v_add_co_u32 v2, s5, v6, s18
	v_add_co_ci_u32_e64 v3, s5, s19, v7, s5
	s_delay_alu instid0(VALU_DEP_1) | instskip(NEXT) | instid1(VALU_DEP_1)
	v_cmp_gt_i64_e64 s5, s[12:13], v[2:3]
	s_and_b32 s6, vcc_lo, s5
	s_delay_alu instid0(SALU_CYCLE_1) | instskip(NEXT) | instid1(SALU_CYCLE_1)
	s_xor_b32 s6, s6, -1
	s_and_saveexec_b32 s7, s6
	s_delay_alu instid0(SALU_CYCLE_1)
	s_xor_b32 s6, exec_lo, s7
	s_cbranch_execz .LBB113_41
; %bb.40:                               ;   in Loop: Header=BB113_7 Depth=2
	v_mov_b32_e32 v44, v0
	v_mov_b32_e32 v45, v0
	;; [unrolled: 1-line block ×4, first 2 shown]
	ds_store_b128 v54, v[44:47]
.LBB113_41:                             ;   in Loop: Header=BB113_7 Depth=2
	s_or_saveexec_b32 s7, s6
	v_add_co_u32 v44, s6, v24, s16
	s_delay_alu instid0(VALU_DEP_1)
	v_add_co_ci_u32_e64 v45, s6, s17, v25, s6
	s_xor_b32 exec_lo, exec_lo, s7
	s_cbranch_execz .LBB113_43
; %bb.42:                               ;   in Loop: Header=BB113_7 Depth=2
	global_load_b128 v[65:68], v[44:45], off offset:-256
	s_waitcnt vmcnt(0)
	ds_store_2addr_b64 v54, v[65:66], v[67:68] offset1:1
.LBB113_43:                             ;   in Loop: Header=BB113_7 Depth=2
	s_or_b32 exec_lo, exec_lo, s7
	v_cmp_gt_i64_e64 s6, s[34:35], v[2:3]
	s_delay_alu instid0(VALU_DEP_1) | instskip(NEXT) | instid1(SALU_CYCLE_1)
	s_and_b32 s7, vcc_lo, s6
	s_xor_b32 s7, s7, -1
	s_delay_alu instid0(SALU_CYCLE_1) | instskip(NEXT) | instid1(SALU_CYCLE_1)
	s_and_saveexec_b32 s8, s7
	s_xor_b32 s7, exec_lo, s8
	s_cbranch_execz .LBB113_45
; %bb.44:                               ;   in Loop: Header=BB113_7 Depth=2
	v_mov_b32_e32 v44, v0
	v_mov_b32_e32 v45, v0
	;; [unrolled: 1-line block ×4, first 2 shown]
	ds_store_b128 v56, v[44:47]
                                        ; implicit-def: $vgpr44_vgpr45
.LBB113_45:                             ;   in Loop: Header=BB113_7 Depth=2
	s_and_not1_saveexec_b32 s7, s7
	s_cbranch_execz .LBB113_47
; %bb.46:                               ;   in Loop: Header=BB113_7 Depth=2
	global_load_b128 v[44:47], v[44:45], off
	s_waitcnt vmcnt(0)
	ds_store_2addr_b64 v56, v[44:45], v[46:47] offset1:1
.LBB113_47:                             ;   in Loop: Header=BB113_7 Depth=2
	s_or_b32 exec_lo, exec_lo, s7
	s_and_b32 s5, s4, s5
	s_delay_alu instid0(SALU_CYCLE_1) | instskip(NEXT) | instid1(SALU_CYCLE_1)
	s_xor_b32 s5, s5, -1
	s_and_saveexec_b32 s7, s5
	s_delay_alu instid0(SALU_CYCLE_1)
	s_xor_b32 s5, exec_lo, s7
	s_cbranch_execz .LBB113_49
; %bb.48:                               ;   in Loop: Header=BB113_7 Depth=2
	v_mov_b32_e32 v44, v0
	v_mov_b32_e32 v45, v0
	;; [unrolled: 1-line block ×4, first 2 shown]
	ds_store_b128 v57, v[44:47]
.LBB113_49:                             ;   in Loop: Header=BB113_7 Depth=2
	s_and_not1_saveexec_b32 s7, s5
	s_cbranch_execz .LBB113_51
; %bb.50:                               ;   in Loop: Header=BB113_7 Depth=2
	v_add_co_u32 v2, s5, v26, s16
	s_delay_alu instid0(VALU_DEP_1)
	v_add_co_ci_u32_e64 v3, s5, s17, v27, s5
	global_load_b128 v[44:47], v[2:3], off offset:-256
	s_waitcnt vmcnt(0)
	ds_store_2addr_b64 v57, v[44:45], v[46:47] offset1:1
.LBB113_51:                             ;   in Loop: Header=BB113_7 Depth=2
	s_or_b32 exec_lo, exec_lo, s7
	s_and_b32 s5, s4, s6
	s_delay_alu instid0(SALU_CYCLE_1) | instskip(NEXT) | instid1(SALU_CYCLE_1)
	s_xor_b32 s5, s5, -1
	s_and_saveexec_b32 s6, s5
	s_delay_alu instid0(SALU_CYCLE_1)
	s_xor_b32 s5, exec_lo, s6
	s_cbranch_execz .LBB113_53
; %bb.52:                               ;   in Loop: Header=BB113_7 Depth=2
	v_mov_b32_e32 v44, v0
	v_mov_b32_e32 v45, v0
	;; [unrolled: 1-line block ×4, first 2 shown]
	ds_store_b128 v58, v[44:47]
.LBB113_53:                             ;   in Loop: Header=BB113_7 Depth=2
	s_and_not1_saveexec_b32 s6, s5
	s_cbranch_execz .LBB113_6
; %bb.54:                               ;   in Loop: Header=BB113_7 Depth=2
	v_add_co_u32 v2, s5, v26, s16
	s_delay_alu instid0(VALU_DEP_1)
	v_add_co_ci_u32_e64 v3, s5, s17, v27, s5
	global_load_b128 v[44:47], v[2:3], off
	s_waitcnt vmcnt(0)
	ds_store_2addr_b64 v58, v[44:45], v[46:47] offset1:1
	s_branch .LBB113_6
.LBB113_55:                             ;   in Loop: Header=BB113_4 Depth=1
	v_mul_lo_u32 v23, v64, s40
	v_mul_lo_u32 v24, v63, s41
	v_mad_u64_u32 v[2:3], null, v63, s40, 0
	v_cmp_gt_i32_e32 vcc_lo, s10, v63
	s_delay_alu instid0(VALU_DEP_2) | instskip(NEXT) | instid1(VALU_DEP_1)
	v_add3_u32 v3, v3, v24, v23
	v_lshlrev_b64 v[2:3], 4, v[2:3]
	s_delay_alu instid0(VALU_DEP_1) | instskip(NEXT) | instid1(VALU_DEP_1)
	v_add_co_u32 v2, s4, s36, v2
	v_add_co_ci_u32_e64 v3, s4, s37, v3, s4
	s_and_b32 s4, s2, vcc_lo
	s_delay_alu instid0(SALU_CYCLE_1)
	s_and_saveexec_b32 s5, s4
	s_cbranch_execz .LBB113_57
; %bb.56:                               ;   in Loop: Header=BB113_4 Depth=1
	v_add_co_u32 v44, s4, v2, v18
	s_delay_alu instid0(VALU_DEP_1)
	v_add_co_ci_u32_e64 v45, s4, v3, v19, s4
	v_mul_f64 v[46:47], s[46:47], v[42:43]
	v_mul_f64 v[42:43], s[44:45], v[42:43]
	global_load_b128 v[23:26], v[44:45], off
	v_fma_f64 v[46:47], s[44:45], v[40:41], -v[46:47]
	v_fma_f64 v[40:41], s[46:47], v[40:41], v[42:43]
	s_waitcnt vmcnt(0)
	s_delay_alu instid0(VALU_DEP_2) | instskip(NEXT) | instid1(VALU_DEP_2)
	v_add_f64 v[23:24], v[23:24], v[46:47]
	v_add_f64 v[25:26], v[25:26], v[40:41]
	global_store_b128 v[44:45], v[23:26], off
.LBB113_57:                             ;   in Loop: Header=BB113_4 Depth=1
	s_or_b32 exec_lo, exec_lo, s5
	s_and_b32 s5, s3, vcc_lo
	s_delay_alu instid0(SALU_CYCLE_1)
	s_and_saveexec_b32 s4, s5
	s_cbranch_execz .LBB113_59
; %bb.58:                               ;   in Loop: Header=BB113_4 Depth=1
	v_lshlrev_b64 v[23:24], 4, v[8:9]
	v_mul_f64 v[40:41], s[46:47], v[32:33]
	v_mul_f64 v[32:33], s[44:45], v[32:33]
	s_delay_alu instid0(VALU_DEP_3) | instskip(NEXT) | instid1(VALU_DEP_4)
	v_add_co_u32 v2, vcc_lo, v2, v23
	v_add_co_ci_u32_e32 v3, vcc_lo, v3, v24, vcc_lo
	global_load_b128 v[23:26], v[2:3], off
	v_fma_f64 v[40:41], s[44:45], v[30:31], -v[40:41]
	v_fma_f64 v[30:31], s[46:47], v[30:31], v[32:33]
	s_waitcnt vmcnt(0)
	s_delay_alu instid0(VALU_DEP_2) | instskip(NEXT) | instid1(VALU_DEP_2)
	v_add_f64 v[23:24], v[23:24], v[40:41]
	v_add_f64 v[25:26], v[25:26], v[30:31]
	global_store_b128 v[2:3], v[23:26], off
.LBB113_59:                             ;   in Loop: Header=BB113_4 Depth=1
	s_or_b32 exec_lo, exec_lo, s4
	v_add_nc_u32_e32 v23, 16, v63
	s_delay_alu instid0(VALU_DEP_1) | instskip(SKIP_3) | instid1(VALU_DEP_4)
	v_ashrrev_i32_e32 v24, 31, v23
	v_mul_lo_u32 v25, v23, s41
	v_mad_u64_u32 v[2:3], null, v23, s40, 0
	v_cmp_gt_i32_e32 vcc_lo, s10, v23
	v_mul_lo_u32 v24, v24, s40
	s_delay_alu instid0(VALU_DEP_1) | instskip(NEXT) | instid1(VALU_DEP_1)
	v_add3_u32 v3, v3, v25, v24
	v_lshlrev_b64 v[2:3], 4, v[2:3]
	s_delay_alu instid0(VALU_DEP_1) | instskip(NEXT) | instid1(VALU_DEP_1)
	v_add_co_u32 v2, s4, s36, v2
	v_add_co_ci_u32_e64 v3, s4, s37, v3, s4
	s_and_b32 s4, s2, vcc_lo
	s_delay_alu instid0(SALU_CYCLE_1)
	s_and_saveexec_b32 s5, s4
	s_cbranch_execz .LBB113_61
; %bb.60:                               ;   in Loop: Header=BB113_4 Depth=1
	v_add_co_u32 v30, s4, v2, v18
	s_delay_alu instid0(VALU_DEP_1)
	v_add_co_ci_u32_e64 v31, s4, v3, v19, s4
	v_mul_f64 v[32:33], s[46:47], v[38:39]
	v_mul_f64 v[38:39], s[44:45], v[38:39]
	global_load_b128 v[23:26], v[30:31], off
	v_fma_f64 v[32:33], s[44:45], v[36:37], -v[32:33]
	v_fma_f64 v[36:37], s[46:47], v[36:37], v[38:39]
	s_waitcnt vmcnt(0)
	s_delay_alu instid0(VALU_DEP_2) | instskip(NEXT) | instid1(VALU_DEP_2)
	v_add_f64 v[23:24], v[23:24], v[32:33]
	v_add_f64 v[25:26], v[25:26], v[36:37]
	global_store_b128 v[30:31], v[23:26], off
.LBB113_61:                             ;   in Loop: Header=BB113_4 Depth=1
	s_or_b32 exec_lo, exec_lo, s5
	s_and_b32 s5, s3, vcc_lo
	s_delay_alu instid0(SALU_CYCLE_1)
	s_and_saveexec_b32 s4, s5
	s_cbranch_execz .LBB113_3
; %bb.62:                               ;   in Loop: Header=BB113_4 Depth=1
	v_lshlrev_b64 v[23:24], 4, v[8:9]
	v_mul_f64 v[30:31], s[46:47], v[28:29]
	v_mul_f64 v[27:28], s[44:45], v[28:29]
	s_delay_alu instid0(VALU_DEP_3) | instskip(NEXT) | instid1(VALU_DEP_4)
	v_add_co_u32 v2, vcc_lo, v2, v23
	v_add_co_ci_u32_e32 v3, vcc_lo, v3, v24, vcc_lo
	global_load_b128 v[23:26], v[2:3], off
	v_fma_f64 v[29:30], s[44:45], v[34:35], -v[30:31]
	v_fma_f64 v[27:28], s[46:47], v[34:35], v[27:28]
	s_waitcnt vmcnt(0)
	s_delay_alu instid0(VALU_DEP_2) | instskip(NEXT) | instid1(VALU_DEP_2)
	v_add_f64 v[23:24], v[23:24], v[29:30]
	v_add_f64 v[25:26], v[25:26], v[27:28]
	global_store_b128 v[2:3], v[23:26], off
	s_branch .LBB113_3
.LBB113_63:
	s_nop 0
	s_sendmsg sendmsg(MSG_DEALLOC_VGPRS)
	s_endpgm
	.section	.rodata,"a",@progbits
	.p2align	6, 0x0
	.amdhsa_kernel _ZL30rocblas_trmm_outofplace_kernelI19rocblas_complex_numIdELi32ELi2ELb1ELb0ELb1ELb0ES1_KS1_S1_Ev17rocblas_diagonal_iiT6_lPT7_lllS6_lllPT8_llli
		.amdhsa_group_segment_fixed_size 32768
		.amdhsa_private_segment_fixed_size 0
		.amdhsa_kernarg_size 400
		.amdhsa_user_sgpr_count 13
		.amdhsa_user_sgpr_dispatch_ptr 0
		.amdhsa_user_sgpr_queue_ptr 0
		.amdhsa_user_sgpr_kernarg_segment_ptr 1
		.amdhsa_user_sgpr_dispatch_id 0
		.amdhsa_user_sgpr_private_segment_size 0
		.amdhsa_wavefront_size32 1
		.amdhsa_uses_dynamic_stack 0
		.amdhsa_enable_private_segment 0
		.amdhsa_system_sgpr_workgroup_id_x 1
		.amdhsa_system_sgpr_workgroup_id_y 1
		.amdhsa_system_sgpr_workgroup_id_z 1
		.amdhsa_system_sgpr_workgroup_info 0
		.amdhsa_system_vgpr_workitem_id 1
		.amdhsa_next_free_vgpr 85
		.amdhsa_next_free_sgpr 48
		.amdhsa_reserve_vcc 1
		.amdhsa_float_round_mode_32 0
		.amdhsa_float_round_mode_16_64 0
		.amdhsa_float_denorm_mode_32 3
		.amdhsa_float_denorm_mode_16_64 3
		.amdhsa_dx10_clamp 1
		.amdhsa_ieee_mode 1
		.amdhsa_fp16_overflow 0
		.amdhsa_workgroup_processor_mode 1
		.amdhsa_memory_ordered 1
		.amdhsa_forward_progress 0
		.amdhsa_shared_vgpr_count 0
		.amdhsa_exception_fp_ieee_invalid_op 0
		.amdhsa_exception_fp_denorm_src 0
		.amdhsa_exception_fp_ieee_div_zero 0
		.amdhsa_exception_fp_ieee_overflow 0
		.amdhsa_exception_fp_ieee_underflow 0
		.amdhsa_exception_fp_ieee_inexact 0
		.amdhsa_exception_int_div_zero 0
	.end_amdhsa_kernel
	.section	.text._ZL30rocblas_trmm_outofplace_kernelI19rocblas_complex_numIdELi32ELi2ELb1ELb0ELb1ELb0ES1_KS1_S1_Ev17rocblas_diagonal_iiT6_lPT7_lllS6_lllPT8_llli,"axG",@progbits,_ZL30rocblas_trmm_outofplace_kernelI19rocblas_complex_numIdELi32ELi2ELb1ELb0ELb1ELb0ES1_KS1_S1_Ev17rocblas_diagonal_iiT6_lPT7_lllS6_lllPT8_llli,comdat
.Lfunc_end113:
	.size	_ZL30rocblas_trmm_outofplace_kernelI19rocblas_complex_numIdELi32ELi2ELb1ELb0ELb1ELb0ES1_KS1_S1_Ev17rocblas_diagonal_iiT6_lPT7_lllS6_lllPT8_llli, .Lfunc_end113-_ZL30rocblas_trmm_outofplace_kernelI19rocblas_complex_numIdELi32ELi2ELb1ELb0ELb1ELb0ES1_KS1_S1_Ev17rocblas_diagonal_iiT6_lPT7_lllS6_lllPT8_llli
                                        ; -- End function
	.section	.AMDGPU.csdata,"",@progbits
; Kernel info:
; codeLenInByte = 11492
; NumSgprs: 50
; NumVgprs: 85
; ScratchSize: 0
; MemoryBound: 0
; FloatMode: 240
; IeeeMode: 1
; LDSByteSize: 32768 bytes/workgroup (compile time only)
; SGPRBlocks: 6
; VGPRBlocks: 10
; NumSGPRsForWavesPerEU: 50
; NumVGPRsForWavesPerEU: 85
; Occupancy: 16
; WaveLimiterHint : 0
; COMPUTE_PGM_RSRC2:SCRATCH_EN: 0
; COMPUTE_PGM_RSRC2:USER_SGPR: 13
; COMPUTE_PGM_RSRC2:TRAP_HANDLER: 0
; COMPUTE_PGM_RSRC2:TGID_X_EN: 1
; COMPUTE_PGM_RSRC2:TGID_Y_EN: 1
; COMPUTE_PGM_RSRC2:TGID_Z_EN: 1
; COMPUTE_PGM_RSRC2:TIDIG_COMP_CNT: 1
	.section	.text._ZL30rocblas_trmm_outofplace_kernelI19rocblas_complex_numIdELi32ELi2ELb1ELb1ELb1ELb0EPKS1_S2_S1_Ev17rocblas_diagonal_iiT6_lPT7_lllS7_lllPT8_llli,"axG",@progbits,_ZL30rocblas_trmm_outofplace_kernelI19rocblas_complex_numIdELi32ELi2ELb1ELb1ELb1ELb0EPKS1_S2_S1_Ev17rocblas_diagonal_iiT6_lPT7_lllS7_lllPT8_llli,comdat
	.globl	_ZL30rocblas_trmm_outofplace_kernelI19rocblas_complex_numIdELi32ELi2ELb1ELb1ELb1ELb0EPKS1_S2_S1_Ev17rocblas_diagonal_iiT6_lPT7_lllS7_lllPT8_llli ; -- Begin function _ZL30rocblas_trmm_outofplace_kernelI19rocblas_complex_numIdELi32ELi2ELb1ELb1ELb1ELb0EPKS1_S2_S1_Ev17rocblas_diagonal_iiT6_lPT7_lllS7_lllPT8_llli
	.p2align	8
	.type	_ZL30rocblas_trmm_outofplace_kernelI19rocblas_complex_numIdELi32ELi2ELb1ELb1ELb1ELb0EPKS1_S2_S1_Ev17rocblas_diagonal_iiT6_lPT7_lllS7_lllPT8_llli,@function
_ZL30rocblas_trmm_outofplace_kernelI19rocblas_complex_numIdELi32ELi2ELb1ELb1ELb1ELb0EPKS1_S2_S1_Ev17rocblas_diagonal_iiT6_lPT7_lllS7_lllPT8_llli: ; @_ZL30rocblas_trmm_outofplace_kernelI19rocblas_complex_numIdELi32ELi2ELb1ELb1ELb1ELb0EPKS1_S2_S1_Ev17rocblas_diagonal_iiT6_lPT7_lllS7_lllPT8_llli
; %bb.0:
	s_load_b512 s[16:31], s[0:1], 0x10
	s_waitcnt lgkmcnt(0)
	s_mul_i32 s3, s15, s19
	s_mul_hi_u32 s4, s15, s18
	s_mul_i32 s2, s15, s18
	s_add_i32 s3, s4, s3
	s_delay_alu instid0(SALU_CYCLE_1) | instskip(NEXT) | instid1(SALU_CYCLE_1)
	s_lshl_b64 s[2:3], s[2:3], 4
	s_add_u32 s2, s16, s2
	s_addc_u32 s3, s17, s3
	s_load_b128 s[16:19], s[2:3], 0x0
	s_waitcnt lgkmcnt(0)
	v_cmp_eq_f64_e64 s2, s[16:17], 0
	v_cmp_eq_f64_e64 s3, s[18:19], 0
	s_delay_alu instid0(VALU_DEP_1) | instskip(NEXT) | instid1(SALU_CYCLE_1)
	s_and_b32 s2, s2, s3
	s_and_b32 vcc_lo, exec_lo, s2
	s_cbranch_vccnz .LBB114_63
; %bb.1:
	s_load_b128 s[8:11], s[0:1], 0x0
	s_waitcnt lgkmcnt(0)
	s_add_i32 s2, s10, -1
	s_delay_alu instid0(SALU_CYCLE_1) | instskip(NEXT) | instid1(SALU_CYCLE_1)
	s_ashr_i32 s3, s2, 31
	s_lshr_b32 s3, s3, 27
	s_delay_alu instid0(SALU_CYCLE_1) | instskip(NEXT) | instid1(SALU_CYCLE_1)
	s_add_i32 s2, s2, s3
	s_ashr_i32 s11, s2, 5
	s_delay_alu instid0(SALU_CYCLE_1)
	s_cmp_gt_i32 s14, s11
	s_cbranch_scc1 .LBB114_63
; %bb.2:
	s_clause 0x2
	s_load_b128 s[44:47], s[0:1], 0x70
	s_load_b32 s33, s[0:1], 0x8c
	s_load_b256 s[36:43], s[0:1], 0x50
	v_and_b32_e32 v47, 0x3ff, v0
	v_bfe_u32 v46, v0, 10, 10
	v_mov_b32_e32 v0, 0
	s_mov_b32 s12, s9
	s_delay_alu instid0(VALU_DEP_3) | instskip(NEXT) | instid1(VALU_DEP_3)
	v_lshlrev_b32_e32 v48, 4, v47
	v_lshlrev_b32_e32 v1, 9, v46
	;; [unrolled: 1-line block ×3, first 2 shown]
	s_delay_alu instid0(VALU_DEP_2) | instskip(SKIP_1) | instid1(VALU_DEP_2)
	v_add_nc_u32_e32 v49, v48, v1
	v_add_nc_u32_e32 v50, 0x4000, v1
	;; [unrolled: 1-line block ×3, first 2 shown]
	s_waitcnt lgkmcnt(0)
	s_mul_i32 s1, s15, s47
	s_mul_hi_u32 s2, s15, s46
	s_mul_i32 s0, s15, s46
	s_add_i32 s1, s2, s1
	s_mul_i32 s4, s39, s15
	s_lshl_b64 s[0:1], s[0:1], 4
	s_mul_hi_u32 s5, s38, s15
	s_add_u32 s2, s40, s0
	s_addc_u32 s3, s41, s1
	s_lshl_b64 s[0:1], s[42:43], 4
	v_add_nc_u32_e32 v52, 0x2000, v49
	s_add_u32 s40, s2, s0
	s_addc_u32 s41, s3, s1
	s_lshl_b32 s42, s13, 5
	s_cmp_gt_i32 s13, -1
	v_add_nc_u32_e32 v4, s42, v47
	s_cselect_b32 s43, -1, 0
	s_cmpk_eq_i32 s8, 0x84
	v_add_nc_u32_e32 v54, 0x2100, v49
	s_cselect_b32 s46, -1, 0
	v_ashrrev_i32_e32 v5, 31, v4
	s_ashr_i32 s13, s9, 31
	s_ashr_i32 s47, s10, 31
	s_add_u32 s34, s9, -16
	v_add_co_u32 v8, vcc_lo, v4, 16
	s_addc_u32 s35, s13, -1
	s_add_i32 s5, s5, s4
	s_mul_i32 s4, s38, s15
	v_add_co_ci_u32_e32 v9, vcc_lo, 0, v5, vcc_lo
	v_sub_co_u32 v10, vcc_lo, v4, v46
	s_lshl_b64 s[4:5], s[4:5], 4
	s_lshl_b64 s[6:7], s[30:31], 4
	v_subrev_co_ci_u32_e32 v11, vcc_lo, 0, v5, vcc_lo
	s_add_u32 s4, s4, s6
	s_addc_u32 s5, s5, s7
	s_add_u32 s4, s28, s4
	v_add_co_u32 v12, vcc_lo, v10, 16
	s_addc_u32 s5, s29, s5
	v_add_co_u32 v1, s4, s4, v48
	v_add_co_ci_u32_e32 v13, vcc_lo, 0, v11, vcc_lo
	v_add_co_ci_u32_e64 v2, null, s5, 0, s4
	v_add_co_u32 v14, vcc_lo, v10, -16
	v_add_co_ci_u32_e32 v15, vcc_lo, -1, v11, vcc_lo
	v_add_co_u32 v16, vcc_lo, 0x100, v1
	s_delay_alu instid0(VALU_DEP_4)
	v_add_co_ci_u32_e32 v17, vcc_lo, 0, v2, vcc_lo
	v_mul_lo_u32 v3, s24, v5
	v_mul_lo_u32 v20, s25, v4
	v_mad_u64_u32 v[1:2], null, s24, v4, 0
	v_lshlrev_b64 v[18:19], 4, v[4:5]
	v_add_nc_u32_e32 v6, 16, v4
	s_mul_i32 s4, s27, s15
	s_mul_hi_u32 s5, s26, s15
	s_lshl_b64 s[6:7], s[22:23], 4
	s_add_i32 s5, s5, s4
	s_delay_alu instid0(VALU_DEP_3) | instskip(SKIP_3) | instid1(VALU_DEP_2)
	v_add3_u32 v2, v2, v3, v20
	s_mul_i32 s4, s26, s15
	v_add_co_u32 v3, vcc_lo, 0x100, v18
	s_lshl_b64 s[4:5], s[4:5], 4
	v_lshlrev_b64 v[1:2], 4, v[1:2]
	v_cmp_le_i32_e64 s0, s9, v4
	v_cmp_gt_i32_e64 s1, s9, v4
	v_cmp_gt_i32_e64 s2, s9, v6
	s_lshl_b64 s[28:29], s[36:37], 4
	s_lshl_b32 s9, s33, 5
	v_add_co_ci_u32_e32 v20, vcc_lo, 0, v19, vcc_lo
	s_add_u32 s4, s6, s4
	s_addc_u32 s5, s7, s5
	v_add_co_u32 v1, vcc_lo, s4, v1
	s_delay_alu instid0(VALU_DEP_2)
	v_mul_lo_u32 v24, s24, v20
	v_mul_lo_u32 v25, s25, v3
	v_mad_u64_u32 v[21:22], null, s24, v3, s[4:5]
	v_add_co_ci_u32_e32 v2, vcc_lo, s5, v2, vcc_lo
	v_add_co_u32 v1, vcc_lo, v1, v23
	v_cmp_le_i64_e64 s3, s[12:13], v[8:9]
	s_delay_alu instid0(VALU_DEP_3) | instskip(SKIP_1) | instid1(VALU_DEP_4)
	v_add_co_ci_u32_e32 v2, vcc_lo, 0, v2, vcc_lo
	v_add3_u32 v3, v25, v22, v24
	v_add_co_u32 v1, vcc_lo, v1, s20
	s_delay_alu instid0(VALU_DEP_3) | instskip(SKIP_1) | instid1(VALU_DEP_4)
	v_add_co_ci_u32_e32 v2, vcc_lo, s21, v2, vcc_lo
	v_add_co_u32 v21, vcc_lo, v21, v23
	v_add_co_ci_u32_e32 v3, vcc_lo, 0, v3, vcc_lo
	s_delay_alu instid0(VALU_DEP_4) | instskip(SKIP_4) | instid1(VALU_DEP_3)
	v_add_co_u32 v58, vcc_lo, 0x100, v1
	v_mov_b32_e32 v1, 0x3ff00000
	v_add_nc_u32_e32 v53, v50, v48
	v_add_co_ci_u32_e32 v59, vcc_lo, 0, v2, vcc_lo
	v_add_co_u32 v60, vcc_lo, s20, v21
	v_add_nc_u32_e32 v55, 0x100, v53
	v_add_nc_u32_e32 v56, 0x2000, v53
	;; [unrolled: 1-line block ×3, first 2 shown]
	v_ashrrev_i32_e32 v7, 31, v6
	v_lshl_add_u32 v20, s14, 5, v46
	v_add_co_ci_u32_e32 v61, vcc_lo, s21, v3, vcc_lo
	s_branch .LBB114_4
.LBB114_3:                              ;   in Loop: Header=BB114_4 Depth=1
	s_or_b32 exec_lo, exec_lo, s4
	v_add_nc_u32_e32 v20, s9, v20
	s_add_i32 s14, s33, s14
	s_delay_alu instid0(SALU_CYCLE_1)
	s_cmp_le_i32 s14, s11
	s_cbranch_scc0 .LBB114_63
.LBB114_4:                              ; =>This Loop Header: Depth=1
                                        ;     Child Loop BB114_7 Depth 2
	v_mov_b32_e32 v38, 0
	v_lshl_add_u32 v62, s14, 5, v46
	v_mov_b32_e32 v39, 0
	s_delay_alu instid0(VALU_DEP_3)
	v_mov_b32_e32 v28, v38
	v_mov_b32_e32 v30, v38
	;; [unrolled: 1-line block ×3, first 2 shown]
	v_ashrrev_i32_e32 v63, 31, v62
	v_mov_b32_e32 v35, v39
	v_dual_mov_b32 v41, v39 :: v_dual_mov_b32 v40, v38
	v_mov_b32_e32 v29, v39
	v_dual_mov_b32 v31, v39 :: v_dual_mov_b32 v36, v38
	v_dual_mov_b32 v37, v39 :: v_dual_mov_b32 v32, v38
	;; [unrolled: 1-line block ×3, first 2 shown]
	v_mov_b32_e32 v27, v39
	s_and_not1_b32 vcc_lo, exec_lo, s43
	s_mov_b64 s[20:21], 0
	s_cbranch_vccnz .LBB114_55
; %bb.5:                                ;   in Loop: Header=BB114_4 Depth=1
	v_ashrrev_i32_e32 v21, 31, v20
	v_mad_u64_u32 v[22:23], null, s28, v20, v[16:17]
	v_mul_lo_u32 v28, s29, v20
	v_mov_b32_e32 v26, 0
	s_delay_alu instid0(VALU_DEP_4) | instskip(SKIP_3) | instid1(VALU_DEP_3)
	v_lshlrev_b64 v[2:3], 4, v[20:21]
	v_mul_lo_u32 v21, s28, v21
	v_mov_b32_e32 v27, 0
	s_mov_b64 s[22:23], 0
	v_add_co_u32 v29, vcc_lo, 0x100, v2
	s_delay_alu instid0(VALU_DEP_4) | instskip(SKIP_1) | instid1(VALU_DEP_3)
	v_add_co_ci_u32_e32 v24, vcc_lo, 0, v3, vcc_lo
	v_sub_co_u32 v2, vcc_lo, s10, v62
	v_mul_lo_u32 v31, s37, v29
	s_delay_alu instid0(VALU_DEP_3) | instskip(SKIP_4) | instid1(VALU_DEP_3)
	v_mul_lo_u32 v30, s36, v24
	v_mad_u64_u32 v[24:25], null, s36, v29, v[16:17]
	v_sub_co_ci_u32_e32 v3, vcc_lo, s47, v63, vcc_lo
	v_dual_mov_b32 v33, v27 :: v_dual_mov_b32 v32, v26
	v_dual_mov_b32 v37, v27 :: v_dual_mov_b32 v36, v26
	v_cmp_lt_i64_e32 vcc_lo, 0, v[2:3]
	v_cmp_lt_i64_e64 s4, 16, v[2:3]
	v_add3_u32 v23, v28, v23, v21
	v_add3_u32 v25, v31, v25, v30
	v_dual_mov_b32 v35, v27 :: v_dual_mov_b32 v34, v26
	v_dual_mov_b32 v31, v27 :: v_dual_mov_b32 v30, v26
	;; [unrolled: 1-line block ×5, first 2 shown]
	s_branch .LBB114_7
.LBB114_6:                              ;   in Loop: Header=BB114_7 Depth=2
	s_or_b32 exec_lo, exec_lo, s6
	s_waitcnt lgkmcnt(0)
	s_waitcnt_vscnt null, 0x0
	s_barrier
	buffer_gl0_inv
	ds_load_b128 v[42:45], v50
	ds_load_b128 v[64:67], v50 offset:16
	ds_load_b128 v[68:71], v50 offset:32
	;; [unrolled: 1-line block ×3, first 2 shown]
	ds_load_b128 v[76:79], v48
	s_add_u32 s22, s22, 32
	s_addc_u32 s23, s23, 0
	s_sub_i32 s5, s22, 32
	s_add_u32 s20, s20, 0x200
	s_addc_u32 s21, s21, 0
	s_cmp_ge_i32 s5, s42
	s_waitcnt lgkmcnt(0)
	v_mul_f64 v[2:3], v[44:45], v[78:79]
	v_mul_f64 v[80:81], v[42:43], v[78:79]
	s_delay_alu instid0(VALU_DEP_2) | instskip(NEXT) | instid1(VALU_DEP_2)
	v_fma_f64 v[2:3], v[42:43], v[76:77], -v[2:3]
	v_fma_f64 v[80:81], v[44:45], v[76:77], v[80:81]
	s_delay_alu instid0(VALU_DEP_2) | instskip(NEXT) | instid1(VALU_DEP_2)
	v_add_f64 v[2:3], v[38:39], v[2:3]
	v_add_f64 v[80:81], v[40:41], v[80:81]
	ds_load_b128 v[38:41], v48 offset:256
	s_waitcnt lgkmcnt(0)
	v_mul_f64 v[82:83], v[44:45], v[40:41]
	s_delay_alu instid0(VALU_DEP_1) | instskip(SKIP_1) | instid1(VALU_DEP_1)
	v_fma_f64 v[82:83], v[42:43], v[38:39], -v[82:83]
	v_mul_f64 v[42:43], v[42:43], v[40:41]
	v_fma_f64 v[42:43], v[44:45], v[38:39], v[42:43]
	s_delay_alu instid0(VALU_DEP_3) | instskip(NEXT) | instid1(VALU_DEP_2)
	v_add_f64 v[44:45], v[28:29], v[82:83]
	v_add_f64 v[42:43], v[30:31], v[42:43]
	ds_load_b128 v[28:31], v50 offset:8192
	s_waitcnt lgkmcnt(0)
	v_mul_f64 v[82:83], v[30:31], v[78:79]
	v_mul_f64 v[78:79], v[28:29], v[78:79]
	s_delay_alu instid0(VALU_DEP_2) | instskip(NEXT) | instid1(VALU_DEP_2)
	v_fma_f64 v[82:83], v[28:29], v[76:77], -v[82:83]
	v_fma_f64 v[76:77], v[30:31], v[76:77], v[78:79]
	s_delay_alu instid0(VALU_DEP_2) | instskip(SKIP_1) | instid1(VALU_DEP_3)
	v_add_f64 v[78:79], v[34:35], v[82:83]
	v_mul_f64 v[34:35], v[30:31], v[40:41]
	v_add_f64 v[76:77], v[36:37], v[76:77]
	s_delay_alu instid0(VALU_DEP_2) | instskip(SKIP_1) | instid1(VALU_DEP_1)
	v_fma_f64 v[34:35], v[28:29], v[38:39], -v[34:35]
	v_mul_f64 v[28:29], v[28:29], v[40:41]
	v_fma_f64 v[28:29], v[30:31], v[38:39], v[28:29]
	s_delay_alu instid0(VALU_DEP_3) | instskip(NEXT) | instid1(VALU_DEP_2)
	v_add_f64 v[38:39], v[32:33], v[34:35]
	v_add_f64 v[40:41], v[26:27], v[28:29]
	ds_load_b128 v[26:29], v48 offset:512
	s_waitcnt lgkmcnt(0)
	v_mul_f64 v[30:31], v[66:67], v[28:29]
	v_mul_f64 v[32:33], v[64:65], v[28:29]
	s_delay_alu instid0(VALU_DEP_2) | instskip(NEXT) | instid1(VALU_DEP_2)
	v_fma_f64 v[30:31], v[64:65], v[26:27], -v[30:31]
	v_fma_f64 v[32:33], v[66:67], v[26:27], v[32:33]
	s_delay_alu instid0(VALU_DEP_2) | instskip(NEXT) | instid1(VALU_DEP_2)
	v_add_f64 v[2:3], v[2:3], v[30:31]
	v_add_f64 v[80:81], v[80:81], v[32:33]
	ds_load_b128 v[30:33], v48 offset:768
	s_waitcnt lgkmcnt(0)
	v_mul_f64 v[34:35], v[66:67], v[32:33]
	v_mul_f64 v[36:37], v[64:65], v[32:33]
	s_delay_alu instid0(VALU_DEP_2) | instskip(NEXT) | instid1(VALU_DEP_2)
	v_fma_f64 v[34:35], v[64:65], v[30:31], -v[34:35]
	v_fma_f64 v[36:37], v[66:67], v[30:31], v[36:37]
	s_delay_alu instid0(VALU_DEP_2) | instskip(NEXT) | instid1(VALU_DEP_2)
	v_add_f64 v[44:45], v[44:45], v[34:35]
	v_add_f64 v[42:43], v[42:43], v[36:37]
	ds_load_b128 v[34:37], v50 offset:8208
	s_waitcnt lgkmcnt(0)
	v_mul_f64 v[64:65], v[36:37], v[28:29]
	v_mul_f64 v[28:29], v[34:35], v[28:29]
	s_delay_alu instid0(VALU_DEP_2) | instskip(NEXT) | instid1(VALU_DEP_2)
	v_fma_f64 v[64:65], v[34:35], v[26:27], -v[64:65]
	v_fma_f64 v[26:27], v[36:37], v[26:27], v[28:29]
	v_mul_f64 v[28:29], v[34:35], v[32:33]
	s_delay_alu instid0(VALU_DEP_3) | instskip(NEXT) | instid1(VALU_DEP_3)
	v_add_f64 v[64:65], v[78:79], v[64:65]
	v_add_f64 v[66:67], v[76:77], v[26:27]
	v_mul_f64 v[26:27], v[36:37], v[32:33]
	s_delay_alu instid0(VALU_DEP_4) | instskip(NEXT) | instid1(VALU_DEP_2)
	v_fma_f64 v[28:29], v[36:37], v[30:31], v[28:29]
	v_fma_f64 v[26:27], v[34:35], v[30:31], -v[26:27]
	s_delay_alu instid0(VALU_DEP_2) | instskip(NEXT) | instid1(VALU_DEP_2)
	v_add_f64 v[40:41], v[40:41], v[28:29]
	v_add_f64 v[38:39], v[38:39], v[26:27]
	ds_load_b128 v[26:29], v48 offset:1024
	s_waitcnt lgkmcnt(0)
	v_mul_f64 v[30:31], v[70:71], v[28:29]
	v_mul_f64 v[32:33], v[68:69], v[28:29]
	s_delay_alu instid0(VALU_DEP_2) | instskip(NEXT) | instid1(VALU_DEP_2)
	v_fma_f64 v[30:31], v[68:69], v[26:27], -v[30:31]
	v_fma_f64 v[32:33], v[70:71], v[26:27], v[32:33]
	s_delay_alu instid0(VALU_DEP_2) | instskip(NEXT) | instid1(VALU_DEP_2)
	v_add_f64 v[2:3], v[2:3], v[30:31]
	v_add_f64 v[76:77], v[80:81], v[32:33]
	ds_load_b128 v[30:33], v48 offset:1280
	s_waitcnt lgkmcnt(0)
	v_mul_f64 v[34:35], v[70:71], v[32:33]
	v_mul_f64 v[36:37], v[68:69], v[32:33]
	s_delay_alu instid0(VALU_DEP_2) | instskip(NEXT) | instid1(VALU_DEP_2)
	v_fma_f64 v[34:35], v[68:69], v[30:31], -v[34:35]
	v_fma_f64 v[36:37], v[70:71], v[30:31], v[36:37]
	s_delay_alu instid0(VALU_DEP_2) | instskip(NEXT) | instid1(VALU_DEP_2)
	v_add_f64 v[44:45], v[44:45], v[34:35]
	v_add_f64 v[42:43], v[42:43], v[36:37]
	ds_load_b128 v[34:37], v50 offset:8224
	s_waitcnt lgkmcnt(0)
	v_mul_f64 v[68:69], v[36:37], v[28:29]
	v_mul_f64 v[28:29], v[34:35], v[28:29]
	s_delay_alu instid0(VALU_DEP_2) | instskip(NEXT) | instid1(VALU_DEP_2)
	v_fma_f64 v[68:69], v[34:35], v[26:27], -v[68:69]
	v_fma_f64 v[26:27], v[36:37], v[26:27], v[28:29]
	v_mul_f64 v[28:29], v[34:35], v[32:33]
	s_delay_alu instid0(VALU_DEP_3) | instskip(NEXT) | instid1(VALU_DEP_3)
	v_add_f64 v[64:65], v[64:65], v[68:69]
	v_add_f64 v[66:67], v[66:67], v[26:27]
	v_mul_f64 v[26:27], v[36:37], v[32:33]
	s_delay_alu instid0(VALU_DEP_4) | instskip(NEXT) | instid1(VALU_DEP_2)
	v_fma_f64 v[28:29], v[36:37], v[30:31], v[28:29]
	v_fma_f64 v[26:27], v[34:35], v[30:31], -v[26:27]
	s_delay_alu instid0(VALU_DEP_2) | instskip(NEXT) | instid1(VALU_DEP_2)
	;; [unrolled: 38-line block ×3, first 2 shown]
	v_add_f64 v[40:41], v[40:41], v[28:29]
	v_add_f64 v[38:39], v[38:39], v[26:27]
	ds_load_b128 v[26:29], v50 offset:64
	ds_load_b128 v[30:33], v48 offset:2048
	s_waitcnt lgkmcnt(0)
	v_mul_f64 v[34:35], v[28:29], v[32:33]
	v_mul_f64 v[36:37], v[26:27], v[32:33]
	s_delay_alu instid0(VALU_DEP_2) | instskip(NEXT) | instid1(VALU_DEP_2)
	v_fma_f64 v[34:35], v[26:27], v[30:31], -v[34:35]
	v_fma_f64 v[36:37], v[28:29], v[30:31], v[36:37]
	s_delay_alu instid0(VALU_DEP_2) | instskip(NEXT) | instid1(VALU_DEP_2)
	v_add_f64 v[2:3], v[2:3], v[34:35]
	v_add_f64 v[68:69], v[68:69], v[36:37]
	ds_load_b128 v[34:37], v48 offset:2304
	s_waitcnt lgkmcnt(0)
	v_mul_f64 v[70:71], v[28:29], v[36:37]
	s_delay_alu instid0(VALU_DEP_1) | instskip(SKIP_1) | instid1(VALU_DEP_2)
	v_fma_f64 v[70:71], v[26:27], v[34:35], -v[70:71]
	v_mul_f64 v[26:27], v[26:27], v[36:37]
	v_add_f64 v[44:45], v[44:45], v[70:71]
	s_delay_alu instid0(VALU_DEP_2) | instskip(NEXT) | instid1(VALU_DEP_1)
	v_fma_f64 v[26:27], v[28:29], v[34:35], v[26:27]
	v_add_f64 v[42:43], v[42:43], v[26:27]
	ds_load_b128 v[26:29], v50 offset:8256
	s_waitcnt lgkmcnt(0)
	v_mul_f64 v[70:71], v[28:29], v[32:33]
	v_mul_f64 v[32:33], v[26:27], v[32:33]
	s_delay_alu instid0(VALU_DEP_2) | instskip(NEXT) | instid1(VALU_DEP_2)
	v_fma_f64 v[70:71], v[26:27], v[30:31], -v[70:71]
	v_fma_f64 v[30:31], v[28:29], v[30:31], v[32:33]
	s_delay_alu instid0(VALU_DEP_2) | instskip(NEXT) | instid1(VALU_DEP_2)
	v_add_f64 v[64:65], v[64:65], v[70:71]
	v_add_f64 v[66:67], v[66:67], v[30:31]
	v_mul_f64 v[30:31], v[28:29], v[36:37]
	s_delay_alu instid0(VALU_DEP_1) | instskip(SKIP_1) | instid1(VALU_DEP_2)
	v_fma_f64 v[30:31], v[26:27], v[34:35], -v[30:31]
	v_mul_f64 v[26:27], v[26:27], v[36:37]
	v_add_f64 v[38:39], v[38:39], v[30:31]
	s_delay_alu instid0(VALU_DEP_2) | instskip(NEXT) | instid1(VALU_DEP_1)
	v_fma_f64 v[26:27], v[28:29], v[34:35], v[26:27]
	v_add_f64 v[40:41], v[40:41], v[26:27]
	ds_load_b128 v[26:29], v50 offset:80
	ds_load_b128 v[30:33], v48 offset:2560
	s_waitcnt lgkmcnt(0)
	v_mul_f64 v[34:35], v[28:29], v[32:33]
	v_mul_f64 v[36:37], v[26:27], v[32:33]
	s_delay_alu instid0(VALU_DEP_2) | instskip(NEXT) | instid1(VALU_DEP_2)
	v_fma_f64 v[34:35], v[26:27], v[30:31], -v[34:35]
	v_fma_f64 v[36:37], v[28:29], v[30:31], v[36:37]
	s_delay_alu instid0(VALU_DEP_2) | instskip(NEXT) | instid1(VALU_DEP_2)
	v_add_f64 v[2:3], v[2:3], v[34:35]
	v_add_f64 v[68:69], v[68:69], v[36:37]
	ds_load_b128 v[34:37], v48 offset:2816
	s_waitcnt lgkmcnt(0)
	v_mul_f64 v[70:71], v[28:29], v[36:37]
	s_delay_alu instid0(VALU_DEP_1) | instskip(SKIP_1) | instid1(VALU_DEP_2)
	v_fma_f64 v[70:71], v[26:27], v[34:35], -v[70:71]
	v_mul_f64 v[26:27], v[26:27], v[36:37]
	v_add_f64 v[44:45], v[44:45], v[70:71]
	s_delay_alu instid0(VALU_DEP_2) | instskip(NEXT) | instid1(VALU_DEP_1)
	v_fma_f64 v[26:27], v[28:29], v[34:35], v[26:27]
	v_add_f64 v[42:43], v[42:43], v[26:27]
	ds_load_b128 v[26:29], v50 offset:8272
	s_waitcnt lgkmcnt(0)
	v_mul_f64 v[70:71], v[28:29], v[32:33]
	v_mul_f64 v[32:33], v[26:27], v[32:33]
	s_delay_alu instid0(VALU_DEP_2) | instskip(NEXT) | instid1(VALU_DEP_2)
	v_fma_f64 v[70:71], v[26:27], v[30:31], -v[70:71]
	v_fma_f64 v[30:31], v[28:29], v[30:31], v[32:33]
	s_delay_alu instid0(VALU_DEP_2) | instskip(NEXT) | instid1(VALU_DEP_2)
	v_add_f64 v[64:65], v[64:65], v[70:71]
	v_add_f64 v[66:67], v[66:67], v[30:31]
	v_mul_f64 v[30:31], v[28:29], v[36:37]
	s_delay_alu instid0(VALU_DEP_1) | instskip(SKIP_1) | instid1(VALU_DEP_2)
	v_fma_f64 v[30:31], v[26:27], v[34:35], -v[30:31]
	v_mul_f64 v[26:27], v[26:27], v[36:37]
	v_add_f64 v[38:39], v[38:39], v[30:31]
	s_delay_alu instid0(VALU_DEP_2) | instskip(NEXT) | instid1(VALU_DEP_1)
	v_fma_f64 v[26:27], v[28:29], v[34:35], v[26:27]
	;; [unrolled: 39-line block ×27, first 2 shown]
	v_add_f64 v[80:81], v[40:41], v[26:27]
	ds_load_b128 v[26:29], v50 offset:496
	ds_load_b128 v[32:35], v48 offset:15872
	;; [unrolled: 1-line block ×4, first 2 shown]
	s_waitcnt lgkmcnt(0)
	s_barrier
	buffer_gl0_inv
	v_mul_f64 v[30:31], v[28:29], v[34:35]
	v_mul_f64 v[36:37], v[26:27], v[34:35]
	s_delay_alu instid0(VALU_DEP_2) | instskip(NEXT) | instid1(VALU_DEP_2)
	v_fma_f64 v[30:31], v[26:27], v[32:33], -v[30:31]
	v_fma_f64 v[36:37], v[28:29], v[32:33], v[36:37]
	s_delay_alu instid0(VALU_DEP_2) | instskip(SKIP_1) | instid1(VALU_DEP_3)
	v_add_f64 v[38:39], v[2:3], v[30:31]
	v_mul_f64 v[2:3], v[28:29], v[44:45]
	v_add_f64 v[40:41], v[68:69], v[36:37]
	s_delay_alu instid0(VALU_DEP_2) | instskip(SKIP_1) | instid1(VALU_DEP_1)
	v_fma_f64 v[2:3], v[26:27], v[42:43], -v[2:3]
	v_mul_f64 v[26:27], v[26:27], v[44:45]
	v_fma_f64 v[26:27], v[28:29], v[42:43], v[26:27]
	s_delay_alu instid0(VALU_DEP_3) | instskip(SKIP_1) | instid1(VALU_DEP_3)
	v_add_f64 v[28:29], v[70:71], v[2:3]
	v_mul_f64 v[2:3], v[66:67], v[34:35]
	v_add_f64 v[30:31], v[72:73], v[26:27]
	v_mul_f64 v[26:27], v[64:65], v[34:35]
	s_delay_alu instid0(VALU_DEP_3) | instskip(NEXT) | instid1(VALU_DEP_2)
	v_fma_f64 v[2:3], v[64:65], v[32:33], -v[2:3]
	v_fma_f64 v[26:27], v[66:67], v[32:33], v[26:27]
	s_delay_alu instid0(VALU_DEP_2) | instskip(SKIP_1) | instid1(VALU_DEP_3)
	v_add_f64 v[34:35], v[74:75], v[2:3]
	v_mul_f64 v[2:3], v[66:67], v[44:45]
	v_add_f64 v[36:37], v[76:77], v[26:27]
	v_mul_f64 v[26:27], v[64:65], v[44:45]
	s_delay_alu instid0(VALU_DEP_3) | instskip(NEXT) | instid1(VALU_DEP_2)
	v_fma_f64 v[2:3], v[64:65], v[42:43], -v[2:3]
	v_fma_f64 v[26:27], v[66:67], v[42:43], v[26:27]
	s_delay_alu instid0(VALU_DEP_2) | instskip(NEXT) | instid1(VALU_DEP_2)
	v_add_f64 v[32:33], v[78:79], v[2:3]
	v_add_f64 v[26:27], v[80:81], v[26:27]
	s_cbranch_scc1 .LBB114_55
.LBB114_7:                              ;   Parent Loop BB114_4 Depth=1
                                        ; =>  This Inner Loop Header: Depth=2
	v_add_co_u32 v44, s5, v46, s22
	s_delay_alu instid0(VALU_DEP_1) | instskip(SKIP_1) | instid1(VALU_DEP_2)
	v_add_co_ci_u32_e64 v45, null, 0, s23, s5
	v_cmp_eq_u64_e64 s7, s[22:23], v[10:11]
	v_cmp_le_i64_e64 s6, s[12:13], v[44:45]
	v_cmp_gt_i64_e64 s5, v[44:45], v[4:5]
	s_delay_alu instid0(VALU_DEP_3) | instskip(NEXT) | instid1(VALU_DEP_1)
	s_and_b32 s24, s46, s7
	s_or_b32 s7, s6, s5
	s_delay_alu instid0(SALU_CYCLE_1) | instskip(SKIP_1) | instid1(VALU_DEP_1)
	s_or_b32 s8, s7, s24
	v_add_co_u32 v42, s7, v58, s20
	v_add_co_ci_u32_e64 v43, s7, s21, v59, s7
	s_or_b32 s7, s0, s8
	s_delay_alu instid0(SALU_CYCLE_1) | instskip(NEXT) | instid1(SALU_CYCLE_1)
	s_xor_b32 s7, s7, -1
	s_and_saveexec_b32 s8, s7
	s_delay_alu instid0(SALU_CYCLE_1)
	s_xor_b32 s7, exec_lo, s8
	s_cbranch_execz .LBB114_9
; %bb.8:                                ;   in Loop: Header=BB114_7 Depth=2
	global_load_b128 v[64:67], v[42:43], off offset:-256
	s_waitcnt vmcnt(0)
	ds_store_2addr_b64 v49, v[64:65], v[66:67] offset1:1
.LBB114_9:                              ;   in Loop: Header=BB114_7 Depth=2
	s_or_saveexec_b32 s7, s7
	s_xor_b32 s15, s24, -1
	s_xor_b32 exec_lo, exec_lo, s7
	s_cbranch_execz .LBB114_15
; %bb.10:                               ;   in Loop: Header=BB114_7 Depth=2
	s_and_saveexec_b32 s8, s15
	s_delay_alu instid0(SALU_CYCLE_1)
	s_xor_b32 s8, exec_lo, s8
	s_cbranch_execz .LBB114_12
; %bb.11:                               ;   in Loop: Header=BB114_7 Depth=2
	v_mov_b32_e32 v64, v0
	v_mov_b32_e32 v65, v0
	;; [unrolled: 1-line block ×4, first 2 shown]
	ds_store_b128 v49, v[64:67]
.LBB114_12:                             ;   in Loop: Header=BB114_7 Depth=2
	s_and_not1_saveexec_b32 s8, s8
	s_cbranch_execz .LBB114_14
; %bb.13:                               ;   in Loop: Header=BB114_7 Depth=2
	v_mov_b32_e32 v2, v0
	v_mov_b32_e32 v3, v0
	ds_store_b128 v49, v[0:3]
.LBB114_14:                             ;   in Loop: Header=BB114_7 Depth=2
	s_or_b32 exec_lo, exec_lo, s8
.LBB114_15:                             ;   in Loop: Header=BB114_7 Depth=2
	s_delay_alu instid0(SALU_CYCLE_1) | instskip(SKIP_2) | instid1(VALU_DEP_2)
	s_or_b32 exec_lo, exec_lo, s7
	v_cmp_eq_u64_e64 s7, s[22:23], v[12:13]
	v_cmp_lt_i64_e64 s8, v[8:9], v[44:45]
	s_and_b32 s7, s46, s7
	s_delay_alu instid0(VALU_DEP_1) | instskip(NEXT) | instid1(SALU_CYCLE_1)
	s_or_b32 s6, s6, s8
	s_or_b32 s6, s6, s7
	s_delay_alu instid0(SALU_CYCLE_1) | instskip(NEXT) | instid1(SALU_CYCLE_1)
	s_or_b32 s6, s3, s6
	s_xor_b32 s6, s6, -1
	s_delay_alu instid0(SALU_CYCLE_1) | instskip(NEXT) | instid1(SALU_CYCLE_1)
	s_and_saveexec_b32 s8, s6
	s_xor_b32 s8, exec_lo, s8
	s_cbranch_execz .LBB114_17
; %bb.16:                               ;   in Loop: Header=BB114_7 Depth=2
	v_add_co_u32 v2, s6, v60, s20
	s_delay_alu instid0(VALU_DEP_1)
	v_add_co_ci_u32_e64 v3, s6, s21, v61, s6
	global_load_b128 v[64:67], v[2:3], off
	s_waitcnt vmcnt(0)
	ds_store_2addr_b64 v51, v[64:65], v[66:67] offset1:1
.LBB114_17:                             ;   in Loop: Header=BB114_7 Depth=2
	s_and_not1_saveexec_b32 s6, s8
	s_cbranch_execz .LBB114_23
; %bb.18:                               ;   in Loop: Header=BB114_7 Depth=2
	s_xor_b32 s7, s7, -1
	s_delay_alu instid0(SALU_CYCLE_1) | instskip(NEXT) | instid1(SALU_CYCLE_1)
	s_and_saveexec_b32 s8, s7
	s_xor_b32 s7, exec_lo, s8
	s_cbranch_execz .LBB114_20
; %bb.19:                               ;   in Loop: Header=BB114_7 Depth=2
	v_mov_b32_e32 v64, v0
	v_mov_b32_e32 v65, v0
	;; [unrolled: 1-line block ×4, first 2 shown]
	ds_store_b128 v51, v[64:67]
.LBB114_20:                             ;   in Loop: Header=BB114_7 Depth=2
	s_and_not1_saveexec_b32 s7, s7
	s_cbranch_execz .LBB114_22
; %bb.21:                               ;   in Loop: Header=BB114_7 Depth=2
	v_mov_b32_e32 v2, v0
	v_mov_b32_e32 v3, v0
	ds_store_b128 v51, v[0:3]
.LBB114_22:                             ;   in Loop: Header=BB114_7 Depth=2
	s_or_b32 exec_lo, exec_lo, s7
.LBB114_23:                             ;   in Loop: Header=BB114_7 Depth=2
	s_delay_alu instid0(SALU_CYCLE_1) | instskip(SKIP_1) | instid1(VALU_DEP_1)
	s_or_b32 exec_lo, exec_lo, s6
	v_add_co_u32 v2, s6, v44, 16
	v_add_co_ci_u32_e64 v3, s6, 0, v45, s6
	v_cmp_eq_u64_e64 s7, s[22:23], v[14:15]
	s_delay_alu instid0(VALU_DEP_2) | instskip(SKIP_1) | instid1(VALU_DEP_3)
	v_cmp_le_i64_e64 s6, s[12:13], v[2:3]
	v_cmp_gt_i64_e64 s8, v[2:3], v[4:5]
	s_and_b32 s25, s46, s7
	s_delay_alu instid0(VALU_DEP_1) | instskip(NEXT) | instid1(SALU_CYCLE_1)
	s_or_b32 s7, s6, s8
	s_or_b32 s7, s7, s25
	s_delay_alu instid0(SALU_CYCLE_1) | instskip(NEXT) | instid1(SALU_CYCLE_1)
	s_or_b32 s7, s0, s7
	s_xor_b32 s7, s7, -1
	s_delay_alu instid0(SALU_CYCLE_1) | instskip(NEXT) | instid1(SALU_CYCLE_1)
	s_and_saveexec_b32 s8, s7
	s_xor_b32 s7, exec_lo, s8
	s_cbranch_execz .LBB114_25
; %bb.24:                               ;   in Loop: Header=BB114_7 Depth=2
	global_load_b128 v[42:45], v[42:43], off
	s_waitcnt vmcnt(0)
	ds_store_2addr_b64 v52, v[42:43], v[44:45] offset1:1
.LBB114_25:                             ;   in Loop: Header=BB114_7 Depth=2
	s_and_not1_saveexec_b32 s7, s7
	s_cbranch_execz .LBB114_31
; %bb.26:                               ;   in Loop: Header=BB114_7 Depth=2
	s_xor_b32 s8, s25, -1
	s_delay_alu instid0(SALU_CYCLE_1) | instskip(NEXT) | instid1(SALU_CYCLE_1)
	s_and_saveexec_b32 s25, s8
	s_xor_b32 s8, exec_lo, s25
	s_cbranch_execz .LBB114_28
; %bb.27:                               ;   in Loop: Header=BB114_7 Depth=2
	v_mov_b32_e32 v42, v0
	v_mov_b32_e32 v43, v0
	;; [unrolled: 1-line block ×4, first 2 shown]
	ds_store_b128 v52, v[42:45]
.LBB114_28:                             ;   in Loop: Header=BB114_7 Depth=2
	s_and_not1_saveexec_b32 s8, s8
	s_cbranch_execz .LBB114_30
; %bb.29:                               ;   in Loop: Header=BB114_7 Depth=2
	v_mov_b32_e32 v2, v0
	v_mov_b32_e32 v3, v0
	ds_store_b128 v52, v[0:3]
.LBB114_30:                             ;   in Loop: Header=BB114_7 Depth=2
	s_or_b32 exec_lo, exec_lo, s8
.LBB114_31:                             ;   in Loop: Header=BB114_7 Depth=2
	s_delay_alu instid0(SALU_CYCLE_1) | instskip(SKIP_1) | instid1(SALU_CYCLE_1)
	s_or_b32 exec_lo, exec_lo, s7
	s_or_b32 s5, s6, s5
	s_or_b32 s5, s5, s24
	s_delay_alu instid0(SALU_CYCLE_1) | instskip(NEXT) | instid1(SALU_CYCLE_1)
	s_or_b32 s5, s3, s5
	s_xor_b32 s5, s5, -1
	s_delay_alu instid0(SALU_CYCLE_1) | instskip(NEXT) | instid1(SALU_CYCLE_1)
	s_and_saveexec_b32 s6, s5
	s_xor_b32 s6, exec_lo, s6
	s_cbranch_execz .LBB114_33
; %bb.32:                               ;   in Loop: Header=BB114_7 Depth=2
	v_add_co_u32 v2, s5, v60, s20
	s_delay_alu instid0(VALU_DEP_1)
	v_add_co_ci_u32_e64 v3, s5, s21, v61, s5
	global_load_b128 v[42:45], v[2:3], off offset:256
	s_waitcnt vmcnt(0)
	ds_store_2addr_b64 v54, v[42:43], v[44:45] offset1:1
.LBB114_33:                             ;   in Loop: Header=BB114_7 Depth=2
	s_and_not1_saveexec_b32 s5, s6
	s_cbranch_execz .LBB114_39
; %bb.34:                               ;   in Loop: Header=BB114_7 Depth=2
	s_and_saveexec_b32 s6, s15
	s_delay_alu instid0(SALU_CYCLE_1)
	s_xor_b32 s6, exec_lo, s6
	s_cbranch_execz .LBB114_36
; %bb.35:                               ;   in Loop: Header=BB114_7 Depth=2
	v_mov_b32_e32 v42, v0
	v_mov_b32_e32 v43, v0
	;; [unrolled: 1-line block ×4, first 2 shown]
	ds_store_b128 v54, v[42:45]
.LBB114_36:                             ;   in Loop: Header=BB114_7 Depth=2
	s_and_not1_saveexec_b32 s6, s6
	s_cbranch_execz .LBB114_38
; %bb.37:                               ;   in Loop: Header=BB114_7 Depth=2
	v_mov_b32_e32 v2, v0
	v_mov_b32_e32 v3, v0
	ds_store_b128 v54, v[0:3]
.LBB114_38:                             ;   in Loop: Header=BB114_7 Depth=2
	s_or_b32 exec_lo, exec_lo, s6
.LBB114_39:                             ;   in Loop: Header=BB114_7 Depth=2
	s_delay_alu instid0(SALU_CYCLE_1) | instskip(SKIP_1) | instid1(VALU_DEP_1)
	s_or_b32 exec_lo, exec_lo, s5
	v_add_co_u32 v2, s5, v47, s22
	v_add_co_ci_u32_e64 v3, null, 0, s23, s5
	s_delay_alu instid0(VALU_DEP_1) | instskip(NEXT) | instid1(VALU_DEP_1)
	v_cmp_gt_i64_e64 s5, s[12:13], v[2:3]
	s_and_b32 s6, vcc_lo, s5
	s_delay_alu instid0(SALU_CYCLE_1) | instskip(NEXT) | instid1(SALU_CYCLE_1)
	s_xor_b32 s6, s6, -1
	s_and_saveexec_b32 s7, s6
	s_delay_alu instid0(SALU_CYCLE_1)
	s_xor_b32 s6, exec_lo, s7
	s_cbranch_execz .LBB114_41
; %bb.40:                               ;   in Loop: Header=BB114_7 Depth=2
	v_mov_b32_e32 v42, v0
	v_mov_b32_e32 v43, v0
	;; [unrolled: 1-line block ×4, first 2 shown]
	ds_store_b128 v53, v[42:45]
.LBB114_41:                             ;   in Loop: Header=BB114_7 Depth=2
	s_or_saveexec_b32 s7, s6
	v_add_co_u32 v42, s6, v22, s20
	s_delay_alu instid0(VALU_DEP_1)
	v_add_co_ci_u32_e64 v43, s6, s21, v23, s6
	s_xor_b32 exec_lo, exec_lo, s7
	s_cbranch_execz .LBB114_43
; %bb.42:                               ;   in Loop: Header=BB114_7 Depth=2
	global_load_b128 v[64:67], v[42:43], off offset:-256
	s_waitcnt vmcnt(0)
	ds_store_2addr_b64 v53, v[64:65], v[66:67] offset1:1
.LBB114_43:                             ;   in Loop: Header=BB114_7 Depth=2
	s_or_b32 exec_lo, exec_lo, s7
	v_cmp_gt_i64_e64 s6, s[34:35], v[2:3]
	s_delay_alu instid0(VALU_DEP_1) | instskip(NEXT) | instid1(SALU_CYCLE_1)
	s_and_b32 s7, vcc_lo, s6
	s_xor_b32 s7, s7, -1
	s_delay_alu instid0(SALU_CYCLE_1) | instskip(NEXT) | instid1(SALU_CYCLE_1)
	s_and_saveexec_b32 s8, s7
	s_xor_b32 s7, exec_lo, s8
	s_cbranch_execz .LBB114_45
; %bb.44:                               ;   in Loop: Header=BB114_7 Depth=2
	v_mov_b32_e32 v42, v0
	v_mov_b32_e32 v43, v0
	;; [unrolled: 1-line block ×4, first 2 shown]
	ds_store_b128 v55, v[42:45]
                                        ; implicit-def: $vgpr42_vgpr43
.LBB114_45:                             ;   in Loop: Header=BB114_7 Depth=2
	s_and_not1_saveexec_b32 s7, s7
	s_cbranch_execz .LBB114_47
; %bb.46:                               ;   in Loop: Header=BB114_7 Depth=2
	global_load_b128 v[42:45], v[42:43], off
	s_waitcnt vmcnt(0)
	ds_store_2addr_b64 v55, v[42:43], v[44:45] offset1:1
.LBB114_47:                             ;   in Loop: Header=BB114_7 Depth=2
	s_or_b32 exec_lo, exec_lo, s7
	s_and_b32 s5, s4, s5
	s_delay_alu instid0(SALU_CYCLE_1) | instskip(NEXT) | instid1(SALU_CYCLE_1)
	s_xor_b32 s5, s5, -1
	s_and_saveexec_b32 s7, s5
	s_delay_alu instid0(SALU_CYCLE_1)
	s_xor_b32 s5, exec_lo, s7
	s_cbranch_execz .LBB114_49
; %bb.48:                               ;   in Loop: Header=BB114_7 Depth=2
	v_mov_b32_e32 v42, v0
	v_mov_b32_e32 v43, v0
	v_mov_b32_e32 v44, v0
	v_mov_b32_e32 v45, v0
	ds_store_b128 v56, v[42:45]
.LBB114_49:                             ;   in Loop: Header=BB114_7 Depth=2
	s_and_not1_saveexec_b32 s7, s5
	s_cbranch_execz .LBB114_51
; %bb.50:                               ;   in Loop: Header=BB114_7 Depth=2
	v_add_co_u32 v2, s5, v24, s20
	s_delay_alu instid0(VALU_DEP_1)
	v_add_co_ci_u32_e64 v3, s5, s21, v25, s5
	global_load_b128 v[42:45], v[2:3], off offset:-256
	s_waitcnt vmcnt(0)
	ds_store_2addr_b64 v56, v[42:43], v[44:45] offset1:1
.LBB114_51:                             ;   in Loop: Header=BB114_7 Depth=2
	s_or_b32 exec_lo, exec_lo, s7
	s_and_b32 s5, s4, s6
	s_delay_alu instid0(SALU_CYCLE_1) | instskip(NEXT) | instid1(SALU_CYCLE_1)
	s_xor_b32 s5, s5, -1
	s_and_saveexec_b32 s6, s5
	s_delay_alu instid0(SALU_CYCLE_1)
	s_xor_b32 s5, exec_lo, s6
	s_cbranch_execz .LBB114_53
; %bb.52:                               ;   in Loop: Header=BB114_7 Depth=2
	v_mov_b32_e32 v42, v0
	v_mov_b32_e32 v43, v0
	;; [unrolled: 1-line block ×4, first 2 shown]
	ds_store_b128 v57, v[42:45]
.LBB114_53:                             ;   in Loop: Header=BB114_7 Depth=2
	s_and_not1_saveexec_b32 s6, s5
	s_cbranch_execz .LBB114_6
; %bb.54:                               ;   in Loop: Header=BB114_7 Depth=2
	v_add_co_u32 v2, s5, v24, s20
	s_delay_alu instid0(VALU_DEP_1)
	v_add_co_ci_u32_e64 v3, s5, s21, v25, s5
	global_load_b128 v[42:45], v[2:3], off
	s_waitcnt vmcnt(0)
	ds_store_2addr_b64 v57, v[42:43], v[44:45] offset1:1
	s_branch .LBB114_6
.LBB114_55:                             ;   in Loop: Header=BB114_4 Depth=1
	v_mul_lo_u32 v21, v63, s44
	v_mul_lo_u32 v22, v62, s45
	v_mad_u64_u32 v[2:3], null, v62, s44, 0
	v_cmp_gt_i32_e32 vcc_lo, s10, v62
	s_delay_alu instid0(VALU_DEP_2) | instskip(NEXT) | instid1(VALU_DEP_1)
	v_add3_u32 v3, v3, v22, v21
	v_lshlrev_b64 v[2:3], 4, v[2:3]
	s_delay_alu instid0(VALU_DEP_1) | instskip(NEXT) | instid1(VALU_DEP_1)
	v_add_co_u32 v2, s4, s40, v2
	v_add_co_ci_u32_e64 v3, s4, s41, v3, s4
	s_and_b32 s4, s1, vcc_lo
	s_delay_alu instid0(SALU_CYCLE_1)
	s_and_saveexec_b32 s5, s4
	s_cbranch_execz .LBB114_57
; %bb.56:                               ;   in Loop: Header=BB114_4 Depth=1
	v_add_co_u32 v42, s4, v2, v18
	s_delay_alu instid0(VALU_DEP_1)
	v_add_co_ci_u32_e64 v43, s4, v3, v19, s4
	v_mul_f64 v[44:45], s[18:19], v[40:41]
	v_mul_f64 v[40:41], s[16:17], v[40:41]
	global_load_b128 v[21:24], v[42:43], off
	v_fma_f64 v[44:45], s[16:17], v[38:39], -v[44:45]
	v_fma_f64 v[38:39], s[18:19], v[38:39], v[40:41]
	s_waitcnt vmcnt(0)
	s_delay_alu instid0(VALU_DEP_2) | instskip(NEXT) | instid1(VALU_DEP_2)
	v_add_f64 v[21:22], v[21:22], v[44:45]
	v_add_f64 v[23:24], v[23:24], v[38:39]
	global_store_b128 v[42:43], v[21:24], off
.LBB114_57:                             ;   in Loop: Header=BB114_4 Depth=1
	s_or_b32 exec_lo, exec_lo, s5
	s_and_b32 s5, s2, vcc_lo
	s_delay_alu instid0(SALU_CYCLE_1)
	s_and_saveexec_b32 s4, s5
	s_cbranch_execz .LBB114_59
; %bb.58:                               ;   in Loop: Header=BB114_4 Depth=1
	v_lshlrev_b64 v[21:22], 4, v[6:7]
	v_mul_f64 v[38:39], s[18:19], v[30:31]
	v_mul_f64 v[30:31], s[16:17], v[30:31]
	s_delay_alu instid0(VALU_DEP_3) | instskip(NEXT) | instid1(VALU_DEP_4)
	v_add_co_u32 v2, vcc_lo, v2, v21
	v_add_co_ci_u32_e32 v3, vcc_lo, v3, v22, vcc_lo
	global_load_b128 v[21:24], v[2:3], off
	v_fma_f64 v[38:39], s[16:17], v[28:29], -v[38:39]
	v_fma_f64 v[28:29], s[18:19], v[28:29], v[30:31]
	s_waitcnt vmcnt(0)
	s_delay_alu instid0(VALU_DEP_2) | instskip(NEXT) | instid1(VALU_DEP_2)
	v_add_f64 v[21:22], v[21:22], v[38:39]
	v_add_f64 v[23:24], v[23:24], v[28:29]
	global_store_b128 v[2:3], v[21:24], off
.LBB114_59:                             ;   in Loop: Header=BB114_4 Depth=1
	s_or_b32 exec_lo, exec_lo, s4
	v_add_nc_u32_e32 v21, 16, v62
	s_delay_alu instid0(VALU_DEP_1) | instskip(SKIP_3) | instid1(VALU_DEP_4)
	v_ashrrev_i32_e32 v22, 31, v21
	v_mul_lo_u32 v23, v21, s45
	v_mad_u64_u32 v[2:3], null, v21, s44, 0
	v_cmp_gt_i32_e32 vcc_lo, s10, v21
	v_mul_lo_u32 v22, v22, s44
	s_delay_alu instid0(VALU_DEP_1) | instskip(NEXT) | instid1(VALU_DEP_1)
	v_add3_u32 v3, v3, v23, v22
	v_lshlrev_b64 v[2:3], 4, v[2:3]
	s_delay_alu instid0(VALU_DEP_1) | instskip(NEXT) | instid1(VALU_DEP_1)
	v_add_co_u32 v2, s4, s40, v2
	v_add_co_ci_u32_e64 v3, s4, s41, v3, s4
	s_and_b32 s4, s1, vcc_lo
	s_delay_alu instid0(SALU_CYCLE_1)
	s_and_saveexec_b32 s5, s4
	s_cbranch_execz .LBB114_61
; %bb.60:                               ;   in Loop: Header=BB114_4 Depth=1
	v_add_co_u32 v28, s4, v2, v18
	s_delay_alu instid0(VALU_DEP_1)
	v_add_co_ci_u32_e64 v29, s4, v3, v19, s4
	v_mul_f64 v[30:31], s[18:19], v[36:37]
	v_mul_f64 v[36:37], s[16:17], v[36:37]
	global_load_b128 v[21:24], v[28:29], off
	v_fma_f64 v[30:31], s[16:17], v[34:35], -v[30:31]
	v_fma_f64 v[34:35], s[18:19], v[34:35], v[36:37]
	s_waitcnt vmcnt(0)
	s_delay_alu instid0(VALU_DEP_2) | instskip(NEXT) | instid1(VALU_DEP_2)
	v_add_f64 v[21:22], v[21:22], v[30:31]
	v_add_f64 v[23:24], v[23:24], v[34:35]
	global_store_b128 v[28:29], v[21:24], off
.LBB114_61:                             ;   in Loop: Header=BB114_4 Depth=1
	s_or_b32 exec_lo, exec_lo, s5
	s_and_b32 s5, s2, vcc_lo
	s_delay_alu instid0(SALU_CYCLE_1)
	s_and_saveexec_b32 s4, s5
	s_cbranch_execz .LBB114_3
; %bb.62:                               ;   in Loop: Header=BB114_4 Depth=1
	v_lshlrev_b64 v[21:22], 4, v[6:7]
	v_mul_f64 v[28:29], s[18:19], v[26:27]
	v_mul_f64 v[25:26], s[16:17], v[26:27]
	s_delay_alu instid0(VALU_DEP_3) | instskip(NEXT) | instid1(VALU_DEP_4)
	v_add_co_u32 v2, vcc_lo, v2, v21
	v_add_co_ci_u32_e32 v3, vcc_lo, v3, v22, vcc_lo
	global_load_b128 v[21:24], v[2:3], off
	v_fma_f64 v[27:28], s[16:17], v[32:33], -v[28:29]
	v_fma_f64 v[25:26], s[18:19], v[32:33], v[25:26]
	s_waitcnt vmcnt(0)
	s_delay_alu instid0(VALU_DEP_2) | instskip(NEXT) | instid1(VALU_DEP_2)
	v_add_f64 v[21:22], v[21:22], v[27:28]
	v_add_f64 v[23:24], v[23:24], v[25:26]
	global_store_b128 v[2:3], v[21:24], off
	s_branch .LBB114_3
.LBB114_63:
	s_nop 0
	s_sendmsg sendmsg(MSG_DEALLOC_VGPRS)
	s_endpgm
	.section	.rodata,"a",@progbits
	.p2align	6, 0x0
	.amdhsa_kernel _ZL30rocblas_trmm_outofplace_kernelI19rocblas_complex_numIdELi32ELi2ELb1ELb1ELb1ELb0EPKS1_S2_S1_Ev17rocblas_diagonal_iiT6_lPT7_lllS7_lllPT8_llli
		.amdhsa_group_segment_fixed_size 32768
		.amdhsa_private_segment_fixed_size 0
		.amdhsa_kernarg_size 392
		.amdhsa_user_sgpr_count 13
		.amdhsa_user_sgpr_dispatch_ptr 0
		.amdhsa_user_sgpr_queue_ptr 0
		.amdhsa_user_sgpr_kernarg_segment_ptr 1
		.amdhsa_user_sgpr_dispatch_id 0
		.amdhsa_user_sgpr_private_segment_size 0
		.amdhsa_wavefront_size32 1
		.amdhsa_uses_dynamic_stack 0
		.amdhsa_enable_private_segment 0
		.amdhsa_system_sgpr_workgroup_id_x 1
		.amdhsa_system_sgpr_workgroup_id_y 1
		.amdhsa_system_sgpr_workgroup_id_z 1
		.amdhsa_system_sgpr_workgroup_info 0
		.amdhsa_system_vgpr_workitem_id 1
		.amdhsa_next_free_vgpr 84
		.amdhsa_next_free_sgpr 48
		.amdhsa_reserve_vcc 1
		.amdhsa_float_round_mode_32 0
		.amdhsa_float_round_mode_16_64 0
		.amdhsa_float_denorm_mode_32 3
		.amdhsa_float_denorm_mode_16_64 3
		.amdhsa_dx10_clamp 1
		.amdhsa_ieee_mode 1
		.amdhsa_fp16_overflow 0
		.amdhsa_workgroup_processor_mode 1
		.amdhsa_memory_ordered 1
		.amdhsa_forward_progress 0
		.amdhsa_shared_vgpr_count 0
		.amdhsa_exception_fp_ieee_invalid_op 0
		.amdhsa_exception_fp_denorm_src 0
		.amdhsa_exception_fp_ieee_div_zero 0
		.amdhsa_exception_fp_ieee_overflow 0
		.amdhsa_exception_fp_ieee_underflow 0
		.amdhsa_exception_fp_ieee_inexact 0
		.amdhsa_exception_int_div_zero 0
	.end_amdhsa_kernel
	.section	.text._ZL30rocblas_trmm_outofplace_kernelI19rocblas_complex_numIdELi32ELi2ELb1ELb1ELb1ELb0EPKS1_S2_S1_Ev17rocblas_diagonal_iiT6_lPT7_lllS7_lllPT8_llli,"axG",@progbits,_ZL30rocblas_trmm_outofplace_kernelI19rocblas_complex_numIdELi32ELi2ELb1ELb1ELb1ELb0EPKS1_S2_S1_Ev17rocblas_diagonal_iiT6_lPT7_lllS7_lllPT8_llli,comdat
.Lfunc_end114:
	.size	_ZL30rocblas_trmm_outofplace_kernelI19rocblas_complex_numIdELi32ELi2ELb1ELb1ELb1ELb0EPKS1_S2_S1_Ev17rocblas_diagonal_iiT6_lPT7_lllS7_lllPT8_llli, .Lfunc_end114-_ZL30rocblas_trmm_outofplace_kernelI19rocblas_complex_numIdELi32ELi2ELb1ELb1ELb1ELb0EPKS1_S2_S1_Ev17rocblas_diagonal_iiT6_lPT7_lllS7_lllPT8_llli
                                        ; -- End function
	.section	.AMDGPU.csdata,"",@progbits
; Kernel info:
; codeLenInByte = 11548
; NumSgprs: 50
; NumVgprs: 84
; ScratchSize: 0
; MemoryBound: 0
; FloatMode: 240
; IeeeMode: 1
; LDSByteSize: 32768 bytes/workgroup (compile time only)
; SGPRBlocks: 6
; VGPRBlocks: 10
; NumSGPRsForWavesPerEU: 50
; NumVGPRsForWavesPerEU: 84
; Occupancy: 16
; WaveLimiterHint : 0
; COMPUTE_PGM_RSRC2:SCRATCH_EN: 0
; COMPUTE_PGM_RSRC2:USER_SGPR: 13
; COMPUTE_PGM_RSRC2:TRAP_HANDLER: 0
; COMPUTE_PGM_RSRC2:TGID_X_EN: 1
; COMPUTE_PGM_RSRC2:TGID_Y_EN: 1
; COMPUTE_PGM_RSRC2:TGID_Z_EN: 1
; COMPUTE_PGM_RSRC2:TIDIG_COMP_CNT: 1
	.section	.text._ZL30rocblas_trmm_outofplace_kernelI19rocblas_complex_numIdELi32ELi2ELb1ELb1ELb1ELb0ES1_KS1_S1_Ev17rocblas_diagonal_iiT6_lPT7_lllS6_lllPT8_llli,"axG",@progbits,_ZL30rocblas_trmm_outofplace_kernelI19rocblas_complex_numIdELi32ELi2ELb1ELb1ELb1ELb0ES1_KS1_S1_Ev17rocblas_diagonal_iiT6_lPT7_lllS6_lllPT8_llli,comdat
	.globl	_ZL30rocblas_trmm_outofplace_kernelI19rocblas_complex_numIdELi32ELi2ELb1ELb1ELb1ELb0ES1_KS1_S1_Ev17rocblas_diagonal_iiT6_lPT7_lllS6_lllPT8_llli ; -- Begin function _ZL30rocblas_trmm_outofplace_kernelI19rocblas_complex_numIdELi32ELi2ELb1ELb1ELb1ELb0ES1_KS1_S1_Ev17rocblas_diagonal_iiT6_lPT7_lllS6_lllPT8_llli
	.p2align	8
	.type	_ZL30rocblas_trmm_outofplace_kernelI19rocblas_complex_numIdELi32ELi2ELb1ELb1ELb1ELb0ES1_KS1_S1_Ev17rocblas_diagonal_iiT6_lPT7_lllS6_lllPT8_llli,@function
_ZL30rocblas_trmm_outofplace_kernelI19rocblas_complex_numIdELi32ELi2ELb1ELb1ELb1ELb0ES1_KS1_S1_Ev17rocblas_diagonal_iiT6_lPT7_lllS6_lllPT8_llli: ; @_ZL30rocblas_trmm_outofplace_kernelI19rocblas_complex_numIdELi32ELi2ELb1ELb1ELb1ELb0ES1_KS1_S1_Ev17rocblas_diagonal_iiT6_lPT7_lllS6_lllPT8_llli
; %bb.0:
	s_load_b128 s[44:47], s[0:1], 0x10
	s_waitcnt lgkmcnt(0)
	v_cmp_eq_f64_e64 s2, s[44:45], 0
	v_cmp_eq_f64_e64 s3, s[46:47], 0
	s_delay_alu instid0(VALU_DEP_1) | instskip(NEXT) | instid1(SALU_CYCLE_1)
	s_and_b32 s2, s2, s3
	s_and_b32 vcc_lo, exec_lo, s2
	s_cbranch_vccnz .LBB115_63
; %bb.1:
	s_load_b128 s[8:11], s[0:1], 0x0
	s_waitcnt lgkmcnt(0)
	s_add_i32 s2, s10, -1
	s_delay_alu instid0(SALU_CYCLE_1) | instskip(NEXT) | instid1(SALU_CYCLE_1)
	s_ashr_i32 s3, s2, 31
	s_lshr_b32 s3, s3, 27
	s_delay_alu instid0(SALU_CYCLE_1) | instskip(NEXT) | instid1(SALU_CYCLE_1)
	s_add_i32 s2, s2, s3
	s_ashr_i32 s11, s2, 5
	s_delay_alu instid0(SALU_CYCLE_1)
	s_cmp_gt_i32 s14, s11
	s_cbranch_scc1 .LBB115_63
; %bb.2:
	s_clause 0x2
	s_load_b256 s[36:43], s[0:1], 0x68
	s_load_b512 s[16:31], s[0:1], 0x28
	s_load_b32 s33, s[0:1], 0x94
	v_and_b32_e32 v47, 0x3ff, v0
	v_bfe_u32 v46, v0, 10, 10
	v_mov_b32_e32 v0, 0
	s_mov_b32 s12, s9
	s_delay_alu instid0(VALU_DEP_3) | instskip(NEXT) | instid1(VALU_DEP_3)
	v_lshlrev_b32_e32 v48, 4, v47
	v_lshlrev_b32_e32 v1, 9, v46
	;; [unrolled: 1-line block ×3, first 2 shown]
	s_delay_alu instid0(VALU_DEP_2) | instskip(SKIP_1) | instid1(VALU_DEP_2)
	v_add_nc_u32_e32 v49, v48, v1
	v_add_nc_u32_e32 v50, 0x4000, v1
	;; [unrolled: 1-line block ×3, first 2 shown]
	s_waitcnt lgkmcnt(0)
	s_mul_i32 s1, s15, s43
	s_mul_hi_u32 s2, s15, s42
	s_mul_i32 s0, s15, s42
	s_add_i32 s1, s2, s1
	s_mul_i32 s4, s31, s15
	s_lshl_b64 s[0:1], s[0:1], 4
	s_mul_hi_u32 s5, s30, s15
	s_add_u32 s2, s36, s0
	s_addc_u32 s3, s37, s1
	s_lshl_b64 s[0:1], s[38:39], 4
	v_add_nc_u32_e32 v52, 0x2000, v49
	s_add_u32 s36, s2, s0
	s_addc_u32 s37, s3, s1
	s_lshl_b32 s38, s13, 5
	s_cmp_gt_i32 s13, -1
	v_add_nc_u32_e32 v4, s38, v47
	s_cselect_b32 s39, -1, 0
	s_cmpk_eq_i32 s8, 0x84
	v_add_nc_u32_e32 v54, 0x2100, v49
	s_cselect_b32 s42, -1, 0
	v_ashrrev_i32_e32 v5, 31, v4
	s_ashr_i32 s13, s9, 31
	s_ashr_i32 s43, s10, 31
	s_add_u32 s34, s9, -16
	v_add_co_u32 v8, vcc_lo, v4, 16
	s_addc_u32 s35, s13, -1
	s_add_i32 s5, s5, s4
	s_mul_i32 s4, s30, s15
	v_add_co_ci_u32_e32 v9, vcc_lo, 0, v5, vcc_lo
	v_sub_co_u32 v10, vcc_lo, v4, v46
	s_lshl_b64 s[4:5], s[4:5], 4
	s_lshl_b64 s[6:7], s[26:27], 4
	v_subrev_co_ci_u32_e32 v11, vcc_lo, 0, v5, vcc_lo
	s_add_u32 s4, s4, s6
	s_addc_u32 s5, s5, s7
	s_add_u32 s4, s24, s4
	v_add_co_u32 v12, vcc_lo, v10, 16
	s_addc_u32 s5, s25, s5
	v_add_co_u32 v1, s4, s4, v48
	v_add_co_ci_u32_e32 v13, vcc_lo, 0, v11, vcc_lo
	v_add_co_ci_u32_e64 v2, null, s5, 0, s4
	v_add_co_u32 v14, vcc_lo, v10, -16
	v_add_co_ci_u32_e32 v15, vcc_lo, -1, v11, vcc_lo
	v_add_co_u32 v16, vcc_lo, 0x100, v1
	s_delay_alu instid0(VALU_DEP_4)
	v_add_co_ci_u32_e32 v17, vcc_lo, 0, v2, vcc_lo
	v_mul_lo_u32 v3, s20, v5
	v_mul_lo_u32 v20, s21, v4
	v_mad_u64_u32 v[1:2], null, s20, v4, 0
	v_lshlrev_b64 v[18:19], 4, v[4:5]
	v_add_nc_u32_e32 v6, 16, v4
	s_mul_i32 s4, s23, s15
	s_mul_hi_u32 s5, s22, s15
	s_lshl_b64 s[6:7], s[18:19], 4
	s_add_i32 s5, s5, s4
	s_delay_alu instid0(VALU_DEP_3) | instskip(SKIP_3) | instid1(VALU_DEP_2)
	v_add3_u32 v2, v2, v3, v20
	s_mul_i32 s4, s22, s15
	v_add_co_u32 v3, vcc_lo, 0x100, v18
	s_lshl_b64 s[4:5], s[4:5], 4
	v_lshlrev_b64 v[1:2], 4, v[1:2]
	v_cmp_le_i32_e64 s0, s9, v4
	v_cmp_gt_i32_e64 s1, s9, v4
	v_cmp_gt_i32_e64 s2, s9, v6
	s_lshl_b64 s[24:25], s[28:29], 4
	s_lshl_b32 s9, s33, 5
	v_add_co_ci_u32_e32 v20, vcc_lo, 0, v19, vcc_lo
	s_add_u32 s4, s6, s4
	s_addc_u32 s5, s7, s5
	v_add_co_u32 v1, vcc_lo, s4, v1
	s_delay_alu instid0(VALU_DEP_2)
	v_mul_lo_u32 v24, s20, v20
	v_mul_lo_u32 v25, s21, v3
	v_mad_u64_u32 v[21:22], null, s20, v3, s[4:5]
	v_add_co_ci_u32_e32 v2, vcc_lo, s5, v2, vcc_lo
	v_add_co_u32 v1, vcc_lo, v1, v23
	v_cmp_le_i64_e64 s3, s[12:13], v[8:9]
	s_delay_alu instid0(VALU_DEP_3) | instskip(SKIP_1) | instid1(VALU_DEP_4)
	v_add_co_ci_u32_e32 v2, vcc_lo, 0, v2, vcc_lo
	v_add3_u32 v3, v25, v22, v24
	v_add_co_u32 v1, vcc_lo, v1, s16
	s_delay_alu instid0(VALU_DEP_3) | instskip(SKIP_1) | instid1(VALU_DEP_4)
	v_add_co_ci_u32_e32 v2, vcc_lo, s17, v2, vcc_lo
	v_add_co_u32 v21, vcc_lo, v21, v23
	v_add_co_ci_u32_e32 v3, vcc_lo, 0, v3, vcc_lo
	s_delay_alu instid0(VALU_DEP_4) | instskip(SKIP_4) | instid1(VALU_DEP_3)
	v_add_co_u32 v58, vcc_lo, 0x100, v1
	v_mov_b32_e32 v1, 0x3ff00000
	v_add_nc_u32_e32 v53, v50, v48
	v_add_co_ci_u32_e32 v59, vcc_lo, 0, v2, vcc_lo
	v_add_co_u32 v60, vcc_lo, s16, v21
	v_add_nc_u32_e32 v55, 0x100, v53
	v_add_nc_u32_e32 v56, 0x2000, v53
	;; [unrolled: 1-line block ×3, first 2 shown]
	v_ashrrev_i32_e32 v7, 31, v6
	v_lshl_add_u32 v20, s14, 5, v46
	v_add_co_ci_u32_e32 v61, vcc_lo, s17, v3, vcc_lo
	s_branch .LBB115_4
.LBB115_3:                              ;   in Loop: Header=BB115_4 Depth=1
	s_or_b32 exec_lo, exec_lo, s4
	v_add_nc_u32_e32 v20, s9, v20
	s_add_i32 s14, s33, s14
	s_delay_alu instid0(SALU_CYCLE_1)
	s_cmp_le_i32 s14, s11
	s_cbranch_scc0 .LBB115_63
.LBB115_4:                              ; =>This Loop Header: Depth=1
                                        ;     Child Loop BB115_7 Depth 2
	v_mov_b32_e32 v38, 0
	v_lshl_add_u32 v62, s14, 5, v46
	v_mov_b32_e32 v39, 0
	s_delay_alu instid0(VALU_DEP_3)
	v_mov_b32_e32 v28, v38
	v_mov_b32_e32 v30, v38
	v_mov_b32_e32 v34, v38
	v_ashrrev_i32_e32 v63, 31, v62
	v_mov_b32_e32 v35, v39
	v_dual_mov_b32 v41, v39 :: v_dual_mov_b32 v40, v38
	v_mov_b32_e32 v29, v39
	v_dual_mov_b32 v31, v39 :: v_dual_mov_b32 v36, v38
	v_dual_mov_b32 v37, v39 :: v_dual_mov_b32 v32, v38
	;; [unrolled: 1-line block ×3, first 2 shown]
	v_mov_b32_e32 v27, v39
	s_and_not1_b32 vcc_lo, exec_lo, s39
	s_mov_b64 s[16:17], 0
	s_cbranch_vccnz .LBB115_55
; %bb.5:                                ;   in Loop: Header=BB115_4 Depth=1
	v_ashrrev_i32_e32 v21, 31, v20
	v_mad_u64_u32 v[22:23], null, s24, v20, v[16:17]
	v_mul_lo_u32 v28, s25, v20
	v_mov_b32_e32 v26, 0
	s_delay_alu instid0(VALU_DEP_4) | instskip(SKIP_3) | instid1(VALU_DEP_3)
	v_lshlrev_b64 v[2:3], 4, v[20:21]
	v_mul_lo_u32 v21, s24, v21
	v_mov_b32_e32 v27, 0
	s_mov_b64 s[18:19], 0
	v_add_co_u32 v29, vcc_lo, 0x100, v2
	s_delay_alu instid0(VALU_DEP_4) | instskip(SKIP_1) | instid1(VALU_DEP_3)
	v_add_co_ci_u32_e32 v24, vcc_lo, 0, v3, vcc_lo
	v_sub_co_u32 v2, vcc_lo, s10, v62
	v_mul_lo_u32 v31, s29, v29
	s_delay_alu instid0(VALU_DEP_3) | instskip(SKIP_4) | instid1(VALU_DEP_3)
	v_mul_lo_u32 v30, s28, v24
	v_mad_u64_u32 v[24:25], null, s28, v29, v[16:17]
	v_sub_co_ci_u32_e32 v3, vcc_lo, s43, v63, vcc_lo
	v_dual_mov_b32 v33, v27 :: v_dual_mov_b32 v32, v26
	v_dual_mov_b32 v37, v27 :: v_dual_mov_b32 v36, v26
	v_cmp_lt_i64_e32 vcc_lo, 0, v[2:3]
	v_cmp_lt_i64_e64 s4, 16, v[2:3]
	v_add3_u32 v23, v28, v23, v21
	v_add3_u32 v25, v31, v25, v30
	v_dual_mov_b32 v35, v27 :: v_dual_mov_b32 v34, v26
	v_dual_mov_b32 v31, v27 :: v_dual_mov_b32 v30, v26
	;; [unrolled: 1-line block ×5, first 2 shown]
	s_branch .LBB115_7
.LBB115_6:                              ;   in Loop: Header=BB115_7 Depth=2
	s_or_b32 exec_lo, exec_lo, s6
	s_waitcnt lgkmcnt(0)
	s_waitcnt_vscnt null, 0x0
	s_barrier
	buffer_gl0_inv
	ds_load_b128 v[42:45], v50
	ds_load_b128 v[64:67], v50 offset:16
	ds_load_b128 v[68:71], v50 offset:32
	;; [unrolled: 1-line block ×3, first 2 shown]
	ds_load_b128 v[76:79], v48
	s_add_u32 s18, s18, 32
	s_addc_u32 s19, s19, 0
	s_sub_i32 s5, s18, 32
	s_add_u32 s16, s16, 0x200
	s_addc_u32 s17, s17, 0
	s_cmp_ge_i32 s5, s38
	s_waitcnt lgkmcnt(0)
	v_mul_f64 v[2:3], v[44:45], v[78:79]
	v_mul_f64 v[80:81], v[42:43], v[78:79]
	s_delay_alu instid0(VALU_DEP_2) | instskip(NEXT) | instid1(VALU_DEP_2)
	v_fma_f64 v[2:3], v[42:43], v[76:77], -v[2:3]
	v_fma_f64 v[80:81], v[44:45], v[76:77], v[80:81]
	s_delay_alu instid0(VALU_DEP_2) | instskip(NEXT) | instid1(VALU_DEP_2)
	v_add_f64 v[2:3], v[38:39], v[2:3]
	v_add_f64 v[80:81], v[40:41], v[80:81]
	ds_load_b128 v[38:41], v48 offset:256
	s_waitcnt lgkmcnt(0)
	v_mul_f64 v[82:83], v[44:45], v[40:41]
	s_delay_alu instid0(VALU_DEP_1) | instskip(SKIP_1) | instid1(VALU_DEP_1)
	v_fma_f64 v[82:83], v[42:43], v[38:39], -v[82:83]
	v_mul_f64 v[42:43], v[42:43], v[40:41]
	v_fma_f64 v[42:43], v[44:45], v[38:39], v[42:43]
	s_delay_alu instid0(VALU_DEP_3) | instskip(NEXT) | instid1(VALU_DEP_2)
	v_add_f64 v[44:45], v[28:29], v[82:83]
	v_add_f64 v[42:43], v[30:31], v[42:43]
	ds_load_b128 v[28:31], v50 offset:8192
	s_waitcnt lgkmcnt(0)
	v_mul_f64 v[82:83], v[30:31], v[78:79]
	v_mul_f64 v[78:79], v[28:29], v[78:79]
	s_delay_alu instid0(VALU_DEP_2) | instskip(NEXT) | instid1(VALU_DEP_2)
	v_fma_f64 v[82:83], v[28:29], v[76:77], -v[82:83]
	v_fma_f64 v[76:77], v[30:31], v[76:77], v[78:79]
	s_delay_alu instid0(VALU_DEP_2) | instskip(SKIP_1) | instid1(VALU_DEP_3)
	v_add_f64 v[78:79], v[34:35], v[82:83]
	v_mul_f64 v[34:35], v[30:31], v[40:41]
	v_add_f64 v[76:77], v[36:37], v[76:77]
	s_delay_alu instid0(VALU_DEP_2) | instskip(SKIP_1) | instid1(VALU_DEP_1)
	v_fma_f64 v[34:35], v[28:29], v[38:39], -v[34:35]
	v_mul_f64 v[28:29], v[28:29], v[40:41]
	v_fma_f64 v[28:29], v[30:31], v[38:39], v[28:29]
	s_delay_alu instid0(VALU_DEP_3) | instskip(NEXT) | instid1(VALU_DEP_2)
	v_add_f64 v[38:39], v[32:33], v[34:35]
	v_add_f64 v[40:41], v[26:27], v[28:29]
	ds_load_b128 v[26:29], v48 offset:512
	s_waitcnt lgkmcnt(0)
	v_mul_f64 v[30:31], v[66:67], v[28:29]
	v_mul_f64 v[32:33], v[64:65], v[28:29]
	s_delay_alu instid0(VALU_DEP_2) | instskip(NEXT) | instid1(VALU_DEP_2)
	v_fma_f64 v[30:31], v[64:65], v[26:27], -v[30:31]
	v_fma_f64 v[32:33], v[66:67], v[26:27], v[32:33]
	s_delay_alu instid0(VALU_DEP_2) | instskip(NEXT) | instid1(VALU_DEP_2)
	v_add_f64 v[2:3], v[2:3], v[30:31]
	v_add_f64 v[80:81], v[80:81], v[32:33]
	ds_load_b128 v[30:33], v48 offset:768
	s_waitcnt lgkmcnt(0)
	v_mul_f64 v[34:35], v[66:67], v[32:33]
	v_mul_f64 v[36:37], v[64:65], v[32:33]
	s_delay_alu instid0(VALU_DEP_2) | instskip(NEXT) | instid1(VALU_DEP_2)
	v_fma_f64 v[34:35], v[64:65], v[30:31], -v[34:35]
	v_fma_f64 v[36:37], v[66:67], v[30:31], v[36:37]
	s_delay_alu instid0(VALU_DEP_2) | instskip(NEXT) | instid1(VALU_DEP_2)
	v_add_f64 v[44:45], v[44:45], v[34:35]
	v_add_f64 v[42:43], v[42:43], v[36:37]
	ds_load_b128 v[34:37], v50 offset:8208
	s_waitcnt lgkmcnt(0)
	v_mul_f64 v[64:65], v[36:37], v[28:29]
	v_mul_f64 v[28:29], v[34:35], v[28:29]
	s_delay_alu instid0(VALU_DEP_2) | instskip(NEXT) | instid1(VALU_DEP_2)
	v_fma_f64 v[64:65], v[34:35], v[26:27], -v[64:65]
	v_fma_f64 v[26:27], v[36:37], v[26:27], v[28:29]
	v_mul_f64 v[28:29], v[34:35], v[32:33]
	s_delay_alu instid0(VALU_DEP_3) | instskip(NEXT) | instid1(VALU_DEP_3)
	v_add_f64 v[64:65], v[78:79], v[64:65]
	v_add_f64 v[66:67], v[76:77], v[26:27]
	v_mul_f64 v[26:27], v[36:37], v[32:33]
	s_delay_alu instid0(VALU_DEP_4) | instskip(NEXT) | instid1(VALU_DEP_2)
	v_fma_f64 v[28:29], v[36:37], v[30:31], v[28:29]
	v_fma_f64 v[26:27], v[34:35], v[30:31], -v[26:27]
	s_delay_alu instid0(VALU_DEP_2) | instskip(NEXT) | instid1(VALU_DEP_2)
	v_add_f64 v[40:41], v[40:41], v[28:29]
	v_add_f64 v[38:39], v[38:39], v[26:27]
	ds_load_b128 v[26:29], v48 offset:1024
	s_waitcnt lgkmcnt(0)
	v_mul_f64 v[30:31], v[70:71], v[28:29]
	v_mul_f64 v[32:33], v[68:69], v[28:29]
	s_delay_alu instid0(VALU_DEP_2) | instskip(NEXT) | instid1(VALU_DEP_2)
	v_fma_f64 v[30:31], v[68:69], v[26:27], -v[30:31]
	v_fma_f64 v[32:33], v[70:71], v[26:27], v[32:33]
	s_delay_alu instid0(VALU_DEP_2) | instskip(NEXT) | instid1(VALU_DEP_2)
	v_add_f64 v[2:3], v[2:3], v[30:31]
	v_add_f64 v[76:77], v[80:81], v[32:33]
	ds_load_b128 v[30:33], v48 offset:1280
	s_waitcnt lgkmcnt(0)
	v_mul_f64 v[34:35], v[70:71], v[32:33]
	v_mul_f64 v[36:37], v[68:69], v[32:33]
	s_delay_alu instid0(VALU_DEP_2) | instskip(NEXT) | instid1(VALU_DEP_2)
	v_fma_f64 v[34:35], v[68:69], v[30:31], -v[34:35]
	v_fma_f64 v[36:37], v[70:71], v[30:31], v[36:37]
	s_delay_alu instid0(VALU_DEP_2) | instskip(NEXT) | instid1(VALU_DEP_2)
	v_add_f64 v[44:45], v[44:45], v[34:35]
	v_add_f64 v[42:43], v[42:43], v[36:37]
	ds_load_b128 v[34:37], v50 offset:8224
	s_waitcnt lgkmcnt(0)
	v_mul_f64 v[68:69], v[36:37], v[28:29]
	v_mul_f64 v[28:29], v[34:35], v[28:29]
	s_delay_alu instid0(VALU_DEP_2) | instskip(NEXT) | instid1(VALU_DEP_2)
	v_fma_f64 v[68:69], v[34:35], v[26:27], -v[68:69]
	v_fma_f64 v[26:27], v[36:37], v[26:27], v[28:29]
	v_mul_f64 v[28:29], v[34:35], v[32:33]
	s_delay_alu instid0(VALU_DEP_3) | instskip(NEXT) | instid1(VALU_DEP_3)
	v_add_f64 v[64:65], v[64:65], v[68:69]
	v_add_f64 v[66:67], v[66:67], v[26:27]
	v_mul_f64 v[26:27], v[36:37], v[32:33]
	s_delay_alu instid0(VALU_DEP_4) | instskip(NEXT) | instid1(VALU_DEP_2)
	v_fma_f64 v[28:29], v[36:37], v[30:31], v[28:29]
	v_fma_f64 v[26:27], v[34:35], v[30:31], -v[26:27]
	s_delay_alu instid0(VALU_DEP_2) | instskip(NEXT) | instid1(VALU_DEP_2)
	;; [unrolled: 38-line block ×3, first 2 shown]
	v_add_f64 v[40:41], v[40:41], v[28:29]
	v_add_f64 v[38:39], v[38:39], v[26:27]
	ds_load_b128 v[26:29], v50 offset:64
	ds_load_b128 v[30:33], v48 offset:2048
	s_waitcnt lgkmcnt(0)
	v_mul_f64 v[34:35], v[28:29], v[32:33]
	v_mul_f64 v[36:37], v[26:27], v[32:33]
	s_delay_alu instid0(VALU_DEP_2) | instskip(NEXT) | instid1(VALU_DEP_2)
	v_fma_f64 v[34:35], v[26:27], v[30:31], -v[34:35]
	v_fma_f64 v[36:37], v[28:29], v[30:31], v[36:37]
	s_delay_alu instid0(VALU_DEP_2) | instskip(NEXT) | instid1(VALU_DEP_2)
	v_add_f64 v[2:3], v[2:3], v[34:35]
	v_add_f64 v[68:69], v[68:69], v[36:37]
	ds_load_b128 v[34:37], v48 offset:2304
	s_waitcnt lgkmcnt(0)
	v_mul_f64 v[70:71], v[28:29], v[36:37]
	s_delay_alu instid0(VALU_DEP_1) | instskip(SKIP_1) | instid1(VALU_DEP_2)
	v_fma_f64 v[70:71], v[26:27], v[34:35], -v[70:71]
	v_mul_f64 v[26:27], v[26:27], v[36:37]
	v_add_f64 v[44:45], v[44:45], v[70:71]
	s_delay_alu instid0(VALU_DEP_2) | instskip(NEXT) | instid1(VALU_DEP_1)
	v_fma_f64 v[26:27], v[28:29], v[34:35], v[26:27]
	v_add_f64 v[42:43], v[42:43], v[26:27]
	ds_load_b128 v[26:29], v50 offset:8256
	s_waitcnt lgkmcnt(0)
	v_mul_f64 v[70:71], v[28:29], v[32:33]
	v_mul_f64 v[32:33], v[26:27], v[32:33]
	s_delay_alu instid0(VALU_DEP_2) | instskip(NEXT) | instid1(VALU_DEP_2)
	v_fma_f64 v[70:71], v[26:27], v[30:31], -v[70:71]
	v_fma_f64 v[30:31], v[28:29], v[30:31], v[32:33]
	s_delay_alu instid0(VALU_DEP_2) | instskip(NEXT) | instid1(VALU_DEP_2)
	v_add_f64 v[64:65], v[64:65], v[70:71]
	v_add_f64 v[66:67], v[66:67], v[30:31]
	v_mul_f64 v[30:31], v[28:29], v[36:37]
	s_delay_alu instid0(VALU_DEP_1) | instskip(SKIP_1) | instid1(VALU_DEP_2)
	v_fma_f64 v[30:31], v[26:27], v[34:35], -v[30:31]
	v_mul_f64 v[26:27], v[26:27], v[36:37]
	v_add_f64 v[38:39], v[38:39], v[30:31]
	s_delay_alu instid0(VALU_DEP_2) | instskip(NEXT) | instid1(VALU_DEP_1)
	v_fma_f64 v[26:27], v[28:29], v[34:35], v[26:27]
	v_add_f64 v[40:41], v[40:41], v[26:27]
	ds_load_b128 v[26:29], v50 offset:80
	ds_load_b128 v[30:33], v48 offset:2560
	s_waitcnt lgkmcnt(0)
	v_mul_f64 v[34:35], v[28:29], v[32:33]
	v_mul_f64 v[36:37], v[26:27], v[32:33]
	s_delay_alu instid0(VALU_DEP_2) | instskip(NEXT) | instid1(VALU_DEP_2)
	v_fma_f64 v[34:35], v[26:27], v[30:31], -v[34:35]
	v_fma_f64 v[36:37], v[28:29], v[30:31], v[36:37]
	s_delay_alu instid0(VALU_DEP_2) | instskip(NEXT) | instid1(VALU_DEP_2)
	v_add_f64 v[2:3], v[2:3], v[34:35]
	v_add_f64 v[68:69], v[68:69], v[36:37]
	ds_load_b128 v[34:37], v48 offset:2816
	s_waitcnt lgkmcnt(0)
	v_mul_f64 v[70:71], v[28:29], v[36:37]
	s_delay_alu instid0(VALU_DEP_1) | instskip(SKIP_1) | instid1(VALU_DEP_2)
	v_fma_f64 v[70:71], v[26:27], v[34:35], -v[70:71]
	v_mul_f64 v[26:27], v[26:27], v[36:37]
	v_add_f64 v[44:45], v[44:45], v[70:71]
	s_delay_alu instid0(VALU_DEP_2) | instskip(NEXT) | instid1(VALU_DEP_1)
	v_fma_f64 v[26:27], v[28:29], v[34:35], v[26:27]
	v_add_f64 v[42:43], v[42:43], v[26:27]
	ds_load_b128 v[26:29], v50 offset:8272
	s_waitcnt lgkmcnt(0)
	v_mul_f64 v[70:71], v[28:29], v[32:33]
	v_mul_f64 v[32:33], v[26:27], v[32:33]
	s_delay_alu instid0(VALU_DEP_2) | instskip(NEXT) | instid1(VALU_DEP_2)
	v_fma_f64 v[70:71], v[26:27], v[30:31], -v[70:71]
	v_fma_f64 v[30:31], v[28:29], v[30:31], v[32:33]
	s_delay_alu instid0(VALU_DEP_2) | instskip(NEXT) | instid1(VALU_DEP_2)
	v_add_f64 v[64:65], v[64:65], v[70:71]
	v_add_f64 v[66:67], v[66:67], v[30:31]
	v_mul_f64 v[30:31], v[28:29], v[36:37]
	s_delay_alu instid0(VALU_DEP_1) | instskip(SKIP_1) | instid1(VALU_DEP_2)
	v_fma_f64 v[30:31], v[26:27], v[34:35], -v[30:31]
	v_mul_f64 v[26:27], v[26:27], v[36:37]
	v_add_f64 v[38:39], v[38:39], v[30:31]
	s_delay_alu instid0(VALU_DEP_2) | instskip(NEXT) | instid1(VALU_DEP_1)
	v_fma_f64 v[26:27], v[28:29], v[34:35], v[26:27]
	;; [unrolled: 39-line block ×27, first 2 shown]
	v_add_f64 v[80:81], v[40:41], v[26:27]
	ds_load_b128 v[26:29], v50 offset:496
	ds_load_b128 v[32:35], v48 offset:15872
	;; [unrolled: 1-line block ×4, first 2 shown]
	s_waitcnt lgkmcnt(0)
	s_barrier
	buffer_gl0_inv
	v_mul_f64 v[30:31], v[28:29], v[34:35]
	v_mul_f64 v[36:37], v[26:27], v[34:35]
	s_delay_alu instid0(VALU_DEP_2) | instskip(NEXT) | instid1(VALU_DEP_2)
	v_fma_f64 v[30:31], v[26:27], v[32:33], -v[30:31]
	v_fma_f64 v[36:37], v[28:29], v[32:33], v[36:37]
	s_delay_alu instid0(VALU_DEP_2) | instskip(SKIP_1) | instid1(VALU_DEP_3)
	v_add_f64 v[38:39], v[2:3], v[30:31]
	v_mul_f64 v[2:3], v[28:29], v[44:45]
	v_add_f64 v[40:41], v[68:69], v[36:37]
	s_delay_alu instid0(VALU_DEP_2) | instskip(SKIP_1) | instid1(VALU_DEP_1)
	v_fma_f64 v[2:3], v[26:27], v[42:43], -v[2:3]
	v_mul_f64 v[26:27], v[26:27], v[44:45]
	v_fma_f64 v[26:27], v[28:29], v[42:43], v[26:27]
	s_delay_alu instid0(VALU_DEP_3) | instskip(SKIP_1) | instid1(VALU_DEP_3)
	v_add_f64 v[28:29], v[70:71], v[2:3]
	v_mul_f64 v[2:3], v[66:67], v[34:35]
	v_add_f64 v[30:31], v[72:73], v[26:27]
	v_mul_f64 v[26:27], v[64:65], v[34:35]
	s_delay_alu instid0(VALU_DEP_3) | instskip(NEXT) | instid1(VALU_DEP_2)
	v_fma_f64 v[2:3], v[64:65], v[32:33], -v[2:3]
	v_fma_f64 v[26:27], v[66:67], v[32:33], v[26:27]
	s_delay_alu instid0(VALU_DEP_2) | instskip(SKIP_1) | instid1(VALU_DEP_3)
	v_add_f64 v[34:35], v[74:75], v[2:3]
	v_mul_f64 v[2:3], v[66:67], v[44:45]
	v_add_f64 v[36:37], v[76:77], v[26:27]
	v_mul_f64 v[26:27], v[64:65], v[44:45]
	s_delay_alu instid0(VALU_DEP_3) | instskip(NEXT) | instid1(VALU_DEP_2)
	v_fma_f64 v[2:3], v[64:65], v[42:43], -v[2:3]
	v_fma_f64 v[26:27], v[66:67], v[42:43], v[26:27]
	s_delay_alu instid0(VALU_DEP_2) | instskip(NEXT) | instid1(VALU_DEP_2)
	v_add_f64 v[32:33], v[78:79], v[2:3]
	v_add_f64 v[26:27], v[80:81], v[26:27]
	s_cbranch_scc1 .LBB115_55
.LBB115_7:                              ;   Parent Loop BB115_4 Depth=1
                                        ; =>  This Inner Loop Header: Depth=2
	v_add_co_u32 v44, s5, v46, s18
	s_delay_alu instid0(VALU_DEP_1) | instskip(SKIP_1) | instid1(VALU_DEP_2)
	v_add_co_ci_u32_e64 v45, null, 0, s19, s5
	v_cmp_eq_u64_e64 s7, s[18:19], v[10:11]
	v_cmp_le_i64_e64 s6, s[12:13], v[44:45]
	v_cmp_gt_i64_e64 s5, v[44:45], v[4:5]
	s_delay_alu instid0(VALU_DEP_3) | instskip(NEXT) | instid1(VALU_DEP_1)
	s_and_b32 s20, s42, s7
	s_or_b32 s7, s6, s5
	s_delay_alu instid0(SALU_CYCLE_1) | instskip(SKIP_1) | instid1(VALU_DEP_1)
	s_or_b32 s8, s7, s20
	v_add_co_u32 v42, s7, v58, s16
	v_add_co_ci_u32_e64 v43, s7, s17, v59, s7
	s_or_b32 s7, s0, s8
	s_delay_alu instid0(SALU_CYCLE_1) | instskip(NEXT) | instid1(SALU_CYCLE_1)
	s_xor_b32 s7, s7, -1
	s_and_saveexec_b32 s8, s7
	s_delay_alu instid0(SALU_CYCLE_1)
	s_xor_b32 s7, exec_lo, s8
	s_cbranch_execz .LBB115_9
; %bb.8:                                ;   in Loop: Header=BB115_7 Depth=2
	global_load_b128 v[64:67], v[42:43], off offset:-256
	s_waitcnt vmcnt(0)
	ds_store_2addr_b64 v49, v[64:65], v[66:67] offset1:1
.LBB115_9:                              ;   in Loop: Header=BB115_7 Depth=2
	s_or_saveexec_b32 s7, s7
	s_xor_b32 s15, s20, -1
	s_xor_b32 exec_lo, exec_lo, s7
	s_cbranch_execz .LBB115_15
; %bb.10:                               ;   in Loop: Header=BB115_7 Depth=2
	s_and_saveexec_b32 s8, s15
	s_delay_alu instid0(SALU_CYCLE_1)
	s_xor_b32 s8, exec_lo, s8
	s_cbranch_execz .LBB115_12
; %bb.11:                               ;   in Loop: Header=BB115_7 Depth=2
	v_mov_b32_e32 v64, v0
	v_mov_b32_e32 v65, v0
	;; [unrolled: 1-line block ×4, first 2 shown]
	ds_store_b128 v49, v[64:67]
.LBB115_12:                             ;   in Loop: Header=BB115_7 Depth=2
	s_and_not1_saveexec_b32 s8, s8
	s_cbranch_execz .LBB115_14
; %bb.13:                               ;   in Loop: Header=BB115_7 Depth=2
	v_mov_b32_e32 v2, v0
	v_mov_b32_e32 v3, v0
	ds_store_b128 v49, v[0:3]
.LBB115_14:                             ;   in Loop: Header=BB115_7 Depth=2
	s_or_b32 exec_lo, exec_lo, s8
.LBB115_15:                             ;   in Loop: Header=BB115_7 Depth=2
	s_delay_alu instid0(SALU_CYCLE_1) | instskip(SKIP_2) | instid1(VALU_DEP_2)
	s_or_b32 exec_lo, exec_lo, s7
	v_cmp_eq_u64_e64 s7, s[18:19], v[12:13]
	v_cmp_lt_i64_e64 s8, v[8:9], v[44:45]
	s_and_b32 s7, s42, s7
	s_delay_alu instid0(VALU_DEP_1) | instskip(NEXT) | instid1(SALU_CYCLE_1)
	s_or_b32 s6, s6, s8
	s_or_b32 s6, s6, s7
	s_delay_alu instid0(SALU_CYCLE_1) | instskip(NEXT) | instid1(SALU_CYCLE_1)
	s_or_b32 s6, s3, s6
	s_xor_b32 s6, s6, -1
	s_delay_alu instid0(SALU_CYCLE_1) | instskip(NEXT) | instid1(SALU_CYCLE_1)
	s_and_saveexec_b32 s8, s6
	s_xor_b32 s8, exec_lo, s8
	s_cbranch_execz .LBB115_17
; %bb.16:                               ;   in Loop: Header=BB115_7 Depth=2
	v_add_co_u32 v2, s6, v60, s16
	s_delay_alu instid0(VALU_DEP_1)
	v_add_co_ci_u32_e64 v3, s6, s17, v61, s6
	global_load_b128 v[64:67], v[2:3], off
	s_waitcnt vmcnt(0)
	ds_store_2addr_b64 v51, v[64:65], v[66:67] offset1:1
.LBB115_17:                             ;   in Loop: Header=BB115_7 Depth=2
	s_and_not1_saveexec_b32 s6, s8
	s_cbranch_execz .LBB115_23
; %bb.18:                               ;   in Loop: Header=BB115_7 Depth=2
	s_xor_b32 s7, s7, -1
	s_delay_alu instid0(SALU_CYCLE_1) | instskip(NEXT) | instid1(SALU_CYCLE_1)
	s_and_saveexec_b32 s8, s7
	s_xor_b32 s7, exec_lo, s8
	s_cbranch_execz .LBB115_20
; %bb.19:                               ;   in Loop: Header=BB115_7 Depth=2
	v_mov_b32_e32 v64, v0
	v_mov_b32_e32 v65, v0
	;; [unrolled: 1-line block ×4, first 2 shown]
	ds_store_b128 v51, v[64:67]
.LBB115_20:                             ;   in Loop: Header=BB115_7 Depth=2
	s_and_not1_saveexec_b32 s7, s7
	s_cbranch_execz .LBB115_22
; %bb.21:                               ;   in Loop: Header=BB115_7 Depth=2
	v_mov_b32_e32 v2, v0
	v_mov_b32_e32 v3, v0
	ds_store_b128 v51, v[0:3]
.LBB115_22:                             ;   in Loop: Header=BB115_7 Depth=2
	s_or_b32 exec_lo, exec_lo, s7
.LBB115_23:                             ;   in Loop: Header=BB115_7 Depth=2
	s_delay_alu instid0(SALU_CYCLE_1) | instskip(SKIP_1) | instid1(VALU_DEP_1)
	s_or_b32 exec_lo, exec_lo, s6
	v_add_co_u32 v2, s6, v44, 16
	v_add_co_ci_u32_e64 v3, s6, 0, v45, s6
	v_cmp_eq_u64_e64 s7, s[18:19], v[14:15]
	s_delay_alu instid0(VALU_DEP_2) | instskip(SKIP_1) | instid1(VALU_DEP_3)
	v_cmp_le_i64_e64 s6, s[12:13], v[2:3]
	v_cmp_gt_i64_e64 s8, v[2:3], v[4:5]
	s_and_b32 s21, s42, s7
	s_delay_alu instid0(VALU_DEP_1) | instskip(NEXT) | instid1(SALU_CYCLE_1)
	s_or_b32 s7, s6, s8
	s_or_b32 s7, s7, s21
	s_delay_alu instid0(SALU_CYCLE_1) | instskip(NEXT) | instid1(SALU_CYCLE_1)
	s_or_b32 s7, s0, s7
	s_xor_b32 s7, s7, -1
	s_delay_alu instid0(SALU_CYCLE_1) | instskip(NEXT) | instid1(SALU_CYCLE_1)
	s_and_saveexec_b32 s8, s7
	s_xor_b32 s7, exec_lo, s8
	s_cbranch_execz .LBB115_25
; %bb.24:                               ;   in Loop: Header=BB115_7 Depth=2
	global_load_b128 v[42:45], v[42:43], off
	s_waitcnt vmcnt(0)
	ds_store_2addr_b64 v52, v[42:43], v[44:45] offset1:1
.LBB115_25:                             ;   in Loop: Header=BB115_7 Depth=2
	s_and_not1_saveexec_b32 s7, s7
	s_cbranch_execz .LBB115_31
; %bb.26:                               ;   in Loop: Header=BB115_7 Depth=2
	s_xor_b32 s8, s21, -1
	s_delay_alu instid0(SALU_CYCLE_1) | instskip(NEXT) | instid1(SALU_CYCLE_1)
	s_and_saveexec_b32 s21, s8
	s_xor_b32 s8, exec_lo, s21
	s_cbranch_execz .LBB115_28
; %bb.27:                               ;   in Loop: Header=BB115_7 Depth=2
	v_mov_b32_e32 v42, v0
	v_mov_b32_e32 v43, v0
	;; [unrolled: 1-line block ×4, first 2 shown]
	ds_store_b128 v52, v[42:45]
.LBB115_28:                             ;   in Loop: Header=BB115_7 Depth=2
	s_and_not1_saveexec_b32 s8, s8
	s_cbranch_execz .LBB115_30
; %bb.29:                               ;   in Loop: Header=BB115_7 Depth=2
	v_mov_b32_e32 v2, v0
	v_mov_b32_e32 v3, v0
	ds_store_b128 v52, v[0:3]
.LBB115_30:                             ;   in Loop: Header=BB115_7 Depth=2
	s_or_b32 exec_lo, exec_lo, s8
.LBB115_31:                             ;   in Loop: Header=BB115_7 Depth=2
	s_delay_alu instid0(SALU_CYCLE_1) | instskip(SKIP_1) | instid1(SALU_CYCLE_1)
	s_or_b32 exec_lo, exec_lo, s7
	s_or_b32 s5, s6, s5
	s_or_b32 s5, s5, s20
	s_delay_alu instid0(SALU_CYCLE_1) | instskip(NEXT) | instid1(SALU_CYCLE_1)
	s_or_b32 s5, s3, s5
	s_xor_b32 s5, s5, -1
	s_delay_alu instid0(SALU_CYCLE_1) | instskip(NEXT) | instid1(SALU_CYCLE_1)
	s_and_saveexec_b32 s6, s5
	s_xor_b32 s6, exec_lo, s6
	s_cbranch_execz .LBB115_33
; %bb.32:                               ;   in Loop: Header=BB115_7 Depth=2
	v_add_co_u32 v2, s5, v60, s16
	s_delay_alu instid0(VALU_DEP_1)
	v_add_co_ci_u32_e64 v3, s5, s17, v61, s5
	global_load_b128 v[42:45], v[2:3], off offset:256
	s_waitcnt vmcnt(0)
	ds_store_2addr_b64 v54, v[42:43], v[44:45] offset1:1
.LBB115_33:                             ;   in Loop: Header=BB115_7 Depth=2
	s_and_not1_saveexec_b32 s5, s6
	s_cbranch_execz .LBB115_39
; %bb.34:                               ;   in Loop: Header=BB115_7 Depth=2
	s_and_saveexec_b32 s6, s15
	s_delay_alu instid0(SALU_CYCLE_1)
	s_xor_b32 s6, exec_lo, s6
	s_cbranch_execz .LBB115_36
; %bb.35:                               ;   in Loop: Header=BB115_7 Depth=2
	v_mov_b32_e32 v42, v0
	v_mov_b32_e32 v43, v0
	;; [unrolled: 1-line block ×4, first 2 shown]
	ds_store_b128 v54, v[42:45]
.LBB115_36:                             ;   in Loop: Header=BB115_7 Depth=2
	s_and_not1_saveexec_b32 s6, s6
	s_cbranch_execz .LBB115_38
; %bb.37:                               ;   in Loop: Header=BB115_7 Depth=2
	v_mov_b32_e32 v2, v0
	v_mov_b32_e32 v3, v0
	ds_store_b128 v54, v[0:3]
.LBB115_38:                             ;   in Loop: Header=BB115_7 Depth=2
	s_or_b32 exec_lo, exec_lo, s6
.LBB115_39:                             ;   in Loop: Header=BB115_7 Depth=2
	s_delay_alu instid0(SALU_CYCLE_1) | instskip(SKIP_1) | instid1(VALU_DEP_1)
	s_or_b32 exec_lo, exec_lo, s5
	v_add_co_u32 v2, s5, v47, s18
	v_add_co_ci_u32_e64 v3, null, 0, s19, s5
	s_delay_alu instid0(VALU_DEP_1) | instskip(NEXT) | instid1(VALU_DEP_1)
	v_cmp_gt_i64_e64 s5, s[12:13], v[2:3]
	s_and_b32 s6, vcc_lo, s5
	s_delay_alu instid0(SALU_CYCLE_1) | instskip(NEXT) | instid1(SALU_CYCLE_1)
	s_xor_b32 s6, s6, -1
	s_and_saveexec_b32 s7, s6
	s_delay_alu instid0(SALU_CYCLE_1)
	s_xor_b32 s6, exec_lo, s7
	s_cbranch_execz .LBB115_41
; %bb.40:                               ;   in Loop: Header=BB115_7 Depth=2
	v_mov_b32_e32 v42, v0
	v_mov_b32_e32 v43, v0
	;; [unrolled: 1-line block ×4, first 2 shown]
	ds_store_b128 v53, v[42:45]
.LBB115_41:                             ;   in Loop: Header=BB115_7 Depth=2
	s_or_saveexec_b32 s7, s6
	v_add_co_u32 v42, s6, v22, s16
	s_delay_alu instid0(VALU_DEP_1)
	v_add_co_ci_u32_e64 v43, s6, s17, v23, s6
	s_xor_b32 exec_lo, exec_lo, s7
	s_cbranch_execz .LBB115_43
; %bb.42:                               ;   in Loop: Header=BB115_7 Depth=2
	global_load_b128 v[64:67], v[42:43], off offset:-256
	s_waitcnt vmcnt(0)
	ds_store_2addr_b64 v53, v[64:65], v[66:67] offset1:1
.LBB115_43:                             ;   in Loop: Header=BB115_7 Depth=2
	s_or_b32 exec_lo, exec_lo, s7
	v_cmp_gt_i64_e64 s6, s[34:35], v[2:3]
	s_delay_alu instid0(VALU_DEP_1) | instskip(NEXT) | instid1(SALU_CYCLE_1)
	s_and_b32 s7, vcc_lo, s6
	s_xor_b32 s7, s7, -1
	s_delay_alu instid0(SALU_CYCLE_1) | instskip(NEXT) | instid1(SALU_CYCLE_1)
	s_and_saveexec_b32 s8, s7
	s_xor_b32 s7, exec_lo, s8
	s_cbranch_execz .LBB115_45
; %bb.44:                               ;   in Loop: Header=BB115_7 Depth=2
	v_mov_b32_e32 v42, v0
	v_mov_b32_e32 v43, v0
	;; [unrolled: 1-line block ×4, first 2 shown]
	ds_store_b128 v55, v[42:45]
                                        ; implicit-def: $vgpr42_vgpr43
.LBB115_45:                             ;   in Loop: Header=BB115_7 Depth=2
	s_and_not1_saveexec_b32 s7, s7
	s_cbranch_execz .LBB115_47
; %bb.46:                               ;   in Loop: Header=BB115_7 Depth=2
	global_load_b128 v[42:45], v[42:43], off
	s_waitcnt vmcnt(0)
	ds_store_2addr_b64 v55, v[42:43], v[44:45] offset1:1
.LBB115_47:                             ;   in Loop: Header=BB115_7 Depth=2
	s_or_b32 exec_lo, exec_lo, s7
	s_and_b32 s5, s4, s5
	s_delay_alu instid0(SALU_CYCLE_1) | instskip(NEXT) | instid1(SALU_CYCLE_1)
	s_xor_b32 s5, s5, -1
	s_and_saveexec_b32 s7, s5
	s_delay_alu instid0(SALU_CYCLE_1)
	s_xor_b32 s5, exec_lo, s7
	s_cbranch_execz .LBB115_49
; %bb.48:                               ;   in Loop: Header=BB115_7 Depth=2
	v_mov_b32_e32 v42, v0
	v_mov_b32_e32 v43, v0
	;; [unrolled: 1-line block ×4, first 2 shown]
	ds_store_b128 v56, v[42:45]
.LBB115_49:                             ;   in Loop: Header=BB115_7 Depth=2
	s_and_not1_saveexec_b32 s7, s5
	s_cbranch_execz .LBB115_51
; %bb.50:                               ;   in Loop: Header=BB115_7 Depth=2
	v_add_co_u32 v2, s5, v24, s16
	s_delay_alu instid0(VALU_DEP_1)
	v_add_co_ci_u32_e64 v3, s5, s17, v25, s5
	global_load_b128 v[42:45], v[2:3], off offset:-256
	s_waitcnt vmcnt(0)
	ds_store_2addr_b64 v56, v[42:43], v[44:45] offset1:1
.LBB115_51:                             ;   in Loop: Header=BB115_7 Depth=2
	s_or_b32 exec_lo, exec_lo, s7
	s_and_b32 s5, s4, s6
	s_delay_alu instid0(SALU_CYCLE_1) | instskip(NEXT) | instid1(SALU_CYCLE_1)
	s_xor_b32 s5, s5, -1
	s_and_saveexec_b32 s6, s5
	s_delay_alu instid0(SALU_CYCLE_1)
	s_xor_b32 s5, exec_lo, s6
	s_cbranch_execz .LBB115_53
; %bb.52:                               ;   in Loop: Header=BB115_7 Depth=2
	v_mov_b32_e32 v42, v0
	v_mov_b32_e32 v43, v0
	;; [unrolled: 1-line block ×4, first 2 shown]
	ds_store_b128 v57, v[42:45]
.LBB115_53:                             ;   in Loop: Header=BB115_7 Depth=2
	s_and_not1_saveexec_b32 s6, s5
	s_cbranch_execz .LBB115_6
; %bb.54:                               ;   in Loop: Header=BB115_7 Depth=2
	v_add_co_u32 v2, s5, v24, s16
	s_delay_alu instid0(VALU_DEP_1)
	v_add_co_ci_u32_e64 v3, s5, s17, v25, s5
	global_load_b128 v[42:45], v[2:3], off
	s_waitcnt vmcnt(0)
	ds_store_2addr_b64 v57, v[42:43], v[44:45] offset1:1
	s_branch .LBB115_6
.LBB115_55:                             ;   in Loop: Header=BB115_4 Depth=1
	v_mul_lo_u32 v21, v63, s40
	v_mul_lo_u32 v22, v62, s41
	v_mad_u64_u32 v[2:3], null, v62, s40, 0
	v_cmp_gt_i32_e32 vcc_lo, s10, v62
	s_delay_alu instid0(VALU_DEP_2) | instskip(NEXT) | instid1(VALU_DEP_1)
	v_add3_u32 v3, v3, v22, v21
	v_lshlrev_b64 v[2:3], 4, v[2:3]
	s_delay_alu instid0(VALU_DEP_1) | instskip(NEXT) | instid1(VALU_DEP_1)
	v_add_co_u32 v2, s4, s36, v2
	v_add_co_ci_u32_e64 v3, s4, s37, v3, s4
	s_and_b32 s4, s1, vcc_lo
	s_delay_alu instid0(SALU_CYCLE_1)
	s_and_saveexec_b32 s5, s4
	s_cbranch_execz .LBB115_57
; %bb.56:                               ;   in Loop: Header=BB115_4 Depth=1
	v_add_co_u32 v42, s4, v2, v18
	s_delay_alu instid0(VALU_DEP_1)
	v_add_co_ci_u32_e64 v43, s4, v3, v19, s4
	v_mul_f64 v[44:45], s[46:47], v[40:41]
	v_mul_f64 v[40:41], s[44:45], v[40:41]
	global_load_b128 v[21:24], v[42:43], off
	v_fma_f64 v[44:45], s[44:45], v[38:39], -v[44:45]
	v_fma_f64 v[38:39], s[46:47], v[38:39], v[40:41]
	s_waitcnt vmcnt(0)
	s_delay_alu instid0(VALU_DEP_2) | instskip(NEXT) | instid1(VALU_DEP_2)
	v_add_f64 v[21:22], v[21:22], v[44:45]
	v_add_f64 v[23:24], v[23:24], v[38:39]
	global_store_b128 v[42:43], v[21:24], off
.LBB115_57:                             ;   in Loop: Header=BB115_4 Depth=1
	s_or_b32 exec_lo, exec_lo, s5
	s_and_b32 s5, s2, vcc_lo
	s_delay_alu instid0(SALU_CYCLE_1)
	s_and_saveexec_b32 s4, s5
	s_cbranch_execz .LBB115_59
; %bb.58:                               ;   in Loop: Header=BB115_4 Depth=1
	v_lshlrev_b64 v[21:22], 4, v[6:7]
	v_mul_f64 v[38:39], s[46:47], v[30:31]
	v_mul_f64 v[30:31], s[44:45], v[30:31]
	s_delay_alu instid0(VALU_DEP_3) | instskip(NEXT) | instid1(VALU_DEP_4)
	v_add_co_u32 v2, vcc_lo, v2, v21
	v_add_co_ci_u32_e32 v3, vcc_lo, v3, v22, vcc_lo
	global_load_b128 v[21:24], v[2:3], off
	v_fma_f64 v[38:39], s[44:45], v[28:29], -v[38:39]
	v_fma_f64 v[28:29], s[46:47], v[28:29], v[30:31]
	s_waitcnt vmcnt(0)
	s_delay_alu instid0(VALU_DEP_2) | instskip(NEXT) | instid1(VALU_DEP_2)
	v_add_f64 v[21:22], v[21:22], v[38:39]
	v_add_f64 v[23:24], v[23:24], v[28:29]
	global_store_b128 v[2:3], v[21:24], off
.LBB115_59:                             ;   in Loop: Header=BB115_4 Depth=1
	s_or_b32 exec_lo, exec_lo, s4
	v_add_nc_u32_e32 v21, 16, v62
	s_delay_alu instid0(VALU_DEP_1) | instskip(SKIP_3) | instid1(VALU_DEP_4)
	v_ashrrev_i32_e32 v22, 31, v21
	v_mul_lo_u32 v23, v21, s41
	v_mad_u64_u32 v[2:3], null, v21, s40, 0
	v_cmp_gt_i32_e32 vcc_lo, s10, v21
	v_mul_lo_u32 v22, v22, s40
	s_delay_alu instid0(VALU_DEP_1) | instskip(NEXT) | instid1(VALU_DEP_1)
	v_add3_u32 v3, v3, v23, v22
	v_lshlrev_b64 v[2:3], 4, v[2:3]
	s_delay_alu instid0(VALU_DEP_1) | instskip(NEXT) | instid1(VALU_DEP_1)
	v_add_co_u32 v2, s4, s36, v2
	v_add_co_ci_u32_e64 v3, s4, s37, v3, s4
	s_and_b32 s4, s1, vcc_lo
	s_delay_alu instid0(SALU_CYCLE_1)
	s_and_saveexec_b32 s5, s4
	s_cbranch_execz .LBB115_61
; %bb.60:                               ;   in Loop: Header=BB115_4 Depth=1
	v_add_co_u32 v28, s4, v2, v18
	s_delay_alu instid0(VALU_DEP_1)
	v_add_co_ci_u32_e64 v29, s4, v3, v19, s4
	v_mul_f64 v[30:31], s[46:47], v[36:37]
	v_mul_f64 v[36:37], s[44:45], v[36:37]
	global_load_b128 v[21:24], v[28:29], off
	v_fma_f64 v[30:31], s[44:45], v[34:35], -v[30:31]
	v_fma_f64 v[34:35], s[46:47], v[34:35], v[36:37]
	s_waitcnt vmcnt(0)
	s_delay_alu instid0(VALU_DEP_2) | instskip(NEXT) | instid1(VALU_DEP_2)
	v_add_f64 v[21:22], v[21:22], v[30:31]
	v_add_f64 v[23:24], v[23:24], v[34:35]
	global_store_b128 v[28:29], v[21:24], off
.LBB115_61:                             ;   in Loop: Header=BB115_4 Depth=1
	s_or_b32 exec_lo, exec_lo, s5
	s_and_b32 s5, s2, vcc_lo
	s_delay_alu instid0(SALU_CYCLE_1)
	s_and_saveexec_b32 s4, s5
	s_cbranch_execz .LBB115_3
; %bb.62:                               ;   in Loop: Header=BB115_4 Depth=1
	v_lshlrev_b64 v[21:22], 4, v[6:7]
	v_mul_f64 v[28:29], s[46:47], v[26:27]
	v_mul_f64 v[25:26], s[44:45], v[26:27]
	s_delay_alu instid0(VALU_DEP_3) | instskip(NEXT) | instid1(VALU_DEP_4)
	v_add_co_u32 v2, vcc_lo, v2, v21
	v_add_co_ci_u32_e32 v3, vcc_lo, v3, v22, vcc_lo
	global_load_b128 v[21:24], v[2:3], off
	v_fma_f64 v[27:28], s[44:45], v[32:33], -v[28:29]
	v_fma_f64 v[25:26], s[46:47], v[32:33], v[25:26]
	s_waitcnt vmcnt(0)
	s_delay_alu instid0(VALU_DEP_2) | instskip(NEXT) | instid1(VALU_DEP_2)
	v_add_f64 v[21:22], v[21:22], v[27:28]
	v_add_f64 v[23:24], v[23:24], v[25:26]
	global_store_b128 v[2:3], v[21:24], off
	s_branch .LBB115_3
.LBB115_63:
	s_nop 0
	s_sendmsg sendmsg(MSG_DEALLOC_VGPRS)
	s_endpgm
	.section	.rodata,"a",@progbits
	.p2align	6, 0x0
	.amdhsa_kernel _ZL30rocblas_trmm_outofplace_kernelI19rocblas_complex_numIdELi32ELi2ELb1ELb1ELb1ELb0ES1_KS1_S1_Ev17rocblas_diagonal_iiT6_lPT7_lllS6_lllPT8_llli
		.amdhsa_group_segment_fixed_size 32768
		.amdhsa_private_segment_fixed_size 0
		.amdhsa_kernarg_size 400
		.amdhsa_user_sgpr_count 13
		.amdhsa_user_sgpr_dispatch_ptr 0
		.amdhsa_user_sgpr_queue_ptr 0
		.amdhsa_user_sgpr_kernarg_segment_ptr 1
		.amdhsa_user_sgpr_dispatch_id 0
		.amdhsa_user_sgpr_private_segment_size 0
		.amdhsa_wavefront_size32 1
		.amdhsa_uses_dynamic_stack 0
		.amdhsa_enable_private_segment 0
		.amdhsa_system_sgpr_workgroup_id_x 1
		.amdhsa_system_sgpr_workgroup_id_y 1
		.amdhsa_system_sgpr_workgroup_id_z 1
		.amdhsa_system_sgpr_workgroup_info 0
		.amdhsa_system_vgpr_workitem_id 1
		.amdhsa_next_free_vgpr 84
		.amdhsa_next_free_sgpr 48
		.amdhsa_reserve_vcc 1
		.amdhsa_float_round_mode_32 0
		.amdhsa_float_round_mode_16_64 0
		.amdhsa_float_denorm_mode_32 3
		.amdhsa_float_denorm_mode_16_64 3
		.amdhsa_dx10_clamp 1
		.amdhsa_ieee_mode 1
		.amdhsa_fp16_overflow 0
		.amdhsa_workgroup_processor_mode 1
		.amdhsa_memory_ordered 1
		.amdhsa_forward_progress 0
		.amdhsa_shared_vgpr_count 0
		.amdhsa_exception_fp_ieee_invalid_op 0
		.amdhsa_exception_fp_denorm_src 0
		.amdhsa_exception_fp_ieee_div_zero 0
		.amdhsa_exception_fp_ieee_overflow 0
		.amdhsa_exception_fp_ieee_underflow 0
		.amdhsa_exception_fp_ieee_inexact 0
		.amdhsa_exception_int_div_zero 0
	.end_amdhsa_kernel
	.section	.text._ZL30rocblas_trmm_outofplace_kernelI19rocblas_complex_numIdELi32ELi2ELb1ELb1ELb1ELb0ES1_KS1_S1_Ev17rocblas_diagonal_iiT6_lPT7_lllS6_lllPT8_llli,"axG",@progbits,_ZL30rocblas_trmm_outofplace_kernelI19rocblas_complex_numIdELi32ELi2ELb1ELb1ELb1ELb0ES1_KS1_S1_Ev17rocblas_diagonal_iiT6_lPT7_lllS6_lllPT8_llli,comdat
.Lfunc_end115:
	.size	_ZL30rocblas_trmm_outofplace_kernelI19rocblas_complex_numIdELi32ELi2ELb1ELb1ELb1ELb0ES1_KS1_S1_Ev17rocblas_diagonal_iiT6_lPT7_lllS6_lllPT8_llli, .Lfunc_end115-_ZL30rocblas_trmm_outofplace_kernelI19rocblas_complex_numIdELi32ELi2ELb1ELb1ELb1ELb0ES1_KS1_S1_Ev17rocblas_diagonal_iiT6_lPT7_lllS6_lllPT8_llli
                                        ; -- End function
	.section	.AMDGPU.csdata,"",@progbits
; Kernel info:
; codeLenInByte = 11504
; NumSgprs: 50
; NumVgprs: 84
; ScratchSize: 0
; MemoryBound: 0
; FloatMode: 240
; IeeeMode: 1
; LDSByteSize: 32768 bytes/workgroup (compile time only)
; SGPRBlocks: 6
; VGPRBlocks: 10
; NumSGPRsForWavesPerEU: 50
; NumVGPRsForWavesPerEU: 84
; Occupancy: 16
; WaveLimiterHint : 0
; COMPUTE_PGM_RSRC2:SCRATCH_EN: 0
; COMPUTE_PGM_RSRC2:USER_SGPR: 13
; COMPUTE_PGM_RSRC2:TRAP_HANDLER: 0
; COMPUTE_PGM_RSRC2:TGID_X_EN: 1
; COMPUTE_PGM_RSRC2:TGID_Y_EN: 1
; COMPUTE_PGM_RSRC2:TGID_Z_EN: 1
; COMPUTE_PGM_RSRC2:TIDIG_COMP_CNT: 1
	.section	.text._ZL30rocblas_trmm_outofplace_kernelI19rocblas_complex_numIdELi32ELi2ELb1ELb0ELb1ELb1EPKS1_S2_S1_Ev17rocblas_diagonal_iiT6_lPT7_lllS7_lllPT8_llli,"axG",@progbits,_ZL30rocblas_trmm_outofplace_kernelI19rocblas_complex_numIdELi32ELi2ELb1ELb0ELb1ELb1EPKS1_S2_S1_Ev17rocblas_diagonal_iiT6_lPT7_lllS7_lllPT8_llli,comdat
	.globl	_ZL30rocblas_trmm_outofplace_kernelI19rocblas_complex_numIdELi32ELi2ELb1ELb0ELb1ELb1EPKS1_S2_S1_Ev17rocblas_diagonal_iiT6_lPT7_lllS7_lllPT8_llli ; -- Begin function _ZL30rocblas_trmm_outofplace_kernelI19rocblas_complex_numIdELi32ELi2ELb1ELb0ELb1ELb1EPKS1_S2_S1_Ev17rocblas_diagonal_iiT6_lPT7_lllS7_lllPT8_llli
	.p2align	8
	.type	_ZL30rocblas_trmm_outofplace_kernelI19rocblas_complex_numIdELi32ELi2ELb1ELb0ELb1ELb1EPKS1_S2_S1_Ev17rocblas_diagonal_iiT6_lPT7_lllS7_lllPT8_llli,@function
_ZL30rocblas_trmm_outofplace_kernelI19rocblas_complex_numIdELi32ELi2ELb1ELb0ELb1ELb1EPKS1_S2_S1_Ev17rocblas_diagonal_iiT6_lPT7_lllS7_lllPT8_llli: ; @_ZL30rocblas_trmm_outofplace_kernelI19rocblas_complex_numIdELi32ELi2ELb1ELb0ELb1ELb1EPKS1_S2_S1_Ev17rocblas_diagonal_iiT6_lPT7_lllS7_lllPT8_llli
; %bb.0:
	s_load_b512 s[16:31], s[0:1], 0x10
	s_waitcnt lgkmcnt(0)
	s_mul_i32 s3, s15, s19
	s_mul_hi_u32 s4, s15, s18
	s_mul_i32 s2, s15, s18
	s_add_i32 s3, s4, s3
	s_delay_alu instid0(SALU_CYCLE_1) | instskip(NEXT) | instid1(SALU_CYCLE_1)
	s_lshl_b64 s[2:3], s[2:3], 4
	s_add_u32 s2, s16, s2
	s_addc_u32 s3, s17, s3
	s_load_b128 s[16:19], s[2:3], 0x0
	s_waitcnt lgkmcnt(0)
	v_cmp_eq_f64_e64 s2, s[16:17], 0
	v_cmp_eq_f64_e64 s3, s[18:19], 0
	s_delay_alu instid0(VALU_DEP_1) | instskip(NEXT) | instid1(SALU_CYCLE_1)
	s_and_b32 s2, s2, s3
	s_and_b32 vcc_lo, exec_lo, s2
	s_cbranch_vccnz .LBB116_63
; %bb.1:
	s_load_b128 s[8:11], s[0:1], 0x0
	s_waitcnt lgkmcnt(0)
	s_add_i32 s2, s10, -1
	s_delay_alu instid0(SALU_CYCLE_1) | instskip(NEXT) | instid1(SALU_CYCLE_1)
	s_ashr_i32 s3, s2, 31
	s_lshr_b32 s3, s3, 27
	s_delay_alu instid0(SALU_CYCLE_1) | instskip(NEXT) | instid1(SALU_CYCLE_1)
	s_add_i32 s2, s2, s3
	s_ashr_i32 s11, s2, 5
	s_delay_alu instid0(SALU_CYCLE_1)
	s_cmp_gt_i32 s14, s11
	s_cbranch_scc1 .LBB116_63
; %bb.2:
	s_clause 0x1
	s_load_b128 s[44:47], s[0:1], 0x70
	s_load_b256 s[36:43], s[0:1], 0x50
	s_mul_i32 s3, s15, s27
	s_mul_hi_u32 s4, s15, s26
	s_mul_i32 s2, s15, s26
	s_add_i32 s3, s4, s3
	s_load_b32 s33, s[0:1], 0x8c
	s_lshl_b64 s[4:5], s[2:3], 4
	v_bfe_u32 v48, v0, 10, 10
	s_add_u32 s2, s20, s4
	s_addc_u32 s3, s21, s5
	s_lshl_b64 s[6:7], s[22:23], 4
	v_and_b32_e32 v0, 0x3ff, v0
	s_add_u32 s2, s2, s6
	s_addc_u32 s3, s3, s7
	v_lshlrev_b32_e32 v1, 9, v48
	s_delay_alu instid0(VALU_DEP_2) | instskip(NEXT) | instid1(VALU_DEP_2)
	v_lshlrev_b32_e32 v49, 4, v0
	v_add_nc_u32_e32 v50, 0x4000, v1
	s_waitcnt lgkmcnt(0)
	s_mul_i32 s1, s15, s47
	s_mul_hi_u32 s12, s15, s46
	s_mul_i32 s0, s15, s46
	s_add_i32 s1, s12, s1
	v_add_nc_u32_e32 v51, v49, v1
	s_lshl_b64 s[0:1], s[0:1], 4
	s_mul_hi_u32 s26, s38, s15
	s_add_u32 s12, s40, s0
	s_addc_u32 s22, s41, s1
	s_lshl_b64 s[0:1], s[42:43], 4
	v_add_nc_u32_e32 v52, v50, v49
	s_add_u32 s34, s12, s0
	s_addc_u32 s35, s22, s1
	s_lshl_b32 s0, s13, 5
	s_mov_b32 s12, s9
	v_add_nc_u32_e32 v4, s0, v0
	v_add_nc_u32_e32 v6, s0, v48
	s_sub_i32 s40, s9, s0
	v_add_nc_u32_e32 v53, 0x100, v52
	s_cmp_gt_i32 s40, 0
	v_ashrrev_i32_e32 v5, 31, v4
	v_mul_lo_u32 v2, v4, s25
	v_mad_u64_u32 v[0:1], null, v4, s24, 0
	v_ashrrev_i32_e32 v7, 31, v6
	s_delay_alu instid0(VALU_DEP_4)
	v_mul_lo_u32 v3, v5, s24
	v_add_co_u32 v8, vcc_lo, v4, 16
	v_add_co_ci_u32_e32 v9, vcc_lo, 0, v5, vcc_lo
	v_add_nc_u32_e32 v10, 16, v4
	s_cselect_b32 s41, -1, 0
	s_cmpk_eq_i32 s8, 0x84
	s_delay_alu instid0(VALU_DEP_4)
	v_add3_u32 v1, v1, v2, v3
	v_lshlrev_b64 v[2:3], 4, v[6:7]
	s_cselect_b32 s42, -1, 0
	s_ashr_i32 s13, s9, 31
	s_ashr_i32 s43, s10, 31
	v_lshlrev_b64 v[0:1], 4, v[0:1]
	s_mul_i32 s8, s39, s15
	v_lshlrev_b64 v[12:13], 4, v[4:5]
	s_add_u32 s22, s9, -16
	v_cmp_le_i32_e64 s0, s9, v4
	s_addc_u32 s23, s13, -1
	v_add_co_u32 v0, vcc_lo, s2, v0
	v_add_co_ci_u32_e32 v1, vcc_lo, s3, v1, vcc_lo
	v_cmp_gt_i32_e64 s2, s9, v4
	s_delay_alu instid0(VALU_DEP_3) | instskip(NEXT) | instid1(VALU_DEP_3)
	v_add_co_u32 v54, vcc_lo, v0, v2
	v_add_co_ci_u32_e32 v55, vcc_lo, v1, v3, vcc_lo
	v_cmp_gt_i32_e64 s3, s9, v10
	s_add_i32 s9, s26, s8
	s_mul_i32 s8, s38, s15
	v_sub_co_u32 v14, vcc_lo, v4, v6
	s_lshl_b64 s[8:9], s[8:9], 4
	s_lshl_b64 s[26:27], s[30:31], 4
	v_sub_co_ci_u32_e32 v15, vcc_lo, v5, v7, vcc_lo
	s_add_u32 s8, s8, s26
	v_add_co_u32 v20, vcc_lo, 0x100, v12
	s_addc_u32 s9, s9, s27
	v_add_co_ci_u32_e32 v21, vcc_lo, 0, v13, vcc_lo
	s_add_u32 s8, s28, s8
	s_addc_u32 s15, s29, s9
	s_lshl_b64 s[26:27], s[36:37], 4
	s_lshl_b32 s9, s33, 5
	s_add_u32 s4, s6, s4
	s_addc_u32 s5, s7, s5
	v_mul_lo_u32 v22, s24, v21
	v_mul_lo_u32 v23, s25, v20
	v_mad_u64_u32 v[0:1], null, s24, v20, s[4:5]
	v_add_co_u32 v16, vcc_lo, v14, 16
	v_add_co_ci_u32_e32 v17, vcc_lo, 0, v15, vcc_lo
	v_add_co_u32 v18, vcc_lo, v14, -16
	v_add_co_ci_u32_e32 v19, vcc_lo, -1, v15, vcc_lo
	v_add3_u32 v1, v23, v1, v22
	v_add_co_u32 v20, vcc_lo, v20, s8
	v_add_co_ci_u32_e32 v21, vcc_lo, s15, v21, vcc_lo
	v_add_co_u32 v0, vcc_lo, v0, v2
	s_delay_alu instid0(VALU_DEP_4) | instskip(SKIP_1) | instid1(VALU_DEP_3)
	v_add_co_ci_u32_e32 v1, vcc_lo, v1, v3, vcc_lo
	v_cmp_le_i64_e64 s1, s[12:13], v[8:9]
	v_add_co_u32 v58, vcc_lo, s20, v0
	v_add_nc_u32_e32 v56, 0x2000, v52
	v_add_nc_u32_e32 v57, 0x2100, v52
	v_ashrrev_i32_e32 v11, 31, v10
	v_lshl_add_u32 v22, s14, 5, v48
	v_add_co_ci_u32_e32 v59, vcc_lo, s21, v1, vcc_lo
	v_dual_mov_b32 v1, 0x3ff00000 :: v_dual_mov_b32 v0, 0
	s_branch .LBB116_4
.LBB116_3:                              ;   in Loop: Header=BB116_4 Depth=1
	s_or_b32 exec_lo, exec_lo, s4
	v_add_nc_u32_e32 v22, s9, v22
	s_add_i32 s14, s33, s14
	s_delay_alu instid0(SALU_CYCLE_1)
	s_cmp_le_i32 s14, s11
	s_cbranch_scc0 .LBB116_63
.LBB116_4:                              ; =>This Loop Header: Depth=1
                                        ;     Child Loop BB116_7 Depth 2
	v_mov_b32_e32 v40, 0
	v_lshl_add_u32 v60, s14, 5, v48
	v_mov_b32_e32 v41, 0
	s_delay_alu instid0(VALU_DEP_3)
	v_mov_b32_e32 v30, v40
	v_mov_b32_e32 v32, v40
	;; [unrolled: 1-line block ×3, first 2 shown]
	v_ashrrev_i32_e32 v61, 31, v60
	v_mov_b32_e32 v37, v41
	v_dual_mov_b32 v43, v41 :: v_dual_mov_b32 v42, v40
	v_mov_b32_e32 v31, v41
	v_dual_mov_b32 v33, v41 :: v_dual_mov_b32 v38, v40
	v_dual_mov_b32 v39, v41 :: v_dual_mov_b32 v34, v40
	;; [unrolled: 1-line block ×3, first 2 shown]
	v_mov_b32_e32 v29, v41
	s_and_not1_b32 vcc_lo, exec_lo, s41
	s_mov_b64 s[20:21], 0
	s_cbranch_vccnz .LBB116_55
; %bb.5:                                ;   in Loop: Header=BB116_4 Depth=1
	v_ashrrev_i32_e32 v23, 31, v22
	v_mad_u64_u32 v[24:25], null, s26, v22, v[20:21]
	v_mul_lo_u32 v30, s27, v22
	v_mov_b32_e32 v28, 0
	s_delay_alu instid0(VALU_DEP_4) | instskip(SKIP_3) | instid1(VALU_DEP_3)
	v_lshlrev_b64 v[2:3], 4, v[22:23]
	v_mul_lo_u32 v23, s26, v23
	v_mov_b32_e32 v29, 0
	s_mov_b64 s[24:25], 0
	v_add_co_u32 v31, vcc_lo, 0x100, v2
	s_delay_alu instid0(VALU_DEP_4) | instskip(SKIP_1) | instid1(VALU_DEP_3)
	v_add_co_ci_u32_e32 v26, vcc_lo, 0, v3, vcc_lo
	v_sub_co_u32 v2, vcc_lo, s10, v60
	v_mul_lo_u32 v33, s37, v31
	s_delay_alu instid0(VALU_DEP_3) | instskip(SKIP_4) | instid1(VALU_DEP_3)
	v_mul_lo_u32 v32, s36, v26
	v_mad_u64_u32 v[26:27], null, s36, v31, v[20:21]
	v_sub_co_ci_u32_e32 v3, vcc_lo, s43, v61, vcc_lo
	v_dual_mov_b32 v35, v29 :: v_dual_mov_b32 v34, v28
	v_dual_mov_b32 v39, v29 :: v_dual_mov_b32 v38, v28
	v_cmp_lt_i64_e32 vcc_lo, 0, v[2:3]
	v_cmp_lt_i64_e64 s4, 16, v[2:3]
	v_add3_u32 v25, v30, v25, v23
	v_add3_u32 v27, v33, v27, v32
	v_dual_mov_b32 v37, v29 :: v_dual_mov_b32 v36, v28
	v_dual_mov_b32 v33, v29 :: v_dual_mov_b32 v32, v28
	v_dual_mov_b32 v31, v29 :: v_dual_mov_b32 v30, v28
	v_dual_mov_b32 v43, v29 :: v_dual_mov_b32 v42, v28
	v_dual_mov_b32 v41, v29 :: v_dual_mov_b32 v40, v28
	s_branch .LBB116_7
.LBB116_6:                              ;   in Loop: Header=BB116_7 Depth=2
	s_or_b32 exec_lo, exec_lo, s6
	s_waitcnt lgkmcnt(0)
	s_waitcnt_vscnt null, 0x0
	s_barrier
	buffer_gl0_inv
	ds_load_b128 v[44:47], v50
	ds_load_b128 v[62:65], v50 offset:16
	ds_load_b128 v[66:69], v50 offset:32
	;; [unrolled: 1-line block ×3, first 2 shown]
	ds_load_b128 v[74:77], v49
	s_add_u32 s24, s24, 32
	s_addc_u32 s25, s25, 0
	s_add_u32 s20, s20, 0x200
	s_addc_u32 s21, s21, 0
	s_cmp_ge_i32 s24, s40
	s_waitcnt lgkmcnt(0)
	v_mul_f64 v[2:3], v[46:47], v[76:77]
	v_mul_f64 v[78:79], v[44:45], v[76:77]
	s_delay_alu instid0(VALU_DEP_2) | instskip(NEXT) | instid1(VALU_DEP_2)
	v_fma_f64 v[2:3], v[44:45], v[74:75], -v[2:3]
	v_fma_f64 v[78:79], v[46:47], v[74:75], v[78:79]
	s_delay_alu instid0(VALU_DEP_2) | instskip(NEXT) | instid1(VALU_DEP_2)
	v_add_f64 v[2:3], v[40:41], v[2:3]
	v_add_f64 v[78:79], v[42:43], v[78:79]
	ds_load_b128 v[40:43], v49 offset:256
	s_waitcnt lgkmcnt(0)
	v_mul_f64 v[80:81], v[46:47], v[42:43]
	s_delay_alu instid0(VALU_DEP_1) | instskip(SKIP_1) | instid1(VALU_DEP_1)
	v_fma_f64 v[80:81], v[44:45], v[40:41], -v[80:81]
	v_mul_f64 v[44:45], v[44:45], v[42:43]
	v_fma_f64 v[44:45], v[46:47], v[40:41], v[44:45]
	s_delay_alu instid0(VALU_DEP_3) | instskip(NEXT) | instid1(VALU_DEP_2)
	v_add_f64 v[46:47], v[30:31], v[80:81]
	v_add_f64 v[44:45], v[32:33], v[44:45]
	ds_load_b128 v[30:33], v50 offset:8192
	s_waitcnt lgkmcnt(0)
	v_mul_f64 v[80:81], v[32:33], v[76:77]
	v_mul_f64 v[76:77], v[30:31], v[76:77]
	s_delay_alu instid0(VALU_DEP_2) | instskip(NEXT) | instid1(VALU_DEP_2)
	v_fma_f64 v[80:81], v[30:31], v[74:75], -v[80:81]
	v_fma_f64 v[74:75], v[32:33], v[74:75], v[76:77]
	s_delay_alu instid0(VALU_DEP_2) | instskip(SKIP_1) | instid1(VALU_DEP_3)
	v_add_f64 v[76:77], v[36:37], v[80:81]
	v_mul_f64 v[36:37], v[32:33], v[42:43]
	v_add_f64 v[74:75], v[38:39], v[74:75]
	s_delay_alu instid0(VALU_DEP_2) | instskip(SKIP_1) | instid1(VALU_DEP_1)
	v_fma_f64 v[36:37], v[30:31], v[40:41], -v[36:37]
	v_mul_f64 v[30:31], v[30:31], v[42:43]
	v_fma_f64 v[30:31], v[32:33], v[40:41], v[30:31]
	s_delay_alu instid0(VALU_DEP_3) | instskip(NEXT) | instid1(VALU_DEP_2)
	v_add_f64 v[40:41], v[34:35], v[36:37]
	v_add_f64 v[42:43], v[28:29], v[30:31]
	ds_load_b128 v[28:31], v49 offset:512
	s_waitcnt lgkmcnt(0)
	v_mul_f64 v[32:33], v[64:65], v[30:31]
	v_mul_f64 v[34:35], v[62:63], v[30:31]
	s_delay_alu instid0(VALU_DEP_2) | instskip(NEXT) | instid1(VALU_DEP_2)
	v_fma_f64 v[32:33], v[62:63], v[28:29], -v[32:33]
	v_fma_f64 v[34:35], v[64:65], v[28:29], v[34:35]
	s_delay_alu instid0(VALU_DEP_2) | instskip(NEXT) | instid1(VALU_DEP_2)
	v_add_f64 v[2:3], v[2:3], v[32:33]
	v_add_f64 v[78:79], v[78:79], v[34:35]
	ds_load_b128 v[32:35], v49 offset:768
	s_waitcnt lgkmcnt(0)
	v_mul_f64 v[36:37], v[64:65], v[34:35]
	v_mul_f64 v[38:39], v[62:63], v[34:35]
	s_delay_alu instid0(VALU_DEP_2) | instskip(NEXT) | instid1(VALU_DEP_2)
	v_fma_f64 v[36:37], v[62:63], v[32:33], -v[36:37]
	v_fma_f64 v[38:39], v[64:65], v[32:33], v[38:39]
	s_delay_alu instid0(VALU_DEP_2) | instskip(NEXT) | instid1(VALU_DEP_2)
	v_add_f64 v[46:47], v[46:47], v[36:37]
	v_add_f64 v[44:45], v[44:45], v[38:39]
	ds_load_b128 v[36:39], v50 offset:8208
	s_waitcnt lgkmcnt(0)
	v_mul_f64 v[62:63], v[38:39], v[30:31]
	v_mul_f64 v[30:31], v[36:37], v[30:31]
	s_delay_alu instid0(VALU_DEP_2) | instskip(NEXT) | instid1(VALU_DEP_2)
	v_fma_f64 v[62:63], v[36:37], v[28:29], -v[62:63]
	v_fma_f64 v[28:29], v[38:39], v[28:29], v[30:31]
	v_mul_f64 v[30:31], v[36:37], v[34:35]
	s_delay_alu instid0(VALU_DEP_3) | instskip(NEXT) | instid1(VALU_DEP_3)
	v_add_f64 v[62:63], v[76:77], v[62:63]
	v_add_f64 v[64:65], v[74:75], v[28:29]
	v_mul_f64 v[28:29], v[38:39], v[34:35]
	s_delay_alu instid0(VALU_DEP_4) | instskip(NEXT) | instid1(VALU_DEP_2)
	v_fma_f64 v[30:31], v[38:39], v[32:33], v[30:31]
	v_fma_f64 v[28:29], v[36:37], v[32:33], -v[28:29]
	s_delay_alu instid0(VALU_DEP_2) | instskip(NEXT) | instid1(VALU_DEP_2)
	v_add_f64 v[42:43], v[42:43], v[30:31]
	v_add_f64 v[40:41], v[40:41], v[28:29]
	ds_load_b128 v[28:31], v49 offset:1024
	s_waitcnt lgkmcnt(0)
	v_mul_f64 v[32:33], v[68:69], v[30:31]
	v_mul_f64 v[34:35], v[66:67], v[30:31]
	s_delay_alu instid0(VALU_DEP_2) | instskip(NEXT) | instid1(VALU_DEP_2)
	v_fma_f64 v[32:33], v[66:67], v[28:29], -v[32:33]
	v_fma_f64 v[34:35], v[68:69], v[28:29], v[34:35]
	s_delay_alu instid0(VALU_DEP_2) | instskip(NEXT) | instid1(VALU_DEP_2)
	v_add_f64 v[2:3], v[2:3], v[32:33]
	v_add_f64 v[74:75], v[78:79], v[34:35]
	ds_load_b128 v[32:35], v49 offset:1280
	s_waitcnt lgkmcnt(0)
	v_mul_f64 v[36:37], v[68:69], v[34:35]
	v_mul_f64 v[38:39], v[66:67], v[34:35]
	s_delay_alu instid0(VALU_DEP_2) | instskip(NEXT) | instid1(VALU_DEP_2)
	v_fma_f64 v[36:37], v[66:67], v[32:33], -v[36:37]
	v_fma_f64 v[38:39], v[68:69], v[32:33], v[38:39]
	s_delay_alu instid0(VALU_DEP_2) | instskip(NEXT) | instid1(VALU_DEP_2)
	v_add_f64 v[46:47], v[46:47], v[36:37]
	v_add_f64 v[44:45], v[44:45], v[38:39]
	ds_load_b128 v[36:39], v50 offset:8224
	s_waitcnt lgkmcnt(0)
	v_mul_f64 v[66:67], v[38:39], v[30:31]
	v_mul_f64 v[30:31], v[36:37], v[30:31]
	s_delay_alu instid0(VALU_DEP_2) | instskip(NEXT) | instid1(VALU_DEP_2)
	v_fma_f64 v[66:67], v[36:37], v[28:29], -v[66:67]
	v_fma_f64 v[28:29], v[38:39], v[28:29], v[30:31]
	v_mul_f64 v[30:31], v[36:37], v[34:35]
	s_delay_alu instid0(VALU_DEP_3) | instskip(NEXT) | instid1(VALU_DEP_3)
	v_add_f64 v[62:63], v[62:63], v[66:67]
	v_add_f64 v[64:65], v[64:65], v[28:29]
	v_mul_f64 v[28:29], v[38:39], v[34:35]
	s_delay_alu instid0(VALU_DEP_4) | instskip(NEXT) | instid1(VALU_DEP_2)
	v_fma_f64 v[30:31], v[38:39], v[32:33], v[30:31]
	v_fma_f64 v[28:29], v[36:37], v[32:33], -v[28:29]
	s_delay_alu instid0(VALU_DEP_2) | instskip(NEXT) | instid1(VALU_DEP_2)
	;; [unrolled: 38-line block ×3, first 2 shown]
	v_add_f64 v[42:43], v[42:43], v[30:31]
	v_add_f64 v[40:41], v[40:41], v[28:29]
	ds_load_b128 v[28:31], v50 offset:64
	ds_load_b128 v[32:35], v49 offset:2048
	s_waitcnt lgkmcnt(0)
	v_mul_f64 v[36:37], v[30:31], v[34:35]
	v_mul_f64 v[38:39], v[28:29], v[34:35]
	s_delay_alu instid0(VALU_DEP_2) | instskip(NEXT) | instid1(VALU_DEP_2)
	v_fma_f64 v[36:37], v[28:29], v[32:33], -v[36:37]
	v_fma_f64 v[38:39], v[30:31], v[32:33], v[38:39]
	s_delay_alu instid0(VALU_DEP_2) | instskip(NEXT) | instid1(VALU_DEP_2)
	v_add_f64 v[2:3], v[2:3], v[36:37]
	v_add_f64 v[66:67], v[66:67], v[38:39]
	ds_load_b128 v[36:39], v49 offset:2304
	s_waitcnt lgkmcnt(0)
	v_mul_f64 v[68:69], v[30:31], v[38:39]
	s_delay_alu instid0(VALU_DEP_1) | instskip(SKIP_1) | instid1(VALU_DEP_2)
	v_fma_f64 v[68:69], v[28:29], v[36:37], -v[68:69]
	v_mul_f64 v[28:29], v[28:29], v[38:39]
	v_add_f64 v[46:47], v[46:47], v[68:69]
	s_delay_alu instid0(VALU_DEP_2) | instskip(NEXT) | instid1(VALU_DEP_1)
	v_fma_f64 v[28:29], v[30:31], v[36:37], v[28:29]
	v_add_f64 v[44:45], v[44:45], v[28:29]
	ds_load_b128 v[28:31], v50 offset:8256
	s_waitcnt lgkmcnt(0)
	v_mul_f64 v[68:69], v[30:31], v[34:35]
	v_mul_f64 v[34:35], v[28:29], v[34:35]
	s_delay_alu instid0(VALU_DEP_2) | instskip(NEXT) | instid1(VALU_DEP_2)
	v_fma_f64 v[68:69], v[28:29], v[32:33], -v[68:69]
	v_fma_f64 v[32:33], v[30:31], v[32:33], v[34:35]
	s_delay_alu instid0(VALU_DEP_2) | instskip(NEXT) | instid1(VALU_DEP_2)
	v_add_f64 v[62:63], v[62:63], v[68:69]
	v_add_f64 v[64:65], v[64:65], v[32:33]
	v_mul_f64 v[32:33], v[30:31], v[38:39]
	s_delay_alu instid0(VALU_DEP_1) | instskip(SKIP_1) | instid1(VALU_DEP_2)
	v_fma_f64 v[32:33], v[28:29], v[36:37], -v[32:33]
	v_mul_f64 v[28:29], v[28:29], v[38:39]
	v_add_f64 v[40:41], v[40:41], v[32:33]
	s_delay_alu instid0(VALU_DEP_2) | instskip(NEXT) | instid1(VALU_DEP_1)
	v_fma_f64 v[28:29], v[30:31], v[36:37], v[28:29]
	v_add_f64 v[42:43], v[42:43], v[28:29]
	ds_load_b128 v[28:31], v50 offset:80
	ds_load_b128 v[32:35], v49 offset:2560
	s_waitcnt lgkmcnt(0)
	v_mul_f64 v[36:37], v[30:31], v[34:35]
	v_mul_f64 v[38:39], v[28:29], v[34:35]
	s_delay_alu instid0(VALU_DEP_2) | instskip(NEXT) | instid1(VALU_DEP_2)
	v_fma_f64 v[36:37], v[28:29], v[32:33], -v[36:37]
	v_fma_f64 v[38:39], v[30:31], v[32:33], v[38:39]
	s_delay_alu instid0(VALU_DEP_2) | instskip(NEXT) | instid1(VALU_DEP_2)
	v_add_f64 v[2:3], v[2:3], v[36:37]
	v_add_f64 v[66:67], v[66:67], v[38:39]
	ds_load_b128 v[36:39], v49 offset:2816
	s_waitcnt lgkmcnt(0)
	v_mul_f64 v[68:69], v[30:31], v[38:39]
	s_delay_alu instid0(VALU_DEP_1) | instskip(SKIP_1) | instid1(VALU_DEP_2)
	v_fma_f64 v[68:69], v[28:29], v[36:37], -v[68:69]
	v_mul_f64 v[28:29], v[28:29], v[38:39]
	v_add_f64 v[46:47], v[46:47], v[68:69]
	s_delay_alu instid0(VALU_DEP_2) | instskip(NEXT) | instid1(VALU_DEP_1)
	v_fma_f64 v[28:29], v[30:31], v[36:37], v[28:29]
	v_add_f64 v[44:45], v[44:45], v[28:29]
	ds_load_b128 v[28:31], v50 offset:8272
	s_waitcnt lgkmcnt(0)
	v_mul_f64 v[68:69], v[30:31], v[34:35]
	v_mul_f64 v[34:35], v[28:29], v[34:35]
	s_delay_alu instid0(VALU_DEP_2) | instskip(NEXT) | instid1(VALU_DEP_2)
	v_fma_f64 v[68:69], v[28:29], v[32:33], -v[68:69]
	v_fma_f64 v[32:33], v[30:31], v[32:33], v[34:35]
	s_delay_alu instid0(VALU_DEP_2) | instskip(NEXT) | instid1(VALU_DEP_2)
	v_add_f64 v[62:63], v[62:63], v[68:69]
	v_add_f64 v[64:65], v[64:65], v[32:33]
	v_mul_f64 v[32:33], v[30:31], v[38:39]
	s_delay_alu instid0(VALU_DEP_1) | instskip(SKIP_1) | instid1(VALU_DEP_2)
	v_fma_f64 v[32:33], v[28:29], v[36:37], -v[32:33]
	v_mul_f64 v[28:29], v[28:29], v[38:39]
	v_add_f64 v[40:41], v[40:41], v[32:33]
	s_delay_alu instid0(VALU_DEP_2) | instskip(NEXT) | instid1(VALU_DEP_1)
	v_fma_f64 v[28:29], v[30:31], v[36:37], v[28:29]
	;; [unrolled: 39-line block ×27, first 2 shown]
	v_add_f64 v[78:79], v[42:43], v[28:29]
	ds_load_b128 v[28:31], v50 offset:496
	ds_load_b128 v[34:37], v49 offset:15872
	;; [unrolled: 1-line block ×4, first 2 shown]
	s_waitcnt lgkmcnt(0)
	s_barrier
	buffer_gl0_inv
	v_mul_f64 v[32:33], v[30:31], v[36:37]
	v_mul_f64 v[38:39], v[28:29], v[36:37]
	s_delay_alu instid0(VALU_DEP_2) | instskip(NEXT) | instid1(VALU_DEP_2)
	v_fma_f64 v[32:33], v[28:29], v[34:35], -v[32:33]
	v_fma_f64 v[38:39], v[30:31], v[34:35], v[38:39]
	s_delay_alu instid0(VALU_DEP_2) | instskip(SKIP_1) | instid1(VALU_DEP_3)
	v_add_f64 v[40:41], v[2:3], v[32:33]
	v_mul_f64 v[2:3], v[30:31], v[46:47]
	v_add_f64 v[42:43], v[66:67], v[38:39]
	s_delay_alu instid0(VALU_DEP_2) | instskip(SKIP_1) | instid1(VALU_DEP_1)
	v_fma_f64 v[2:3], v[28:29], v[44:45], -v[2:3]
	v_mul_f64 v[28:29], v[28:29], v[46:47]
	v_fma_f64 v[28:29], v[30:31], v[44:45], v[28:29]
	s_delay_alu instid0(VALU_DEP_3) | instskip(SKIP_1) | instid1(VALU_DEP_3)
	v_add_f64 v[30:31], v[68:69], v[2:3]
	v_mul_f64 v[2:3], v[64:65], v[36:37]
	v_add_f64 v[32:33], v[70:71], v[28:29]
	v_mul_f64 v[28:29], v[62:63], v[36:37]
	s_delay_alu instid0(VALU_DEP_3) | instskip(NEXT) | instid1(VALU_DEP_2)
	v_fma_f64 v[2:3], v[62:63], v[34:35], -v[2:3]
	v_fma_f64 v[28:29], v[64:65], v[34:35], v[28:29]
	s_delay_alu instid0(VALU_DEP_2) | instskip(SKIP_1) | instid1(VALU_DEP_3)
	v_add_f64 v[36:37], v[72:73], v[2:3]
	v_mul_f64 v[2:3], v[64:65], v[46:47]
	v_add_f64 v[38:39], v[74:75], v[28:29]
	v_mul_f64 v[28:29], v[62:63], v[46:47]
	s_delay_alu instid0(VALU_DEP_3) | instskip(NEXT) | instid1(VALU_DEP_2)
	v_fma_f64 v[2:3], v[62:63], v[44:45], -v[2:3]
	v_fma_f64 v[28:29], v[64:65], v[44:45], v[28:29]
	s_delay_alu instid0(VALU_DEP_2) | instskip(NEXT) | instid1(VALU_DEP_2)
	v_add_f64 v[34:35], v[76:77], v[2:3]
	v_add_f64 v[28:29], v[78:79], v[28:29]
	s_cbranch_scc1 .LBB116_55
.LBB116_7:                              ;   Parent Loop BB116_4 Depth=1
                                        ; =>  This Inner Loop Header: Depth=2
	v_add_co_u32 v46, s5, v6, s24
	s_delay_alu instid0(VALU_DEP_1) | instskip(SKIP_1) | instid1(VALU_DEP_2)
	v_add_co_ci_u32_e64 v47, s5, s25, v7, s5
	v_cmp_eq_u64_e64 s7, s[24:25], v[14:15]
	v_cmp_le_i64_e64 s6, s[12:13], v[46:47]
	v_cmp_lt_i64_e64 s5, v[46:47], v[4:5]
	s_delay_alu instid0(VALU_DEP_3) | instskip(NEXT) | instid1(VALU_DEP_1)
	s_and_b32 s28, s42, s7
	s_or_b32 s7, s6, s5
	s_delay_alu instid0(SALU_CYCLE_1) | instskip(SKIP_1) | instid1(VALU_DEP_1)
	s_or_b32 s8, s7, s28
	v_add_co_u32 v44, s7, v54, s20
	v_add_co_ci_u32_e64 v45, s7, s21, v55, s7
	s_or_b32 s7, s0, s8
	s_delay_alu instid0(SALU_CYCLE_1) | instskip(NEXT) | instid1(SALU_CYCLE_1)
	s_xor_b32 s7, s7, -1
	s_and_saveexec_b32 s8, s7
	s_delay_alu instid0(SALU_CYCLE_1)
	s_xor_b32 s7, exec_lo, s8
	s_cbranch_execz .LBB116_9
; %bb.8:                                ;   in Loop: Header=BB116_7 Depth=2
	global_load_b128 v[62:65], v[44:45], off
	s_waitcnt vmcnt(0)
	v_xor_b32_e32 v65, 0x80000000, v65
	ds_store_b128 v51, v[62:65]
.LBB116_9:                              ;   in Loop: Header=BB116_7 Depth=2
	s_or_saveexec_b32 s7, s7
	s_xor_b32 s15, s28, -1
	s_xor_b32 exec_lo, exec_lo, s7
	s_cbranch_execz .LBB116_15
; %bb.10:                               ;   in Loop: Header=BB116_7 Depth=2
	s_and_saveexec_b32 s8, s15
	s_delay_alu instid0(SALU_CYCLE_1)
	s_xor_b32 s8, exec_lo, s8
	s_cbranch_execz .LBB116_12
; %bb.11:                               ;   in Loop: Header=BB116_7 Depth=2
	v_mov_b32_e32 v62, v0
	v_mov_b32_e32 v63, v0
	;; [unrolled: 1-line block ×4, first 2 shown]
	ds_store_b128 v51, v[62:65]
.LBB116_12:                             ;   in Loop: Header=BB116_7 Depth=2
	s_and_not1_saveexec_b32 s8, s8
	s_cbranch_execz .LBB116_14
; %bb.13:                               ;   in Loop: Header=BB116_7 Depth=2
	v_mov_b32_e32 v2, v0
	v_mov_b32_e32 v3, v0
	ds_store_b128 v51, v[0:3]
.LBB116_14:                             ;   in Loop: Header=BB116_7 Depth=2
	s_or_b32 exec_lo, exec_lo, s8
.LBB116_15:                             ;   in Loop: Header=BB116_7 Depth=2
	s_delay_alu instid0(SALU_CYCLE_1) | instskip(SKIP_2) | instid1(VALU_DEP_2)
	s_or_b32 exec_lo, exec_lo, s7
	v_cmp_eq_u64_e64 s7, s[24:25], v[16:17]
	v_cmp_gt_i64_e64 s8, v[8:9], v[46:47]
	s_and_b32 s7, s42, s7
	s_delay_alu instid0(VALU_DEP_1) | instskip(NEXT) | instid1(SALU_CYCLE_1)
	s_or_b32 s6, s6, s8
	s_or_b32 s6, s6, s7
	s_delay_alu instid0(SALU_CYCLE_1) | instskip(NEXT) | instid1(SALU_CYCLE_1)
	s_or_b32 s6, s1, s6
	s_xor_b32 s6, s6, -1
	s_delay_alu instid0(SALU_CYCLE_1) | instskip(NEXT) | instid1(SALU_CYCLE_1)
	s_and_saveexec_b32 s8, s6
	s_xor_b32 s8, exec_lo, s8
	s_cbranch_execz .LBB116_17
; %bb.16:                               ;   in Loop: Header=BB116_7 Depth=2
	v_add_co_u32 v2, s6, v58, s20
	s_delay_alu instid0(VALU_DEP_1)
	v_add_co_ci_u32_e64 v3, s6, s21, v59, s6
	global_load_b128 v[62:65], v[2:3], off
	s_waitcnt vmcnt(0)
	v_xor_b32_e32 v65, 0x80000000, v65
	ds_store_b128 v51, v[62:65] offset:256
.LBB116_17:                             ;   in Loop: Header=BB116_7 Depth=2
	s_and_not1_saveexec_b32 s6, s8
	s_cbranch_execz .LBB116_23
; %bb.18:                               ;   in Loop: Header=BB116_7 Depth=2
	s_xor_b32 s7, s7, -1
	s_delay_alu instid0(SALU_CYCLE_1) | instskip(NEXT) | instid1(SALU_CYCLE_1)
	s_and_saveexec_b32 s8, s7
	s_xor_b32 s7, exec_lo, s8
	s_cbranch_execz .LBB116_20
; %bb.19:                               ;   in Loop: Header=BB116_7 Depth=2
	v_mov_b32_e32 v62, v0
	v_mov_b32_e32 v63, v0
	;; [unrolled: 1-line block ×4, first 2 shown]
	ds_store_b128 v51, v[62:65] offset:256
.LBB116_20:                             ;   in Loop: Header=BB116_7 Depth=2
	s_and_not1_saveexec_b32 s7, s7
	s_cbranch_execz .LBB116_22
; %bb.21:                               ;   in Loop: Header=BB116_7 Depth=2
	v_mov_b32_e32 v2, v0
	v_mov_b32_e32 v3, v0
	ds_store_b128 v51, v[0:3] offset:256
.LBB116_22:                             ;   in Loop: Header=BB116_7 Depth=2
	s_or_b32 exec_lo, exec_lo, s7
.LBB116_23:                             ;   in Loop: Header=BB116_7 Depth=2
	s_delay_alu instid0(SALU_CYCLE_1) | instskip(SKIP_1) | instid1(VALU_DEP_1)
	s_or_b32 exec_lo, exec_lo, s6
	v_add_co_u32 v2, s6, v46, 16
	v_add_co_ci_u32_e64 v3, s6, 0, v47, s6
	v_cmp_eq_u64_e64 s7, s[24:25], v[18:19]
	s_delay_alu instid0(VALU_DEP_2) | instskip(SKIP_1) | instid1(VALU_DEP_3)
	v_cmp_le_i64_e64 s6, s[12:13], v[2:3]
	v_cmp_lt_i64_e64 s8, v[2:3], v[4:5]
	s_and_b32 s29, s42, s7
	s_delay_alu instid0(VALU_DEP_1) | instskip(NEXT) | instid1(SALU_CYCLE_1)
	s_or_b32 s7, s6, s8
	s_or_b32 s7, s7, s29
	s_delay_alu instid0(SALU_CYCLE_1) | instskip(NEXT) | instid1(SALU_CYCLE_1)
	s_or_b32 s7, s0, s7
	s_xor_b32 s7, s7, -1
	s_delay_alu instid0(SALU_CYCLE_1) | instskip(NEXT) | instid1(SALU_CYCLE_1)
	s_and_saveexec_b32 s8, s7
	s_xor_b32 s7, exec_lo, s8
	s_cbranch_execz .LBB116_25
; %bb.24:                               ;   in Loop: Header=BB116_7 Depth=2
	global_load_b128 v[44:47], v[44:45], off offset:256
	s_waitcnt vmcnt(0)
	v_xor_b32_e32 v47, 0x80000000, v47
	ds_store_b128 v51, v[44:47] offset:8192
.LBB116_25:                             ;   in Loop: Header=BB116_7 Depth=2
	s_and_not1_saveexec_b32 s7, s7
	s_cbranch_execz .LBB116_31
; %bb.26:                               ;   in Loop: Header=BB116_7 Depth=2
	s_xor_b32 s8, s29, -1
	s_delay_alu instid0(SALU_CYCLE_1) | instskip(NEXT) | instid1(SALU_CYCLE_1)
	s_and_saveexec_b32 s29, s8
	s_xor_b32 s8, exec_lo, s29
	s_cbranch_execz .LBB116_28
; %bb.27:                               ;   in Loop: Header=BB116_7 Depth=2
	v_mov_b32_e32 v44, v0
	v_mov_b32_e32 v45, v0
	;; [unrolled: 1-line block ×4, first 2 shown]
	ds_store_b128 v51, v[44:47] offset:8192
.LBB116_28:                             ;   in Loop: Header=BB116_7 Depth=2
	s_and_not1_saveexec_b32 s8, s8
	s_cbranch_execz .LBB116_30
; %bb.29:                               ;   in Loop: Header=BB116_7 Depth=2
	v_mov_b32_e32 v2, v0
	v_mov_b32_e32 v3, v0
	ds_store_b128 v51, v[0:3] offset:8192
.LBB116_30:                             ;   in Loop: Header=BB116_7 Depth=2
	s_or_b32 exec_lo, exec_lo, s8
.LBB116_31:                             ;   in Loop: Header=BB116_7 Depth=2
	s_delay_alu instid0(SALU_CYCLE_1) | instskip(SKIP_1) | instid1(SALU_CYCLE_1)
	s_or_b32 exec_lo, exec_lo, s7
	s_or_b32 s5, s6, s5
	s_or_b32 s5, s5, s28
	s_delay_alu instid0(SALU_CYCLE_1) | instskip(NEXT) | instid1(SALU_CYCLE_1)
	s_or_b32 s5, s1, s5
	s_xor_b32 s5, s5, -1
	s_delay_alu instid0(SALU_CYCLE_1) | instskip(NEXT) | instid1(SALU_CYCLE_1)
	s_and_saveexec_b32 s6, s5
	s_xor_b32 s6, exec_lo, s6
	s_cbranch_execz .LBB116_33
; %bb.32:                               ;   in Loop: Header=BB116_7 Depth=2
	v_add_co_u32 v2, s5, v58, s20
	s_delay_alu instid0(VALU_DEP_1)
	v_add_co_ci_u32_e64 v3, s5, s21, v59, s5
	global_load_b128 v[44:47], v[2:3], off offset:256
	s_waitcnt vmcnt(0)
	v_xor_b32_e32 v47, 0x80000000, v47
	ds_store_b128 v51, v[44:47] offset:8448
.LBB116_33:                             ;   in Loop: Header=BB116_7 Depth=2
	s_and_not1_saveexec_b32 s5, s6
	s_cbranch_execz .LBB116_39
; %bb.34:                               ;   in Loop: Header=BB116_7 Depth=2
	s_and_saveexec_b32 s6, s15
	s_delay_alu instid0(SALU_CYCLE_1)
	s_xor_b32 s6, exec_lo, s6
	s_cbranch_execz .LBB116_36
; %bb.35:                               ;   in Loop: Header=BB116_7 Depth=2
	v_mov_b32_e32 v44, v0
	v_mov_b32_e32 v45, v0
	;; [unrolled: 1-line block ×4, first 2 shown]
	ds_store_b128 v51, v[44:47] offset:8448
.LBB116_36:                             ;   in Loop: Header=BB116_7 Depth=2
	s_and_not1_saveexec_b32 s6, s6
	s_cbranch_execz .LBB116_38
; %bb.37:                               ;   in Loop: Header=BB116_7 Depth=2
	v_mov_b32_e32 v2, v0
	v_mov_b32_e32 v3, v0
	ds_store_b128 v51, v[0:3] offset:8448
.LBB116_38:                             ;   in Loop: Header=BB116_7 Depth=2
	s_or_b32 exec_lo, exec_lo, s6
.LBB116_39:                             ;   in Loop: Header=BB116_7 Depth=2
	s_delay_alu instid0(SALU_CYCLE_1) | instskip(SKIP_1) | instid1(VALU_DEP_1)
	s_or_b32 exec_lo, exec_lo, s5
	v_add_co_u32 v2, s5, v4, s24
	v_add_co_ci_u32_e64 v3, s5, s25, v5, s5
	s_delay_alu instid0(VALU_DEP_1) | instskip(NEXT) | instid1(VALU_DEP_1)
	v_cmp_gt_i64_e64 s5, s[12:13], v[2:3]
	s_and_b32 s6, vcc_lo, s5
	s_delay_alu instid0(SALU_CYCLE_1) | instskip(NEXT) | instid1(SALU_CYCLE_1)
	s_xor_b32 s6, s6, -1
	s_and_saveexec_b32 s7, s6
	s_delay_alu instid0(SALU_CYCLE_1)
	s_xor_b32 s6, exec_lo, s7
	s_cbranch_execz .LBB116_41
; %bb.40:                               ;   in Loop: Header=BB116_7 Depth=2
	v_mov_b32_e32 v44, v0
	v_mov_b32_e32 v45, v0
	;; [unrolled: 1-line block ×4, first 2 shown]
	ds_store_b128 v52, v[44:47]
.LBB116_41:                             ;   in Loop: Header=BB116_7 Depth=2
	s_or_saveexec_b32 s7, s6
	v_add_co_u32 v44, s6, v24, s20
	s_delay_alu instid0(VALU_DEP_1)
	v_add_co_ci_u32_e64 v45, s6, s21, v25, s6
	s_xor_b32 exec_lo, exec_lo, s7
	s_cbranch_execz .LBB116_43
; %bb.42:                               ;   in Loop: Header=BB116_7 Depth=2
	global_load_b128 v[62:65], v[44:45], off offset:-256
	s_waitcnt vmcnt(0)
	ds_store_2addr_b64 v52, v[62:63], v[64:65] offset1:1
.LBB116_43:                             ;   in Loop: Header=BB116_7 Depth=2
	s_or_b32 exec_lo, exec_lo, s7
	v_cmp_gt_i64_e64 s6, s[22:23], v[2:3]
	s_delay_alu instid0(VALU_DEP_1) | instskip(NEXT) | instid1(SALU_CYCLE_1)
	s_and_b32 s7, vcc_lo, s6
	s_xor_b32 s7, s7, -1
	s_delay_alu instid0(SALU_CYCLE_1) | instskip(NEXT) | instid1(SALU_CYCLE_1)
	s_and_saveexec_b32 s8, s7
	s_xor_b32 s7, exec_lo, s8
	s_cbranch_execz .LBB116_45
; %bb.44:                               ;   in Loop: Header=BB116_7 Depth=2
	v_mov_b32_e32 v44, v0
	v_mov_b32_e32 v45, v0
	v_mov_b32_e32 v46, v0
	v_mov_b32_e32 v47, v0
	ds_store_b128 v53, v[44:47]
                                        ; implicit-def: $vgpr44_vgpr45
.LBB116_45:                             ;   in Loop: Header=BB116_7 Depth=2
	s_and_not1_saveexec_b32 s7, s7
	s_cbranch_execz .LBB116_47
; %bb.46:                               ;   in Loop: Header=BB116_7 Depth=2
	global_load_b128 v[44:47], v[44:45], off
	s_waitcnt vmcnt(0)
	ds_store_2addr_b64 v53, v[44:45], v[46:47] offset1:1
.LBB116_47:                             ;   in Loop: Header=BB116_7 Depth=2
	s_or_b32 exec_lo, exec_lo, s7
	s_and_b32 s5, s4, s5
	s_delay_alu instid0(SALU_CYCLE_1) | instskip(NEXT) | instid1(SALU_CYCLE_1)
	s_xor_b32 s5, s5, -1
	s_and_saveexec_b32 s7, s5
	s_delay_alu instid0(SALU_CYCLE_1)
	s_xor_b32 s5, exec_lo, s7
	s_cbranch_execz .LBB116_49
; %bb.48:                               ;   in Loop: Header=BB116_7 Depth=2
	v_mov_b32_e32 v44, v0
	v_mov_b32_e32 v45, v0
	;; [unrolled: 1-line block ×4, first 2 shown]
	ds_store_b128 v56, v[44:47]
.LBB116_49:                             ;   in Loop: Header=BB116_7 Depth=2
	s_and_not1_saveexec_b32 s7, s5
	s_cbranch_execz .LBB116_51
; %bb.50:                               ;   in Loop: Header=BB116_7 Depth=2
	v_add_co_u32 v2, s5, v26, s20
	s_delay_alu instid0(VALU_DEP_1)
	v_add_co_ci_u32_e64 v3, s5, s21, v27, s5
	global_load_b128 v[44:47], v[2:3], off offset:-256
	s_waitcnt vmcnt(0)
	ds_store_2addr_b64 v56, v[44:45], v[46:47] offset1:1
.LBB116_51:                             ;   in Loop: Header=BB116_7 Depth=2
	s_or_b32 exec_lo, exec_lo, s7
	s_and_b32 s5, s4, s6
	s_delay_alu instid0(SALU_CYCLE_1) | instskip(NEXT) | instid1(SALU_CYCLE_1)
	s_xor_b32 s5, s5, -1
	s_and_saveexec_b32 s6, s5
	s_delay_alu instid0(SALU_CYCLE_1)
	s_xor_b32 s5, exec_lo, s6
	s_cbranch_execz .LBB116_53
; %bb.52:                               ;   in Loop: Header=BB116_7 Depth=2
	v_mov_b32_e32 v44, v0
	v_mov_b32_e32 v45, v0
	;; [unrolled: 1-line block ×4, first 2 shown]
	ds_store_b128 v57, v[44:47]
.LBB116_53:                             ;   in Loop: Header=BB116_7 Depth=2
	s_and_not1_saveexec_b32 s6, s5
	s_cbranch_execz .LBB116_6
; %bb.54:                               ;   in Loop: Header=BB116_7 Depth=2
	v_add_co_u32 v2, s5, v26, s20
	s_delay_alu instid0(VALU_DEP_1)
	v_add_co_ci_u32_e64 v3, s5, s21, v27, s5
	global_load_b128 v[44:47], v[2:3], off
	s_waitcnt vmcnt(0)
	ds_store_2addr_b64 v57, v[44:45], v[46:47] offset1:1
	s_branch .LBB116_6
.LBB116_55:                             ;   in Loop: Header=BB116_4 Depth=1
	v_mul_lo_u32 v23, v61, s44
	v_mul_lo_u32 v24, v60, s45
	v_mad_u64_u32 v[2:3], null, v60, s44, 0
	v_cmp_gt_i32_e32 vcc_lo, s10, v60
	s_delay_alu instid0(VALU_DEP_2) | instskip(NEXT) | instid1(VALU_DEP_1)
	v_add3_u32 v3, v3, v24, v23
	v_lshlrev_b64 v[2:3], 4, v[2:3]
	s_delay_alu instid0(VALU_DEP_1) | instskip(NEXT) | instid1(VALU_DEP_1)
	v_add_co_u32 v2, s4, s34, v2
	v_add_co_ci_u32_e64 v3, s4, s35, v3, s4
	s_and_b32 s4, s2, vcc_lo
	s_delay_alu instid0(SALU_CYCLE_1)
	s_and_saveexec_b32 s5, s4
	s_cbranch_execz .LBB116_57
; %bb.56:                               ;   in Loop: Header=BB116_4 Depth=1
	v_add_co_u32 v44, s4, v2, v12
	s_delay_alu instid0(VALU_DEP_1)
	v_add_co_ci_u32_e64 v45, s4, v3, v13, s4
	v_mul_f64 v[46:47], s[18:19], v[42:43]
	v_mul_f64 v[42:43], s[16:17], v[42:43]
	global_load_b128 v[23:26], v[44:45], off
	v_fma_f64 v[46:47], s[16:17], v[40:41], -v[46:47]
	v_fma_f64 v[40:41], s[18:19], v[40:41], v[42:43]
	s_waitcnt vmcnt(0)
	s_delay_alu instid0(VALU_DEP_2) | instskip(NEXT) | instid1(VALU_DEP_2)
	v_add_f64 v[23:24], v[23:24], v[46:47]
	v_add_f64 v[25:26], v[25:26], v[40:41]
	global_store_b128 v[44:45], v[23:26], off
.LBB116_57:                             ;   in Loop: Header=BB116_4 Depth=1
	s_or_b32 exec_lo, exec_lo, s5
	s_and_b32 s5, s3, vcc_lo
	s_delay_alu instid0(SALU_CYCLE_1)
	s_and_saveexec_b32 s4, s5
	s_cbranch_execz .LBB116_59
; %bb.58:                               ;   in Loop: Header=BB116_4 Depth=1
	v_lshlrev_b64 v[23:24], 4, v[10:11]
	v_mul_f64 v[40:41], s[18:19], v[32:33]
	v_mul_f64 v[32:33], s[16:17], v[32:33]
	s_delay_alu instid0(VALU_DEP_3) | instskip(NEXT) | instid1(VALU_DEP_4)
	v_add_co_u32 v2, vcc_lo, v2, v23
	v_add_co_ci_u32_e32 v3, vcc_lo, v3, v24, vcc_lo
	global_load_b128 v[23:26], v[2:3], off
	v_fma_f64 v[40:41], s[16:17], v[30:31], -v[40:41]
	v_fma_f64 v[30:31], s[18:19], v[30:31], v[32:33]
	s_waitcnt vmcnt(0)
	s_delay_alu instid0(VALU_DEP_2) | instskip(NEXT) | instid1(VALU_DEP_2)
	v_add_f64 v[23:24], v[23:24], v[40:41]
	v_add_f64 v[25:26], v[25:26], v[30:31]
	global_store_b128 v[2:3], v[23:26], off
.LBB116_59:                             ;   in Loop: Header=BB116_4 Depth=1
	s_or_b32 exec_lo, exec_lo, s4
	v_add_nc_u32_e32 v23, 16, v60
	s_delay_alu instid0(VALU_DEP_1) | instskip(SKIP_3) | instid1(VALU_DEP_4)
	v_ashrrev_i32_e32 v24, 31, v23
	v_mul_lo_u32 v25, v23, s45
	v_mad_u64_u32 v[2:3], null, v23, s44, 0
	v_cmp_gt_i32_e32 vcc_lo, s10, v23
	v_mul_lo_u32 v24, v24, s44
	s_delay_alu instid0(VALU_DEP_1) | instskip(NEXT) | instid1(VALU_DEP_1)
	v_add3_u32 v3, v3, v25, v24
	v_lshlrev_b64 v[2:3], 4, v[2:3]
	s_delay_alu instid0(VALU_DEP_1) | instskip(NEXT) | instid1(VALU_DEP_1)
	v_add_co_u32 v2, s4, s34, v2
	v_add_co_ci_u32_e64 v3, s4, s35, v3, s4
	s_and_b32 s4, s2, vcc_lo
	s_delay_alu instid0(SALU_CYCLE_1)
	s_and_saveexec_b32 s5, s4
	s_cbranch_execz .LBB116_61
; %bb.60:                               ;   in Loop: Header=BB116_4 Depth=1
	v_add_co_u32 v30, s4, v2, v12
	s_delay_alu instid0(VALU_DEP_1)
	v_add_co_ci_u32_e64 v31, s4, v3, v13, s4
	v_mul_f64 v[32:33], s[18:19], v[38:39]
	v_mul_f64 v[38:39], s[16:17], v[38:39]
	global_load_b128 v[23:26], v[30:31], off
	v_fma_f64 v[32:33], s[16:17], v[36:37], -v[32:33]
	v_fma_f64 v[36:37], s[18:19], v[36:37], v[38:39]
	s_waitcnt vmcnt(0)
	s_delay_alu instid0(VALU_DEP_2) | instskip(NEXT) | instid1(VALU_DEP_2)
	v_add_f64 v[23:24], v[23:24], v[32:33]
	v_add_f64 v[25:26], v[25:26], v[36:37]
	global_store_b128 v[30:31], v[23:26], off
.LBB116_61:                             ;   in Loop: Header=BB116_4 Depth=1
	s_or_b32 exec_lo, exec_lo, s5
	s_and_b32 s5, s3, vcc_lo
	s_delay_alu instid0(SALU_CYCLE_1)
	s_and_saveexec_b32 s4, s5
	s_cbranch_execz .LBB116_3
; %bb.62:                               ;   in Loop: Header=BB116_4 Depth=1
	v_lshlrev_b64 v[23:24], 4, v[10:11]
	v_mul_f64 v[30:31], s[18:19], v[28:29]
	v_mul_f64 v[27:28], s[16:17], v[28:29]
	s_delay_alu instid0(VALU_DEP_3) | instskip(NEXT) | instid1(VALU_DEP_4)
	v_add_co_u32 v2, vcc_lo, v2, v23
	v_add_co_ci_u32_e32 v3, vcc_lo, v3, v24, vcc_lo
	global_load_b128 v[23:26], v[2:3], off
	v_fma_f64 v[29:30], s[16:17], v[34:35], -v[30:31]
	v_fma_f64 v[27:28], s[18:19], v[34:35], v[27:28]
	s_waitcnt vmcnt(0)
	s_delay_alu instid0(VALU_DEP_2) | instskip(NEXT) | instid1(VALU_DEP_2)
	v_add_f64 v[23:24], v[23:24], v[29:30]
	v_add_f64 v[25:26], v[25:26], v[27:28]
	global_store_b128 v[2:3], v[23:26], off
	s_branch .LBB116_3
.LBB116_63:
	s_nop 0
	s_sendmsg sendmsg(MSG_DEALLOC_VGPRS)
	s_endpgm
	.section	.rodata,"a",@progbits
	.p2align	6, 0x0
	.amdhsa_kernel _ZL30rocblas_trmm_outofplace_kernelI19rocblas_complex_numIdELi32ELi2ELb1ELb0ELb1ELb1EPKS1_S2_S1_Ev17rocblas_diagonal_iiT6_lPT7_lllS7_lllPT8_llli
		.amdhsa_group_segment_fixed_size 32768
		.amdhsa_private_segment_fixed_size 0
		.amdhsa_kernarg_size 392
		.amdhsa_user_sgpr_count 13
		.amdhsa_user_sgpr_dispatch_ptr 0
		.amdhsa_user_sgpr_queue_ptr 0
		.amdhsa_user_sgpr_kernarg_segment_ptr 1
		.amdhsa_user_sgpr_dispatch_id 0
		.amdhsa_user_sgpr_private_segment_size 0
		.amdhsa_wavefront_size32 1
		.amdhsa_uses_dynamic_stack 0
		.amdhsa_enable_private_segment 0
		.amdhsa_system_sgpr_workgroup_id_x 1
		.amdhsa_system_sgpr_workgroup_id_y 1
		.amdhsa_system_sgpr_workgroup_id_z 1
		.amdhsa_system_sgpr_workgroup_info 0
		.amdhsa_system_vgpr_workitem_id 1
		.amdhsa_next_free_vgpr 82
		.amdhsa_next_free_sgpr 48
		.amdhsa_reserve_vcc 1
		.amdhsa_float_round_mode_32 0
		.amdhsa_float_round_mode_16_64 0
		.amdhsa_float_denorm_mode_32 3
		.amdhsa_float_denorm_mode_16_64 3
		.amdhsa_dx10_clamp 1
		.amdhsa_ieee_mode 1
		.amdhsa_fp16_overflow 0
		.amdhsa_workgroup_processor_mode 1
		.amdhsa_memory_ordered 1
		.amdhsa_forward_progress 0
		.amdhsa_shared_vgpr_count 0
		.amdhsa_exception_fp_ieee_invalid_op 0
		.amdhsa_exception_fp_denorm_src 0
		.amdhsa_exception_fp_ieee_div_zero 0
		.amdhsa_exception_fp_ieee_overflow 0
		.amdhsa_exception_fp_ieee_underflow 0
		.amdhsa_exception_fp_ieee_inexact 0
		.amdhsa_exception_int_div_zero 0
	.end_amdhsa_kernel
	.section	.text._ZL30rocblas_trmm_outofplace_kernelI19rocblas_complex_numIdELi32ELi2ELb1ELb0ELb1ELb1EPKS1_S2_S1_Ev17rocblas_diagonal_iiT6_lPT7_lllS7_lllPT8_llli,"axG",@progbits,_ZL30rocblas_trmm_outofplace_kernelI19rocblas_complex_numIdELi32ELi2ELb1ELb0ELb1ELb1EPKS1_S2_S1_Ev17rocblas_diagonal_iiT6_lPT7_lllS7_lllPT8_llli,comdat
.Lfunc_end116:
	.size	_ZL30rocblas_trmm_outofplace_kernelI19rocblas_complex_numIdELi32ELi2ELb1ELb0ELb1ELb1EPKS1_S2_S1_Ev17rocblas_diagonal_iiT6_lPT7_lllS7_lllPT8_llli, .Lfunc_end116-_ZL30rocblas_trmm_outofplace_kernelI19rocblas_complex_numIdELi32ELi2ELb1ELb0ELb1ELb1EPKS1_S2_S1_Ev17rocblas_diagonal_iiT6_lPT7_lllS7_lllPT8_llli
                                        ; -- End function
	.section	.AMDGPU.csdata,"",@progbits
; Kernel info:
; codeLenInByte = 11524
; NumSgprs: 50
; NumVgprs: 82
; ScratchSize: 0
; MemoryBound: 0
; FloatMode: 240
; IeeeMode: 1
; LDSByteSize: 32768 bytes/workgroup (compile time only)
; SGPRBlocks: 6
; VGPRBlocks: 10
; NumSGPRsForWavesPerEU: 50
; NumVGPRsForWavesPerEU: 82
; Occupancy: 16
; WaveLimiterHint : 0
; COMPUTE_PGM_RSRC2:SCRATCH_EN: 0
; COMPUTE_PGM_RSRC2:USER_SGPR: 13
; COMPUTE_PGM_RSRC2:TRAP_HANDLER: 0
; COMPUTE_PGM_RSRC2:TGID_X_EN: 1
; COMPUTE_PGM_RSRC2:TGID_Y_EN: 1
; COMPUTE_PGM_RSRC2:TGID_Z_EN: 1
; COMPUTE_PGM_RSRC2:TIDIG_COMP_CNT: 1
	.section	.text._ZL30rocblas_trmm_outofplace_kernelI19rocblas_complex_numIdELi32ELi2ELb1ELb0ELb1ELb1ES1_KS1_S1_Ev17rocblas_diagonal_iiT6_lPT7_lllS6_lllPT8_llli,"axG",@progbits,_ZL30rocblas_trmm_outofplace_kernelI19rocblas_complex_numIdELi32ELi2ELb1ELb0ELb1ELb1ES1_KS1_S1_Ev17rocblas_diagonal_iiT6_lPT7_lllS6_lllPT8_llli,comdat
	.globl	_ZL30rocblas_trmm_outofplace_kernelI19rocblas_complex_numIdELi32ELi2ELb1ELb0ELb1ELb1ES1_KS1_S1_Ev17rocblas_diagonal_iiT6_lPT7_lllS6_lllPT8_llli ; -- Begin function _ZL30rocblas_trmm_outofplace_kernelI19rocblas_complex_numIdELi32ELi2ELb1ELb0ELb1ELb1ES1_KS1_S1_Ev17rocblas_diagonal_iiT6_lPT7_lllS6_lllPT8_llli
	.p2align	8
	.type	_ZL30rocblas_trmm_outofplace_kernelI19rocblas_complex_numIdELi32ELi2ELb1ELb0ELb1ELb1ES1_KS1_S1_Ev17rocblas_diagonal_iiT6_lPT7_lllS6_lllPT8_llli,@function
_ZL30rocblas_trmm_outofplace_kernelI19rocblas_complex_numIdELi32ELi2ELb1ELb0ELb1ELb1ES1_KS1_S1_Ev17rocblas_diagonal_iiT6_lPT7_lllS6_lllPT8_llli: ; @_ZL30rocblas_trmm_outofplace_kernelI19rocblas_complex_numIdELi32ELi2ELb1ELb0ELb1ELb1ES1_KS1_S1_Ev17rocblas_diagonal_iiT6_lPT7_lllS6_lllPT8_llli
; %bb.0:
	s_load_b128 s[44:47], s[0:1], 0x10
	s_waitcnt lgkmcnt(0)
	v_cmp_eq_f64_e64 s2, s[44:45], 0
	v_cmp_eq_f64_e64 s3, s[46:47], 0
	s_delay_alu instid0(VALU_DEP_1) | instskip(NEXT) | instid1(SALU_CYCLE_1)
	s_and_b32 s2, s2, s3
	s_and_b32 vcc_lo, exec_lo, s2
	s_cbranch_vccnz .LBB117_63
; %bb.1:
	s_load_b128 s[8:11], s[0:1], 0x0
	s_waitcnt lgkmcnt(0)
	s_add_i32 s2, s10, -1
	s_delay_alu instid0(SALU_CYCLE_1) | instskip(NEXT) | instid1(SALU_CYCLE_1)
	s_ashr_i32 s3, s2, 31
	s_lshr_b32 s3, s3, 27
	s_delay_alu instid0(SALU_CYCLE_1) | instskip(NEXT) | instid1(SALU_CYCLE_1)
	s_add_i32 s2, s2, s3
	s_ashr_i32 s11, s2, 5
	s_delay_alu instid0(SALU_CYCLE_1)
	s_cmp_gt_i32 s14, s11
	s_cbranch_scc1 .LBB117_63
; %bb.2:
	s_clause 0x2
	s_load_b512 s[16:31], s[0:1], 0x28
	s_load_b256 s[36:43], s[0:1], 0x68
	s_load_b32 s33, s[0:1], 0x94
	v_bfe_u32 v48, v0, 10, 10
	v_and_b32_e32 v0, 0x3ff, v0
	s_mov_b32 s12, s9
	s_delay_alu instid0(VALU_DEP_2) | instskip(NEXT) | instid1(VALU_DEP_2)
	v_lshlrev_b32_e32 v1, 9, v48
	v_lshlrev_b32_e32 v49, 4, v0
	s_delay_alu instid0(VALU_DEP_2) | instskip(NEXT) | instid1(VALU_DEP_2)
	v_add_nc_u32_e32 v50, 0x4000, v1
	v_add_nc_u32_e32 v51, v49, v1
	s_delay_alu instid0(VALU_DEP_2)
	v_add_nc_u32_e32 v52, v50, v49
	s_waitcnt lgkmcnt(0)
	s_mul_i32 s1, s15, s23
	s_mul_hi_u32 s2, s15, s22
	s_mul_i32 s0, s15, s22
	s_add_i32 s1, s2, s1
	s_mul_i32 s2, s15, s43
	s_lshl_b64 s[4:5], s[0:1], 4
	s_mul_hi_u32 s1, s15, s42
	s_add_u32 s3, s16, s4
	s_addc_u32 s22, s17, s5
	s_lshl_b64 s[6:7], s[18:19], 4
	s_mul_i32 s0, s15, s42
	s_add_u32 s3, s3, s6
	s_addc_u32 s22, s22, s7
	s_add_i32 s1, s1, s2
	s_mul_hi_u32 s23, s30, s15
	s_lshl_b64 s[0:1], s[0:1], 4
	s_delay_alu instid0(SALU_CYCLE_1) | instskip(SKIP_2) | instid1(SALU_CYCLE_1)
	s_add_u32 s2, s36, s0
	s_addc_u32 s18, s37, s1
	s_lshl_b64 s[0:1], s[38:39], 4
	s_add_u32 s34, s2, s0
	s_addc_u32 s35, s18, s1
	s_lshl_b32 s0, s13, 5
	s_mul_i32 s2, s31, s15
	v_add_nc_u32_e32 v4, s0, v0
	v_add_nc_u32_e32 v6, s0, v48
	s_sub_i32 s31, s9, s0
	s_delay_alu instid0(SALU_CYCLE_1) | instskip(NEXT) | instid1(VALU_DEP_2)
	s_cmp_gt_i32 s31, 0
	v_ashrrev_i32_e32 v5, 31, v4
	v_mul_lo_u32 v2, v4, s21
	v_mad_u64_u32 v[0:1], null, v4, s20, 0
	v_ashrrev_i32_e32 v7, 31, v6
	s_delay_alu instid0(VALU_DEP_4)
	v_mul_lo_u32 v3, v5, s20
	v_add_co_u32 v10, vcc_lo, v4, 16
	v_add_co_ci_u32_e32 v11, vcc_lo, 0, v5, vcc_lo
	s_cselect_b32 s36, -1, 0
	s_cmpk_eq_i32 s8, 0x84
	v_add_nc_u32_e32 v8, 16, v4
	s_delay_alu instid0(VALU_DEP_4)
	v_add3_u32 v1, v1, v2, v3
	v_lshlrev_b64 v[2:3], 4, v[6:7]
	s_cselect_b32 s37, -1, 0
	s_ashr_i32 s13, s9, 31
	s_ashr_i32 s38, s10, 31
	v_lshlrev_b64 v[0:1], 4, v[0:1]
	v_lshlrev_b64 v[12:13], 4, v[4:5]
	s_add_u32 s18, s9, -16
	s_addc_u32 s19, s13, -1
	s_add_i32 s23, s23, s2
	v_cmp_le_i32_e64 s0, s9, v4
	v_add_co_u32 v0, vcc_lo, s3, v0
	v_add_co_ci_u32_e32 v1, vcc_lo, s22, v1, vcc_lo
	s_mul_i32 s22, s30, s15
	s_delay_alu instid0(VALU_DEP_2) | instskip(NEXT) | instid1(VALU_DEP_2)
	v_add_co_u32 v56, vcc_lo, v0, v2
	v_add_co_ci_u32_e32 v57, vcc_lo, v1, v3, vcc_lo
	v_sub_co_u32 v14, vcc_lo, v4, v6
	v_cmp_gt_i32_e64 s1, s9, v4
	v_cmp_gt_i32_e64 s2, s9, v8
	s_lshl_b64 s[8:9], s[22:23], 4
	s_lshl_b64 s[22:23], s[26:27], 4
	v_sub_co_ci_u32_e32 v15, vcc_lo, v5, v7, vcc_lo
	s_add_u32 s8, s8, s22
	v_add_co_u32 v20, vcc_lo, 0x100, v12
	s_addc_u32 s9, s9, s23
	v_add_co_ci_u32_e32 v21, vcc_lo, 0, v13, vcc_lo
	s_add_u32 s8, s24, s8
	s_addc_u32 s15, s25, s9
	s_lshl_b64 s[22:23], s[28:29], 4
	s_lshl_b32 s9, s33, 5
	s_add_u32 s4, s6, s4
	s_addc_u32 s5, s7, s5
	v_mul_lo_u32 v22, s20, v21
	v_mul_lo_u32 v23, s21, v20
	v_mad_u64_u32 v[0:1], null, s20, v20, s[4:5]
	v_add_co_u32 v16, vcc_lo, v14, 16
	v_add_co_ci_u32_e32 v17, vcc_lo, 0, v15, vcc_lo
	v_add_co_u32 v18, vcc_lo, v14, -16
	v_add_co_ci_u32_e32 v19, vcc_lo, -1, v15, vcc_lo
	v_add3_u32 v1, v23, v1, v22
	v_add_co_u32 v20, vcc_lo, v20, s8
	v_add_co_ci_u32_e32 v21, vcc_lo, s15, v21, vcc_lo
	v_add_co_u32 v0, vcc_lo, v0, v2
	s_delay_alu instid0(VALU_DEP_4) | instskip(SKIP_1) | instid1(VALU_DEP_3)
	v_add_co_ci_u32_e32 v1, vcc_lo, v1, v3, vcc_lo
	v_cmp_le_i64_e64 s3, s[12:13], v[10:11]
	v_add_co_u32 v58, vcc_lo, s16, v0
	v_ashrrev_i32_e32 v9, 31, v8
	v_lshl_add_u32 v22, s14, 5, v48
	v_add_co_ci_u32_e32 v59, vcc_lo, s17, v1, vcc_lo
	v_mov_b32_e32 v1, 0x3ff00000
	v_add_nc_u32_e32 v53, 0x100, v52
	v_add_nc_u32_e32 v54, 0x2000, v52
	v_dual_mov_b32 v0, 0 :: v_dual_add_nc_u32 v55, 0x2100, v52
	s_branch .LBB117_4
.LBB117_3:                              ;   in Loop: Header=BB117_4 Depth=1
	s_or_b32 exec_lo, exec_lo, s4
	v_add_nc_u32_e32 v22, s9, v22
	s_add_i32 s14, s33, s14
	s_delay_alu instid0(SALU_CYCLE_1)
	s_cmp_le_i32 s14, s11
	s_cbranch_scc0 .LBB117_63
.LBB117_4:                              ; =>This Loop Header: Depth=1
                                        ;     Child Loop BB117_7 Depth 2
	v_mov_b32_e32 v40, 0
	v_lshl_add_u32 v60, s14, 5, v48
	v_mov_b32_e32 v41, 0
	s_delay_alu instid0(VALU_DEP_3)
	v_mov_b32_e32 v30, v40
	v_mov_b32_e32 v32, v40
	;; [unrolled: 1-line block ×3, first 2 shown]
	v_ashrrev_i32_e32 v61, 31, v60
	v_mov_b32_e32 v37, v41
	v_dual_mov_b32 v43, v41 :: v_dual_mov_b32 v42, v40
	v_mov_b32_e32 v31, v41
	v_dual_mov_b32 v33, v41 :: v_dual_mov_b32 v38, v40
	v_dual_mov_b32 v39, v41 :: v_dual_mov_b32 v34, v40
	;; [unrolled: 1-line block ×3, first 2 shown]
	v_mov_b32_e32 v29, v41
	s_and_not1_b32 vcc_lo, exec_lo, s36
	s_mov_b64 s[16:17], 0
	s_cbranch_vccnz .LBB117_55
; %bb.5:                                ;   in Loop: Header=BB117_4 Depth=1
	v_ashrrev_i32_e32 v23, 31, v22
	v_mad_u64_u32 v[24:25], null, s22, v22, v[20:21]
	v_mul_lo_u32 v30, s23, v22
	v_mov_b32_e32 v28, 0
	s_delay_alu instid0(VALU_DEP_4) | instskip(SKIP_3) | instid1(VALU_DEP_3)
	v_lshlrev_b64 v[2:3], 4, v[22:23]
	v_mul_lo_u32 v23, s22, v23
	v_mov_b32_e32 v29, 0
	s_mov_b64 s[20:21], 0
	v_add_co_u32 v31, vcc_lo, 0x100, v2
	s_delay_alu instid0(VALU_DEP_4) | instskip(SKIP_1) | instid1(VALU_DEP_3)
	v_add_co_ci_u32_e32 v26, vcc_lo, 0, v3, vcc_lo
	v_sub_co_u32 v2, vcc_lo, s10, v60
	v_mul_lo_u32 v33, s29, v31
	s_delay_alu instid0(VALU_DEP_3) | instskip(SKIP_4) | instid1(VALU_DEP_3)
	v_mul_lo_u32 v32, s28, v26
	v_mad_u64_u32 v[26:27], null, s28, v31, v[20:21]
	v_sub_co_ci_u32_e32 v3, vcc_lo, s38, v61, vcc_lo
	v_dual_mov_b32 v35, v29 :: v_dual_mov_b32 v34, v28
	v_dual_mov_b32 v39, v29 :: v_dual_mov_b32 v38, v28
	v_cmp_lt_i64_e32 vcc_lo, 0, v[2:3]
	v_cmp_lt_i64_e64 s4, 16, v[2:3]
	v_add3_u32 v25, v30, v25, v23
	v_add3_u32 v27, v33, v27, v32
	v_dual_mov_b32 v37, v29 :: v_dual_mov_b32 v36, v28
	v_dual_mov_b32 v33, v29 :: v_dual_mov_b32 v32, v28
	;; [unrolled: 1-line block ×5, first 2 shown]
	s_branch .LBB117_7
.LBB117_6:                              ;   in Loop: Header=BB117_7 Depth=2
	s_or_b32 exec_lo, exec_lo, s6
	s_waitcnt lgkmcnt(0)
	s_waitcnt_vscnt null, 0x0
	s_barrier
	buffer_gl0_inv
	ds_load_b128 v[44:47], v50
	ds_load_b128 v[62:65], v50 offset:16
	ds_load_b128 v[66:69], v50 offset:32
	;; [unrolled: 1-line block ×3, first 2 shown]
	ds_load_b128 v[74:77], v49
	s_add_u32 s20, s20, 32
	s_addc_u32 s21, s21, 0
	s_add_u32 s16, s16, 0x200
	s_addc_u32 s17, s17, 0
	s_cmp_ge_i32 s20, s31
	s_waitcnt lgkmcnt(0)
	v_mul_f64 v[2:3], v[46:47], v[76:77]
	v_mul_f64 v[78:79], v[44:45], v[76:77]
	s_delay_alu instid0(VALU_DEP_2) | instskip(NEXT) | instid1(VALU_DEP_2)
	v_fma_f64 v[2:3], v[44:45], v[74:75], -v[2:3]
	v_fma_f64 v[78:79], v[46:47], v[74:75], v[78:79]
	s_delay_alu instid0(VALU_DEP_2) | instskip(NEXT) | instid1(VALU_DEP_2)
	v_add_f64 v[2:3], v[40:41], v[2:3]
	v_add_f64 v[78:79], v[42:43], v[78:79]
	ds_load_b128 v[40:43], v49 offset:256
	s_waitcnt lgkmcnt(0)
	v_mul_f64 v[80:81], v[46:47], v[42:43]
	s_delay_alu instid0(VALU_DEP_1) | instskip(SKIP_1) | instid1(VALU_DEP_1)
	v_fma_f64 v[80:81], v[44:45], v[40:41], -v[80:81]
	v_mul_f64 v[44:45], v[44:45], v[42:43]
	v_fma_f64 v[44:45], v[46:47], v[40:41], v[44:45]
	s_delay_alu instid0(VALU_DEP_3) | instskip(NEXT) | instid1(VALU_DEP_2)
	v_add_f64 v[46:47], v[30:31], v[80:81]
	v_add_f64 v[44:45], v[32:33], v[44:45]
	ds_load_b128 v[30:33], v50 offset:8192
	s_waitcnt lgkmcnt(0)
	v_mul_f64 v[80:81], v[32:33], v[76:77]
	v_mul_f64 v[76:77], v[30:31], v[76:77]
	s_delay_alu instid0(VALU_DEP_2) | instskip(NEXT) | instid1(VALU_DEP_2)
	v_fma_f64 v[80:81], v[30:31], v[74:75], -v[80:81]
	v_fma_f64 v[74:75], v[32:33], v[74:75], v[76:77]
	s_delay_alu instid0(VALU_DEP_2) | instskip(SKIP_1) | instid1(VALU_DEP_3)
	v_add_f64 v[76:77], v[36:37], v[80:81]
	v_mul_f64 v[36:37], v[32:33], v[42:43]
	v_add_f64 v[74:75], v[38:39], v[74:75]
	s_delay_alu instid0(VALU_DEP_2) | instskip(SKIP_1) | instid1(VALU_DEP_1)
	v_fma_f64 v[36:37], v[30:31], v[40:41], -v[36:37]
	v_mul_f64 v[30:31], v[30:31], v[42:43]
	v_fma_f64 v[30:31], v[32:33], v[40:41], v[30:31]
	s_delay_alu instid0(VALU_DEP_3) | instskip(NEXT) | instid1(VALU_DEP_2)
	v_add_f64 v[40:41], v[34:35], v[36:37]
	v_add_f64 v[42:43], v[28:29], v[30:31]
	ds_load_b128 v[28:31], v49 offset:512
	s_waitcnt lgkmcnt(0)
	v_mul_f64 v[32:33], v[64:65], v[30:31]
	v_mul_f64 v[34:35], v[62:63], v[30:31]
	s_delay_alu instid0(VALU_DEP_2) | instskip(NEXT) | instid1(VALU_DEP_2)
	v_fma_f64 v[32:33], v[62:63], v[28:29], -v[32:33]
	v_fma_f64 v[34:35], v[64:65], v[28:29], v[34:35]
	s_delay_alu instid0(VALU_DEP_2) | instskip(NEXT) | instid1(VALU_DEP_2)
	v_add_f64 v[2:3], v[2:3], v[32:33]
	v_add_f64 v[78:79], v[78:79], v[34:35]
	ds_load_b128 v[32:35], v49 offset:768
	s_waitcnt lgkmcnt(0)
	v_mul_f64 v[36:37], v[64:65], v[34:35]
	v_mul_f64 v[38:39], v[62:63], v[34:35]
	s_delay_alu instid0(VALU_DEP_2) | instskip(NEXT) | instid1(VALU_DEP_2)
	v_fma_f64 v[36:37], v[62:63], v[32:33], -v[36:37]
	v_fma_f64 v[38:39], v[64:65], v[32:33], v[38:39]
	s_delay_alu instid0(VALU_DEP_2) | instskip(NEXT) | instid1(VALU_DEP_2)
	v_add_f64 v[46:47], v[46:47], v[36:37]
	v_add_f64 v[44:45], v[44:45], v[38:39]
	ds_load_b128 v[36:39], v50 offset:8208
	s_waitcnt lgkmcnt(0)
	v_mul_f64 v[62:63], v[38:39], v[30:31]
	v_mul_f64 v[30:31], v[36:37], v[30:31]
	s_delay_alu instid0(VALU_DEP_2) | instskip(NEXT) | instid1(VALU_DEP_2)
	v_fma_f64 v[62:63], v[36:37], v[28:29], -v[62:63]
	v_fma_f64 v[28:29], v[38:39], v[28:29], v[30:31]
	v_mul_f64 v[30:31], v[36:37], v[34:35]
	s_delay_alu instid0(VALU_DEP_3) | instskip(NEXT) | instid1(VALU_DEP_3)
	v_add_f64 v[62:63], v[76:77], v[62:63]
	v_add_f64 v[64:65], v[74:75], v[28:29]
	v_mul_f64 v[28:29], v[38:39], v[34:35]
	s_delay_alu instid0(VALU_DEP_4) | instskip(NEXT) | instid1(VALU_DEP_2)
	v_fma_f64 v[30:31], v[38:39], v[32:33], v[30:31]
	v_fma_f64 v[28:29], v[36:37], v[32:33], -v[28:29]
	s_delay_alu instid0(VALU_DEP_2) | instskip(NEXT) | instid1(VALU_DEP_2)
	v_add_f64 v[42:43], v[42:43], v[30:31]
	v_add_f64 v[40:41], v[40:41], v[28:29]
	ds_load_b128 v[28:31], v49 offset:1024
	s_waitcnt lgkmcnt(0)
	v_mul_f64 v[32:33], v[68:69], v[30:31]
	v_mul_f64 v[34:35], v[66:67], v[30:31]
	s_delay_alu instid0(VALU_DEP_2) | instskip(NEXT) | instid1(VALU_DEP_2)
	v_fma_f64 v[32:33], v[66:67], v[28:29], -v[32:33]
	v_fma_f64 v[34:35], v[68:69], v[28:29], v[34:35]
	s_delay_alu instid0(VALU_DEP_2) | instskip(NEXT) | instid1(VALU_DEP_2)
	v_add_f64 v[2:3], v[2:3], v[32:33]
	v_add_f64 v[74:75], v[78:79], v[34:35]
	ds_load_b128 v[32:35], v49 offset:1280
	s_waitcnt lgkmcnt(0)
	v_mul_f64 v[36:37], v[68:69], v[34:35]
	v_mul_f64 v[38:39], v[66:67], v[34:35]
	s_delay_alu instid0(VALU_DEP_2) | instskip(NEXT) | instid1(VALU_DEP_2)
	v_fma_f64 v[36:37], v[66:67], v[32:33], -v[36:37]
	v_fma_f64 v[38:39], v[68:69], v[32:33], v[38:39]
	s_delay_alu instid0(VALU_DEP_2) | instskip(NEXT) | instid1(VALU_DEP_2)
	v_add_f64 v[46:47], v[46:47], v[36:37]
	v_add_f64 v[44:45], v[44:45], v[38:39]
	ds_load_b128 v[36:39], v50 offset:8224
	s_waitcnt lgkmcnt(0)
	v_mul_f64 v[66:67], v[38:39], v[30:31]
	v_mul_f64 v[30:31], v[36:37], v[30:31]
	s_delay_alu instid0(VALU_DEP_2) | instskip(NEXT) | instid1(VALU_DEP_2)
	v_fma_f64 v[66:67], v[36:37], v[28:29], -v[66:67]
	v_fma_f64 v[28:29], v[38:39], v[28:29], v[30:31]
	v_mul_f64 v[30:31], v[36:37], v[34:35]
	s_delay_alu instid0(VALU_DEP_3) | instskip(NEXT) | instid1(VALU_DEP_3)
	v_add_f64 v[62:63], v[62:63], v[66:67]
	v_add_f64 v[64:65], v[64:65], v[28:29]
	v_mul_f64 v[28:29], v[38:39], v[34:35]
	s_delay_alu instid0(VALU_DEP_4) | instskip(NEXT) | instid1(VALU_DEP_2)
	v_fma_f64 v[30:31], v[38:39], v[32:33], v[30:31]
	v_fma_f64 v[28:29], v[36:37], v[32:33], -v[28:29]
	s_delay_alu instid0(VALU_DEP_2) | instskip(NEXT) | instid1(VALU_DEP_2)
	;; [unrolled: 38-line block ×3, first 2 shown]
	v_add_f64 v[42:43], v[42:43], v[30:31]
	v_add_f64 v[40:41], v[40:41], v[28:29]
	ds_load_b128 v[28:31], v50 offset:64
	ds_load_b128 v[32:35], v49 offset:2048
	s_waitcnt lgkmcnt(0)
	v_mul_f64 v[36:37], v[30:31], v[34:35]
	v_mul_f64 v[38:39], v[28:29], v[34:35]
	s_delay_alu instid0(VALU_DEP_2) | instskip(NEXT) | instid1(VALU_DEP_2)
	v_fma_f64 v[36:37], v[28:29], v[32:33], -v[36:37]
	v_fma_f64 v[38:39], v[30:31], v[32:33], v[38:39]
	s_delay_alu instid0(VALU_DEP_2) | instskip(NEXT) | instid1(VALU_DEP_2)
	v_add_f64 v[2:3], v[2:3], v[36:37]
	v_add_f64 v[66:67], v[66:67], v[38:39]
	ds_load_b128 v[36:39], v49 offset:2304
	s_waitcnt lgkmcnt(0)
	v_mul_f64 v[68:69], v[30:31], v[38:39]
	s_delay_alu instid0(VALU_DEP_1) | instskip(SKIP_1) | instid1(VALU_DEP_2)
	v_fma_f64 v[68:69], v[28:29], v[36:37], -v[68:69]
	v_mul_f64 v[28:29], v[28:29], v[38:39]
	v_add_f64 v[46:47], v[46:47], v[68:69]
	s_delay_alu instid0(VALU_DEP_2) | instskip(NEXT) | instid1(VALU_DEP_1)
	v_fma_f64 v[28:29], v[30:31], v[36:37], v[28:29]
	v_add_f64 v[44:45], v[44:45], v[28:29]
	ds_load_b128 v[28:31], v50 offset:8256
	s_waitcnt lgkmcnt(0)
	v_mul_f64 v[68:69], v[30:31], v[34:35]
	v_mul_f64 v[34:35], v[28:29], v[34:35]
	s_delay_alu instid0(VALU_DEP_2) | instskip(NEXT) | instid1(VALU_DEP_2)
	v_fma_f64 v[68:69], v[28:29], v[32:33], -v[68:69]
	v_fma_f64 v[32:33], v[30:31], v[32:33], v[34:35]
	s_delay_alu instid0(VALU_DEP_2) | instskip(NEXT) | instid1(VALU_DEP_2)
	v_add_f64 v[62:63], v[62:63], v[68:69]
	v_add_f64 v[64:65], v[64:65], v[32:33]
	v_mul_f64 v[32:33], v[30:31], v[38:39]
	s_delay_alu instid0(VALU_DEP_1) | instskip(SKIP_1) | instid1(VALU_DEP_2)
	v_fma_f64 v[32:33], v[28:29], v[36:37], -v[32:33]
	v_mul_f64 v[28:29], v[28:29], v[38:39]
	v_add_f64 v[40:41], v[40:41], v[32:33]
	s_delay_alu instid0(VALU_DEP_2) | instskip(NEXT) | instid1(VALU_DEP_1)
	v_fma_f64 v[28:29], v[30:31], v[36:37], v[28:29]
	v_add_f64 v[42:43], v[42:43], v[28:29]
	ds_load_b128 v[28:31], v50 offset:80
	ds_load_b128 v[32:35], v49 offset:2560
	s_waitcnt lgkmcnt(0)
	v_mul_f64 v[36:37], v[30:31], v[34:35]
	v_mul_f64 v[38:39], v[28:29], v[34:35]
	s_delay_alu instid0(VALU_DEP_2) | instskip(NEXT) | instid1(VALU_DEP_2)
	v_fma_f64 v[36:37], v[28:29], v[32:33], -v[36:37]
	v_fma_f64 v[38:39], v[30:31], v[32:33], v[38:39]
	s_delay_alu instid0(VALU_DEP_2) | instskip(NEXT) | instid1(VALU_DEP_2)
	v_add_f64 v[2:3], v[2:3], v[36:37]
	v_add_f64 v[66:67], v[66:67], v[38:39]
	ds_load_b128 v[36:39], v49 offset:2816
	s_waitcnt lgkmcnt(0)
	v_mul_f64 v[68:69], v[30:31], v[38:39]
	s_delay_alu instid0(VALU_DEP_1) | instskip(SKIP_1) | instid1(VALU_DEP_2)
	v_fma_f64 v[68:69], v[28:29], v[36:37], -v[68:69]
	v_mul_f64 v[28:29], v[28:29], v[38:39]
	v_add_f64 v[46:47], v[46:47], v[68:69]
	s_delay_alu instid0(VALU_DEP_2) | instskip(NEXT) | instid1(VALU_DEP_1)
	v_fma_f64 v[28:29], v[30:31], v[36:37], v[28:29]
	v_add_f64 v[44:45], v[44:45], v[28:29]
	ds_load_b128 v[28:31], v50 offset:8272
	s_waitcnt lgkmcnt(0)
	v_mul_f64 v[68:69], v[30:31], v[34:35]
	v_mul_f64 v[34:35], v[28:29], v[34:35]
	s_delay_alu instid0(VALU_DEP_2) | instskip(NEXT) | instid1(VALU_DEP_2)
	v_fma_f64 v[68:69], v[28:29], v[32:33], -v[68:69]
	v_fma_f64 v[32:33], v[30:31], v[32:33], v[34:35]
	s_delay_alu instid0(VALU_DEP_2) | instskip(NEXT) | instid1(VALU_DEP_2)
	v_add_f64 v[62:63], v[62:63], v[68:69]
	v_add_f64 v[64:65], v[64:65], v[32:33]
	v_mul_f64 v[32:33], v[30:31], v[38:39]
	s_delay_alu instid0(VALU_DEP_1) | instskip(SKIP_1) | instid1(VALU_DEP_2)
	v_fma_f64 v[32:33], v[28:29], v[36:37], -v[32:33]
	v_mul_f64 v[28:29], v[28:29], v[38:39]
	v_add_f64 v[40:41], v[40:41], v[32:33]
	s_delay_alu instid0(VALU_DEP_2) | instskip(NEXT) | instid1(VALU_DEP_1)
	v_fma_f64 v[28:29], v[30:31], v[36:37], v[28:29]
	;; [unrolled: 39-line block ×27, first 2 shown]
	v_add_f64 v[78:79], v[42:43], v[28:29]
	ds_load_b128 v[28:31], v50 offset:496
	ds_load_b128 v[34:37], v49 offset:15872
	;; [unrolled: 1-line block ×4, first 2 shown]
	s_waitcnt lgkmcnt(0)
	s_barrier
	buffer_gl0_inv
	v_mul_f64 v[32:33], v[30:31], v[36:37]
	v_mul_f64 v[38:39], v[28:29], v[36:37]
	s_delay_alu instid0(VALU_DEP_2) | instskip(NEXT) | instid1(VALU_DEP_2)
	v_fma_f64 v[32:33], v[28:29], v[34:35], -v[32:33]
	v_fma_f64 v[38:39], v[30:31], v[34:35], v[38:39]
	s_delay_alu instid0(VALU_DEP_2) | instskip(SKIP_1) | instid1(VALU_DEP_3)
	v_add_f64 v[40:41], v[2:3], v[32:33]
	v_mul_f64 v[2:3], v[30:31], v[46:47]
	v_add_f64 v[42:43], v[66:67], v[38:39]
	s_delay_alu instid0(VALU_DEP_2) | instskip(SKIP_1) | instid1(VALU_DEP_1)
	v_fma_f64 v[2:3], v[28:29], v[44:45], -v[2:3]
	v_mul_f64 v[28:29], v[28:29], v[46:47]
	v_fma_f64 v[28:29], v[30:31], v[44:45], v[28:29]
	s_delay_alu instid0(VALU_DEP_3) | instskip(SKIP_1) | instid1(VALU_DEP_3)
	v_add_f64 v[30:31], v[68:69], v[2:3]
	v_mul_f64 v[2:3], v[64:65], v[36:37]
	v_add_f64 v[32:33], v[70:71], v[28:29]
	v_mul_f64 v[28:29], v[62:63], v[36:37]
	s_delay_alu instid0(VALU_DEP_3) | instskip(NEXT) | instid1(VALU_DEP_2)
	v_fma_f64 v[2:3], v[62:63], v[34:35], -v[2:3]
	v_fma_f64 v[28:29], v[64:65], v[34:35], v[28:29]
	s_delay_alu instid0(VALU_DEP_2) | instskip(SKIP_1) | instid1(VALU_DEP_3)
	v_add_f64 v[36:37], v[72:73], v[2:3]
	v_mul_f64 v[2:3], v[64:65], v[46:47]
	v_add_f64 v[38:39], v[74:75], v[28:29]
	v_mul_f64 v[28:29], v[62:63], v[46:47]
	s_delay_alu instid0(VALU_DEP_3) | instskip(NEXT) | instid1(VALU_DEP_2)
	v_fma_f64 v[2:3], v[62:63], v[44:45], -v[2:3]
	v_fma_f64 v[28:29], v[64:65], v[44:45], v[28:29]
	s_delay_alu instid0(VALU_DEP_2) | instskip(NEXT) | instid1(VALU_DEP_2)
	v_add_f64 v[34:35], v[76:77], v[2:3]
	v_add_f64 v[28:29], v[78:79], v[28:29]
	s_cbranch_scc1 .LBB117_55
.LBB117_7:                              ;   Parent Loop BB117_4 Depth=1
                                        ; =>  This Inner Loop Header: Depth=2
	v_add_co_u32 v46, s5, v6, s20
	s_delay_alu instid0(VALU_DEP_1) | instskip(SKIP_1) | instid1(VALU_DEP_2)
	v_add_co_ci_u32_e64 v47, s5, s21, v7, s5
	v_cmp_eq_u64_e64 s7, s[20:21], v[14:15]
	v_cmp_le_i64_e64 s6, s[12:13], v[46:47]
	v_cmp_lt_i64_e64 s5, v[46:47], v[4:5]
	s_delay_alu instid0(VALU_DEP_3) | instskip(NEXT) | instid1(VALU_DEP_1)
	s_and_b32 s24, s37, s7
	s_or_b32 s7, s6, s5
	s_delay_alu instid0(SALU_CYCLE_1) | instskip(SKIP_1) | instid1(VALU_DEP_1)
	s_or_b32 s8, s7, s24
	v_add_co_u32 v44, s7, v56, s16
	v_add_co_ci_u32_e64 v45, s7, s17, v57, s7
	s_or_b32 s7, s0, s8
	s_delay_alu instid0(SALU_CYCLE_1) | instskip(NEXT) | instid1(SALU_CYCLE_1)
	s_xor_b32 s7, s7, -1
	s_and_saveexec_b32 s8, s7
	s_delay_alu instid0(SALU_CYCLE_1)
	s_xor_b32 s7, exec_lo, s8
	s_cbranch_execz .LBB117_9
; %bb.8:                                ;   in Loop: Header=BB117_7 Depth=2
	global_load_b128 v[62:65], v[44:45], off
	s_waitcnt vmcnt(0)
	v_xor_b32_e32 v65, 0x80000000, v65
	ds_store_b128 v51, v[62:65]
.LBB117_9:                              ;   in Loop: Header=BB117_7 Depth=2
	s_or_saveexec_b32 s7, s7
	s_xor_b32 s15, s24, -1
	s_xor_b32 exec_lo, exec_lo, s7
	s_cbranch_execz .LBB117_15
; %bb.10:                               ;   in Loop: Header=BB117_7 Depth=2
	s_and_saveexec_b32 s8, s15
	s_delay_alu instid0(SALU_CYCLE_1)
	s_xor_b32 s8, exec_lo, s8
	s_cbranch_execz .LBB117_12
; %bb.11:                               ;   in Loop: Header=BB117_7 Depth=2
	v_mov_b32_e32 v62, v0
	v_mov_b32_e32 v63, v0
	;; [unrolled: 1-line block ×4, first 2 shown]
	ds_store_b128 v51, v[62:65]
.LBB117_12:                             ;   in Loop: Header=BB117_7 Depth=2
	s_and_not1_saveexec_b32 s8, s8
	s_cbranch_execz .LBB117_14
; %bb.13:                               ;   in Loop: Header=BB117_7 Depth=2
	v_mov_b32_e32 v2, v0
	v_mov_b32_e32 v3, v0
	ds_store_b128 v51, v[0:3]
.LBB117_14:                             ;   in Loop: Header=BB117_7 Depth=2
	s_or_b32 exec_lo, exec_lo, s8
.LBB117_15:                             ;   in Loop: Header=BB117_7 Depth=2
	s_delay_alu instid0(SALU_CYCLE_1) | instskip(SKIP_2) | instid1(VALU_DEP_2)
	s_or_b32 exec_lo, exec_lo, s7
	v_cmp_eq_u64_e64 s7, s[20:21], v[16:17]
	v_cmp_gt_i64_e64 s8, v[10:11], v[46:47]
	s_and_b32 s7, s37, s7
	s_delay_alu instid0(VALU_DEP_1) | instskip(NEXT) | instid1(SALU_CYCLE_1)
	s_or_b32 s6, s6, s8
	s_or_b32 s6, s6, s7
	s_delay_alu instid0(SALU_CYCLE_1) | instskip(NEXT) | instid1(SALU_CYCLE_1)
	s_or_b32 s6, s3, s6
	s_xor_b32 s6, s6, -1
	s_delay_alu instid0(SALU_CYCLE_1) | instskip(NEXT) | instid1(SALU_CYCLE_1)
	s_and_saveexec_b32 s8, s6
	s_xor_b32 s8, exec_lo, s8
	s_cbranch_execz .LBB117_17
; %bb.16:                               ;   in Loop: Header=BB117_7 Depth=2
	v_add_co_u32 v2, s6, v58, s16
	s_delay_alu instid0(VALU_DEP_1)
	v_add_co_ci_u32_e64 v3, s6, s17, v59, s6
	global_load_b128 v[62:65], v[2:3], off
	s_waitcnt vmcnt(0)
	v_xor_b32_e32 v65, 0x80000000, v65
	ds_store_b128 v51, v[62:65] offset:256
.LBB117_17:                             ;   in Loop: Header=BB117_7 Depth=2
	s_and_not1_saveexec_b32 s6, s8
	s_cbranch_execz .LBB117_23
; %bb.18:                               ;   in Loop: Header=BB117_7 Depth=2
	s_xor_b32 s7, s7, -1
	s_delay_alu instid0(SALU_CYCLE_1) | instskip(NEXT) | instid1(SALU_CYCLE_1)
	s_and_saveexec_b32 s8, s7
	s_xor_b32 s7, exec_lo, s8
	s_cbranch_execz .LBB117_20
; %bb.19:                               ;   in Loop: Header=BB117_7 Depth=2
	v_mov_b32_e32 v62, v0
	v_mov_b32_e32 v63, v0
	;; [unrolled: 1-line block ×4, first 2 shown]
	ds_store_b128 v51, v[62:65] offset:256
.LBB117_20:                             ;   in Loop: Header=BB117_7 Depth=2
	s_and_not1_saveexec_b32 s7, s7
	s_cbranch_execz .LBB117_22
; %bb.21:                               ;   in Loop: Header=BB117_7 Depth=2
	v_mov_b32_e32 v2, v0
	v_mov_b32_e32 v3, v0
	ds_store_b128 v51, v[0:3] offset:256
.LBB117_22:                             ;   in Loop: Header=BB117_7 Depth=2
	s_or_b32 exec_lo, exec_lo, s7
.LBB117_23:                             ;   in Loop: Header=BB117_7 Depth=2
	s_delay_alu instid0(SALU_CYCLE_1) | instskip(SKIP_1) | instid1(VALU_DEP_1)
	s_or_b32 exec_lo, exec_lo, s6
	v_add_co_u32 v2, s6, v46, 16
	v_add_co_ci_u32_e64 v3, s6, 0, v47, s6
	v_cmp_eq_u64_e64 s7, s[20:21], v[18:19]
	s_delay_alu instid0(VALU_DEP_2) | instskip(SKIP_1) | instid1(VALU_DEP_3)
	v_cmp_le_i64_e64 s6, s[12:13], v[2:3]
	v_cmp_lt_i64_e64 s8, v[2:3], v[4:5]
	s_and_b32 s25, s37, s7
	s_delay_alu instid0(VALU_DEP_1) | instskip(NEXT) | instid1(SALU_CYCLE_1)
	s_or_b32 s7, s6, s8
	s_or_b32 s7, s7, s25
	s_delay_alu instid0(SALU_CYCLE_1) | instskip(NEXT) | instid1(SALU_CYCLE_1)
	s_or_b32 s7, s0, s7
	s_xor_b32 s7, s7, -1
	s_delay_alu instid0(SALU_CYCLE_1) | instskip(NEXT) | instid1(SALU_CYCLE_1)
	s_and_saveexec_b32 s8, s7
	s_xor_b32 s7, exec_lo, s8
	s_cbranch_execz .LBB117_25
; %bb.24:                               ;   in Loop: Header=BB117_7 Depth=2
	global_load_b128 v[44:47], v[44:45], off offset:256
	s_waitcnt vmcnt(0)
	v_xor_b32_e32 v47, 0x80000000, v47
	ds_store_b128 v51, v[44:47] offset:8192
.LBB117_25:                             ;   in Loop: Header=BB117_7 Depth=2
	s_and_not1_saveexec_b32 s7, s7
	s_cbranch_execz .LBB117_31
; %bb.26:                               ;   in Loop: Header=BB117_7 Depth=2
	s_xor_b32 s8, s25, -1
	s_delay_alu instid0(SALU_CYCLE_1) | instskip(NEXT) | instid1(SALU_CYCLE_1)
	s_and_saveexec_b32 s25, s8
	s_xor_b32 s8, exec_lo, s25
	s_cbranch_execz .LBB117_28
; %bb.27:                               ;   in Loop: Header=BB117_7 Depth=2
	v_mov_b32_e32 v44, v0
	v_mov_b32_e32 v45, v0
	v_mov_b32_e32 v46, v0
	v_mov_b32_e32 v47, v0
	ds_store_b128 v51, v[44:47] offset:8192
.LBB117_28:                             ;   in Loop: Header=BB117_7 Depth=2
	s_and_not1_saveexec_b32 s8, s8
	s_cbranch_execz .LBB117_30
; %bb.29:                               ;   in Loop: Header=BB117_7 Depth=2
	v_mov_b32_e32 v2, v0
	v_mov_b32_e32 v3, v0
	ds_store_b128 v51, v[0:3] offset:8192
.LBB117_30:                             ;   in Loop: Header=BB117_7 Depth=2
	s_or_b32 exec_lo, exec_lo, s8
.LBB117_31:                             ;   in Loop: Header=BB117_7 Depth=2
	s_delay_alu instid0(SALU_CYCLE_1) | instskip(SKIP_1) | instid1(SALU_CYCLE_1)
	s_or_b32 exec_lo, exec_lo, s7
	s_or_b32 s5, s6, s5
	s_or_b32 s5, s5, s24
	s_delay_alu instid0(SALU_CYCLE_1) | instskip(NEXT) | instid1(SALU_CYCLE_1)
	s_or_b32 s5, s3, s5
	s_xor_b32 s5, s5, -1
	s_delay_alu instid0(SALU_CYCLE_1) | instskip(NEXT) | instid1(SALU_CYCLE_1)
	s_and_saveexec_b32 s6, s5
	s_xor_b32 s6, exec_lo, s6
	s_cbranch_execz .LBB117_33
; %bb.32:                               ;   in Loop: Header=BB117_7 Depth=2
	v_add_co_u32 v2, s5, v58, s16
	s_delay_alu instid0(VALU_DEP_1)
	v_add_co_ci_u32_e64 v3, s5, s17, v59, s5
	global_load_b128 v[44:47], v[2:3], off offset:256
	s_waitcnt vmcnt(0)
	v_xor_b32_e32 v47, 0x80000000, v47
	ds_store_b128 v51, v[44:47] offset:8448
.LBB117_33:                             ;   in Loop: Header=BB117_7 Depth=2
	s_and_not1_saveexec_b32 s5, s6
	s_cbranch_execz .LBB117_39
; %bb.34:                               ;   in Loop: Header=BB117_7 Depth=2
	s_and_saveexec_b32 s6, s15
	s_delay_alu instid0(SALU_CYCLE_1)
	s_xor_b32 s6, exec_lo, s6
	s_cbranch_execz .LBB117_36
; %bb.35:                               ;   in Loop: Header=BB117_7 Depth=2
	v_mov_b32_e32 v44, v0
	v_mov_b32_e32 v45, v0
	;; [unrolled: 1-line block ×4, first 2 shown]
	ds_store_b128 v51, v[44:47] offset:8448
.LBB117_36:                             ;   in Loop: Header=BB117_7 Depth=2
	s_and_not1_saveexec_b32 s6, s6
	s_cbranch_execz .LBB117_38
; %bb.37:                               ;   in Loop: Header=BB117_7 Depth=2
	v_mov_b32_e32 v2, v0
	v_mov_b32_e32 v3, v0
	ds_store_b128 v51, v[0:3] offset:8448
.LBB117_38:                             ;   in Loop: Header=BB117_7 Depth=2
	s_or_b32 exec_lo, exec_lo, s6
.LBB117_39:                             ;   in Loop: Header=BB117_7 Depth=2
	s_delay_alu instid0(SALU_CYCLE_1) | instskip(SKIP_1) | instid1(VALU_DEP_1)
	s_or_b32 exec_lo, exec_lo, s5
	v_add_co_u32 v2, s5, v4, s20
	v_add_co_ci_u32_e64 v3, s5, s21, v5, s5
	s_delay_alu instid0(VALU_DEP_1) | instskip(NEXT) | instid1(VALU_DEP_1)
	v_cmp_gt_i64_e64 s5, s[12:13], v[2:3]
	s_and_b32 s6, vcc_lo, s5
	s_delay_alu instid0(SALU_CYCLE_1) | instskip(NEXT) | instid1(SALU_CYCLE_1)
	s_xor_b32 s6, s6, -1
	s_and_saveexec_b32 s7, s6
	s_delay_alu instid0(SALU_CYCLE_1)
	s_xor_b32 s6, exec_lo, s7
	s_cbranch_execz .LBB117_41
; %bb.40:                               ;   in Loop: Header=BB117_7 Depth=2
	v_mov_b32_e32 v44, v0
	v_mov_b32_e32 v45, v0
	;; [unrolled: 1-line block ×4, first 2 shown]
	ds_store_b128 v52, v[44:47]
.LBB117_41:                             ;   in Loop: Header=BB117_7 Depth=2
	s_or_saveexec_b32 s7, s6
	v_add_co_u32 v44, s6, v24, s16
	s_delay_alu instid0(VALU_DEP_1)
	v_add_co_ci_u32_e64 v45, s6, s17, v25, s6
	s_xor_b32 exec_lo, exec_lo, s7
	s_cbranch_execz .LBB117_43
; %bb.42:                               ;   in Loop: Header=BB117_7 Depth=2
	global_load_b128 v[62:65], v[44:45], off offset:-256
	s_waitcnt vmcnt(0)
	ds_store_2addr_b64 v52, v[62:63], v[64:65] offset1:1
.LBB117_43:                             ;   in Loop: Header=BB117_7 Depth=2
	s_or_b32 exec_lo, exec_lo, s7
	v_cmp_gt_i64_e64 s6, s[18:19], v[2:3]
	s_delay_alu instid0(VALU_DEP_1) | instskip(NEXT) | instid1(SALU_CYCLE_1)
	s_and_b32 s7, vcc_lo, s6
	s_xor_b32 s7, s7, -1
	s_delay_alu instid0(SALU_CYCLE_1) | instskip(NEXT) | instid1(SALU_CYCLE_1)
	s_and_saveexec_b32 s8, s7
	s_xor_b32 s7, exec_lo, s8
	s_cbranch_execz .LBB117_45
; %bb.44:                               ;   in Loop: Header=BB117_7 Depth=2
	v_mov_b32_e32 v44, v0
	v_mov_b32_e32 v45, v0
	;; [unrolled: 1-line block ×4, first 2 shown]
	ds_store_b128 v53, v[44:47]
                                        ; implicit-def: $vgpr44_vgpr45
.LBB117_45:                             ;   in Loop: Header=BB117_7 Depth=2
	s_and_not1_saveexec_b32 s7, s7
	s_cbranch_execz .LBB117_47
; %bb.46:                               ;   in Loop: Header=BB117_7 Depth=2
	global_load_b128 v[44:47], v[44:45], off
	s_waitcnt vmcnt(0)
	ds_store_2addr_b64 v53, v[44:45], v[46:47] offset1:1
.LBB117_47:                             ;   in Loop: Header=BB117_7 Depth=2
	s_or_b32 exec_lo, exec_lo, s7
	s_and_b32 s5, s4, s5
	s_delay_alu instid0(SALU_CYCLE_1) | instskip(NEXT) | instid1(SALU_CYCLE_1)
	s_xor_b32 s5, s5, -1
	s_and_saveexec_b32 s7, s5
	s_delay_alu instid0(SALU_CYCLE_1)
	s_xor_b32 s5, exec_lo, s7
	s_cbranch_execz .LBB117_49
; %bb.48:                               ;   in Loop: Header=BB117_7 Depth=2
	v_mov_b32_e32 v44, v0
	v_mov_b32_e32 v45, v0
	;; [unrolled: 1-line block ×4, first 2 shown]
	ds_store_b128 v54, v[44:47]
.LBB117_49:                             ;   in Loop: Header=BB117_7 Depth=2
	s_and_not1_saveexec_b32 s7, s5
	s_cbranch_execz .LBB117_51
; %bb.50:                               ;   in Loop: Header=BB117_7 Depth=2
	v_add_co_u32 v2, s5, v26, s16
	s_delay_alu instid0(VALU_DEP_1)
	v_add_co_ci_u32_e64 v3, s5, s17, v27, s5
	global_load_b128 v[44:47], v[2:3], off offset:-256
	s_waitcnt vmcnt(0)
	ds_store_2addr_b64 v54, v[44:45], v[46:47] offset1:1
.LBB117_51:                             ;   in Loop: Header=BB117_7 Depth=2
	s_or_b32 exec_lo, exec_lo, s7
	s_and_b32 s5, s4, s6
	s_delay_alu instid0(SALU_CYCLE_1) | instskip(NEXT) | instid1(SALU_CYCLE_1)
	s_xor_b32 s5, s5, -1
	s_and_saveexec_b32 s6, s5
	s_delay_alu instid0(SALU_CYCLE_1)
	s_xor_b32 s5, exec_lo, s6
	s_cbranch_execz .LBB117_53
; %bb.52:                               ;   in Loop: Header=BB117_7 Depth=2
	v_mov_b32_e32 v44, v0
	v_mov_b32_e32 v45, v0
	;; [unrolled: 1-line block ×4, first 2 shown]
	ds_store_b128 v55, v[44:47]
.LBB117_53:                             ;   in Loop: Header=BB117_7 Depth=2
	s_and_not1_saveexec_b32 s6, s5
	s_cbranch_execz .LBB117_6
; %bb.54:                               ;   in Loop: Header=BB117_7 Depth=2
	v_add_co_u32 v2, s5, v26, s16
	s_delay_alu instid0(VALU_DEP_1)
	v_add_co_ci_u32_e64 v3, s5, s17, v27, s5
	global_load_b128 v[44:47], v[2:3], off
	s_waitcnt vmcnt(0)
	ds_store_2addr_b64 v55, v[44:45], v[46:47] offset1:1
	s_branch .LBB117_6
.LBB117_55:                             ;   in Loop: Header=BB117_4 Depth=1
	v_mul_lo_u32 v23, v61, s40
	v_mul_lo_u32 v24, v60, s41
	v_mad_u64_u32 v[2:3], null, v60, s40, 0
	v_cmp_gt_i32_e32 vcc_lo, s10, v60
	s_delay_alu instid0(VALU_DEP_2) | instskip(NEXT) | instid1(VALU_DEP_1)
	v_add3_u32 v3, v3, v24, v23
	v_lshlrev_b64 v[2:3], 4, v[2:3]
	s_delay_alu instid0(VALU_DEP_1) | instskip(NEXT) | instid1(VALU_DEP_1)
	v_add_co_u32 v2, s4, s34, v2
	v_add_co_ci_u32_e64 v3, s4, s35, v3, s4
	s_and_b32 s4, s1, vcc_lo
	s_delay_alu instid0(SALU_CYCLE_1)
	s_and_saveexec_b32 s5, s4
	s_cbranch_execz .LBB117_57
; %bb.56:                               ;   in Loop: Header=BB117_4 Depth=1
	v_add_co_u32 v44, s4, v2, v12
	s_delay_alu instid0(VALU_DEP_1)
	v_add_co_ci_u32_e64 v45, s4, v3, v13, s4
	v_mul_f64 v[46:47], s[46:47], v[42:43]
	v_mul_f64 v[42:43], s[44:45], v[42:43]
	global_load_b128 v[23:26], v[44:45], off
	v_fma_f64 v[46:47], s[44:45], v[40:41], -v[46:47]
	v_fma_f64 v[40:41], s[46:47], v[40:41], v[42:43]
	s_waitcnt vmcnt(0)
	s_delay_alu instid0(VALU_DEP_2) | instskip(NEXT) | instid1(VALU_DEP_2)
	v_add_f64 v[23:24], v[23:24], v[46:47]
	v_add_f64 v[25:26], v[25:26], v[40:41]
	global_store_b128 v[44:45], v[23:26], off
.LBB117_57:                             ;   in Loop: Header=BB117_4 Depth=1
	s_or_b32 exec_lo, exec_lo, s5
	s_and_b32 s5, s2, vcc_lo
	s_delay_alu instid0(SALU_CYCLE_1)
	s_and_saveexec_b32 s4, s5
	s_cbranch_execz .LBB117_59
; %bb.58:                               ;   in Loop: Header=BB117_4 Depth=1
	v_lshlrev_b64 v[23:24], 4, v[8:9]
	v_mul_f64 v[40:41], s[46:47], v[32:33]
	v_mul_f64 v[32:33], s[44:45], v[32:33]
	s_delay_alu instid0(VALU_DEP_3) | instskip(NEXT) | instid1(VALU_DEP_4)
	v_add_co_u32 v2, vcc_lo, v2, v23
	v_add_co_ci_u32_e32 v3, vcc_lo, v3, v24, vcc_lo
	global_load_b128 v[23:26], v[2:3], off
	v_fma_f64 v[40:41], s[44:45], v[30:31], -v[40:41]
	v_fma_f64 v[30:31], s[46:47], v[30:31], v[32:33]
	s_waitcnt vmcnt(0)
	s_delay_alu instid0(VALU_DEP_2) | instskip(NEXT) | instid1(VALU_DEP_2)
	v_add_f64 v[23:24], v[23:24], v[40:41]
	v_add_f64 v[25:26], v[25:26], v[30:31]
	global_store_b128 v[2:3], v[23:26], off
.LBB117_59:                             ;   in Loop: Header=BB117_4 Depth=1
	s_or_b32 exec_lo, exec_lo, s4
	v_add_nc_u32_e32 v23, 16, v60
	s_delay_alu instid0(VALU_DEP_1) | instskip(SKIP_3) | instid1(VALU_DEP_4)
	v_ashrrev_i32_e32 v24, 31, v23
	v_mul_lo_u32 v25, v23, s41
	v_mad_u64_u32 v[2:3], null, v23, s40, 0
	v_cmp_gt_i32_e32 vcc_lo, s10, v23
	v_mul_lo_u32 v24, v24, s40
	s_delay_alu instid0(VALU_DEP_1) | instskip(NEXT) | instid1(VALU_DEP_1)
	v_add3_u32 v3, v3, v25, v24
	v_lshlrev_b64 v[2:3], 4, v[2:3]
	s_delay_alu instid0(VALU_DEP_1) | instskip(NEXT) | instid1(VALU_DEP_1)
	v_add_co_u32 v2, s4, s34, v2
	v_add_co_ci_u32_e64 v3, s4, s35, v3, s4
	s_and_b32 s4, s1, vcc_lo
	s_delay_alu instid0(SALU_CYCLE_1)
	s_and_saveexec_b32 s5, s4
	s_cbranch_execz .LBB117_61
; %bb.60:                               ;   in Loop: Header=BB117_4 Depth=1
	v_add_co_u32 v30, s4, v2, v12
	s_delay_alu instid0(VALU_DEP_1)
	v_add_co_ci_u32_e64 v31, s4, v3, v13, s4
	v_mul_f64 v[32:33], s[46:47], v[38:39]
	v_mul_f64 v[38:39], s[44:45], v[38:39]
	global_load_b128 v[23:26], v[30:31], off
	v_fma_f64 v[32:33], s[44:45], v[36:37], -v[32:33]
	v_fma_f64 v[36:37], s[46:47], v[36:37], v[38:39]
	s_waitcnt vmcnt(0)
	s_delay_alu instid0(VALU_DEP_2) | instskip(NEXT) | instid1(VALU_DEP_2)
	v_add_f64 v[23:24], v[23:24], v[32:33]
	v_add_f64 v[25:26], v[25:26], v[36:37]
	global_store_b128 v[30:31], v[23:26], off
.LBB117_61:                             ;   in Loop: Header=BB117_4 Depth=1
	s_or_b32 exec_lo, exec_lo, s5
	s_and_b32 s5, s2, vcc_lo
	s_delay_alu instid0(SALU_CYCLE_1)
	s_and_saveexec_b32 s4, s5
	s_cbranch_execz .LBB117_3
; %bb.62:                               ;   in Loop: Header=BB117_4 Depth=1
	v_lshlrev_b64 v[23:24], 4, v[8:9]
	v_mul_f64 v[30:31], s[46:47], v[28:29]
	v_mul_f64 v[27:28], s[44:45], v[28:29]
	s_delay_alu instid0(VALU_DEP_3) | instskip(NEXT) | instid1(VALU_DEP_4)
	v_add_co_u32 v2, vcc_lo, v2, v23
	v_add_co_ci_u32_e32 v3, vcc_lo, v3, v24, vcc_lo
	global_load_b128 v[23:26], v[2:3], off
	v_fma_f64 v[29:30], s[44:45], v[34:35], -v[30:31]
	v_fma_f64 v[27:28], s[46:47], v[34:35], v[27:28]
	s_waitcnt vmcnt(0)
	s_delay_alu instid0(VALU_DEP_2) | instskip(NEXT) | instid1(VALU_DEP_2)
	v_add_f64 v[23:24], v[23:24], v[29:30]
	v_add_f64 v[25:26], v[25:26], v[27:28]
	global_store_b128 v[2:3], v[23:26], off
	s_branch .LBB117_3
.LBB117_63:
	s_nop 0
	s_sendmsg sendmsg(MSG_DEALLOC_VGPRS)
	s_endpgm
	.section	.rodata,"a",@progbits
	.p2align	6, 0x0
	.amdhsa_kernel _ZL30rocblas_trmm_outofplace_kernelI19rocblas_complex_numIdELi32ELi2ELb1ELb0ELb1ELb1ES1_KS1_S1_Ev17rocblas_diagonal_iiT6_lPT7_lllS6_lllPT8_llli
		.amdhsa_group_segment_fixed_size 32768
		.amdhsa_private_segment_fixed_size 0
		.amdhsa_kernarg_size 400
		.amdhsa_user_sgpr_count 13
		.amdhsa_user_sgpr_dispatch_ptr 0
		.amdhsa_user_sgpr_queue_ptr 0
		.amdhsa_user_sgpr_kernarg_segment_ptr 1
		.amdhsa_user_sgpr_dispatch_id 0
		.amdhsa_user_sgpr_private_segment_size 0
		.amdhsa_wavefront_size32 1
		.amdhsa_uses_dynamic_stack 0
		.amdhsa_enable_private_segment 0
		.amdhsa_system_sgpr_workgroup_id_x 1
		.amdhsa_system_sgpr_workgroup_id_y 1
		.amdhsa_system_sgpr_workgroup_id_z 1
		.amdhsa_system_sgpr_workgroup_info 0
		.amdhsa_system_vgpr_workitem_id 1
		.amdhsa_next_free_vgpr 82
		.amdhsa_next_free_sgpr 48
		.amdhsa_reserve_vcc 1
		.amdhsa_float_round_mode_32 0
		.amdhsa_float_round_mode_16_64 0
		.amdhsa_float_denorm_mode_32 3
		.amdhsa_float_denorm_mode_16_64 3
		.amdhsa_dx10_clamp 1
		.amdhsa_ieee_mode 1
		.amdhsa_fp16_overflow 0
		.amdhsa_workgroup_processor_mode 1
		.amdhsa_memory_ordered 1
		.amdhsa_forward_progress 0
		.amdhsa_shared_vgpr_count 0
		.amdhsa_exception_fp_ieee_invalid_op 0
		.amdhsa_exception_fp_denorm_src 0
		.amdhsa_exception_fp_ieee_div_zero 0
		.amdhsa_exception_fp_ieee_overflow 0
		.amdhsa_exception_fp_ieee_underflow 0
		.amdhsa_exception_fp_ieee_inexact 0
		.amdhsa_exception_int_div_zero 0
	.end_amdhsa_kernel
	.section	.text._ZL30rocblas_trmm_outofplace_kernelI19rocblas_complex_numIdELi32ELi2ELb1ELb0ELb1ELb1ES1_KS1_S1_Ev17rocblas_diagonal_iiT6_lPT7_lllS6_lllPT8_llli,"axG",@progbits,_ZL30rocblas_trmm_outofplace_kernelI19rocblas_complex_numIdELi32ELi2ELb1ELb0ELb1ELb1ES1_KS1_S1_Ev17rocblas_diagonal_iiT6_lPT7_lllS6_lllPT8_llli,comdat
.Lfunc_end117:
	.size	_ZL30rocblas_trmm_outofplace_kernelI19rocblas_complex_numIdELi32ELi2ELb1ELb0ELb1ELb1ES1_KS1_S1_Ev17rocblas_diagonal_iiT6_lPT7_lllS6_lllPT8_llli, .Lfunc_end117-_ZL30rocblas_trmm_outofplace_kernelI19rocblas_complex_numIdELi32ELi2ELb1ELb0ELb1ELb1ES1_KS1_S1_Ev17rocblas_diagonal_iiT6_lPT7_lllS6_lllPT8_llli
                                        ; -- End function
	.section	.AMDGPU.csdata,"",@progbits
; Kernel info:
; codeLenInByte = 11496
; NumSgprs: 50
; NumVgprs: 82
; ScratchSize: 0
; MemoryBound: 0
; FloatMode: 240
; IeeeMode: 1
; LDSByteSize: 32768 bytes/workgroup (compile time only)
; SGPRBlocks: 6
; VGPRBlocks: 10
; NumSGPRsForWavesPerEU: 50
; NumVGPRsForWavesPerEU: 82
; Occupancy: 16
; WaveLimiterHint : 0
; COMPUTE_PGM_RSRC2:SCRATCH_EN: 0
; COMPUTE_PGM_RSRC2:USER_SGPR: 13
; COMPUTE_PGM_RSRC2:TRAP_HANDLER: 0
; COMPUTE_PGM_RSRC2:TGID_X_EN: 1
; COMPUTE_PGM_RSRC2:TGID_Y_EN: 1
; COMPUTE_PGM_RSRC2:TGID_Z_EN: 1
; COMPUTE_PGM_RSRC2:TIDIG_COMP_CNT: 1
	.section	.text._ZL30rocblas_trmm_outofplace_kernelI19rocblas_complex_numIdELi32ELi2ELb1ELb1ELb1ELb1EPKS1_S2_S1_Ev17rocblas_diagonal_iiT6_lPT7_lllS7_lllPT8_llli,"axG",@progbits,_ZL30rocblas_trmm_outofplace_kernelI19rocblas_complex_numIdELi32ELi2ELb1ELb1ELb1ELb1EPKS1_S2_S1_Ev17rocblas_diagonal_iiT6_lPT7_lllS7_lllPT8_llli,comdat
	.globl	_ZL30rocblas_trmm_outofplace_kernelI19rocblas_complex_numIdELi32ELi2ELb1ELb1ELb1ELb1EPKS1_S2_S1_Ev17rocblas_diagonal_iiT6_lPT7_lllS7_lllPT8_llli ; -- Begin function _ZL30rocblas_trmm_outofplace_kernelI19rocblas_complex_numIdELi32ELi2ELb1ELb1ELb1ELb1EPKS1_S2_S1_Ev17rocblas_diagonal_iiT6_lPT7_lllS7_lllPT8_llli
	.p2align	8
	.type	_ZL30rocblas_trmm_outofplace_kernelI19rocblas_complex_numIdELi32ELi2ELb1ELb1ELb1ELb1EPKS1_S2_S1_Ev17rocblas_diagonal_iiT6_lPT7_lllS7_lllPT8_llli,@function
_ZL30rocblas_trmm_outofplace_kernelI19rocblas_complex_numIdELi32ELi2ELb1ELb1ELb1ELb1EPKS1_S2_S1_Ev17rocblas_diagonal_iiT6_lPT7_lllS7_lllPT8_llli: ; @_ZL30rocblas_trmm_outofplace_kernelI19rocblas_complex_numIdELi32ELi2ELb1ELb1ELb1ELb1EPKS1_S2_S1_Ev17rocblas_diagonal_iiT6_lPT7_lllS7_lllPT8_llli
; %bb.0:
	s_load_b512 s[16:31], s[0:1], 0x10
	s_waitcnt lgkmcnt(0)
	s_mul_i32 s3, s15, s19
	s_mul_hi_u32 s4, s15, s18
	s_mul_i32 s2, s15, s18
	s_add_i32 s3, s4, s3
	s_delay_alu instid0(SALU_CYCLE_1) | instskip(NEXT) | instid1(SALU_CYCLE_1)
	s_lshl_b64 s[2:3], s[2:3], 4
	s_add_u32 s2, s16, s2
	s_addc_u32 s3, s17, s3
	s_load_b128 s[16:19], s[2:3], 0x0
	s_waitcnt lgkmcnt(0)
	v_cmp_eq_f64_e64 s2, s[16:17], 0
	v_cmp_eq_f64_e64 s3, s[18:19], 0
	s_delay_alu instid0(VALU_DEP_1) | instskip(NEXT) | instid1(SALU_CYCLE_1)
	s_and_b32 s2, s2, s3
	s_and_b32 vcc_lo, exec_lo, s2
	s_cbranch_vccnz .LBB118_63
; %bb.1:
	s_load_b128 s[8:11], s[0:1], 0x0
	s_waitcnt lgkmcnt(0)
	s_add_i32 s2, s10, -1
	s_delay_alu instid0(SALU_CYCLE_1) | instskip(NEXT) | instid1(SALU_CYCLE_1)
	s_ashr_i32 s3, s2, 31
	s_lshr_b32 s3, s3, 27
	s_delay_alu instid0(SALU_CYCLE_1) | instskip(NEXT) | instid1(SALU_CYCLE_1)
	s_add_i32 s2, s2, s3
	s_ashr_i32 s11, s2, 5
	s_delay_alu instid0(SALU_CYCLE_1)
	s_cmp_gt_i32 s14, s11
	s_cbranch_scc1 .LBB118_63
; %bb.2:
	s_clause 0x1
	s_load_b128 s[44:47], s[0:1], 0x70
	s_load_b256 s[36:43], s[0:1], 0x50
	s_mul_i32 s3, s15, s27
	s_mul_hi_u32 s4, s15, s26
	s_mul_i32 s2, s15, s26
	s_add_i32 s3, s4, s3
	s_load_b32 s33, s[0:1], 0x8c
	s_lshl_b64 s[4:5], s[2:3], 4
	v_bfe_u32 v47, v0, 10, 10
	s_add_u32 s2, s20, s4
	s_addc_u32 s3, s21, s5
	s_lshl_b64 s[6:7], s[22:23], 4
	v_dual_mov_b32 v1, 0 :: v_dual_and_b32 v0, 0x3ff, v0
	s_add_u32 s2, s2, s6
	s_addc_u32 s3, s3, s7
	v_lshlrev_b32_e32 v2, 9, v47
	v_lshlrev_b32_e32 v4, 4, v47
	;; [unrolled: 1-line block ×3, first 2 shown]
	s_waitcnt lgkmcnt(0)
	s_mul_i32 s1, s15, s47
	s_mul_hi_u32 s12, s15, s46
	s_mul_i32 s0, s15, s46
	s_add_i32 s1, s12, s1
	v_add_nc_u32_e32 v49, 0x4000, v2
	s_lshl_b64 s[0:1], s[0:1], 4
	v_add_nc_u32_e32 v50, v48, v2
	s_add_u32 s12, s40, s0
	s_addc_u32 s22, s41, s1
	s_lshl_b64 s[0:1], s[42:43], 4
	v_add_nc_u32_e32 v51, v49, v48
	s_add_u32 s34, s12, s0
	s_addc_u32 s35, s22, s1
	s_lshl_b32 s40, s13, 5
	s_cmp_gt_i32 s13, -1
	v_add_nc_u32_e32 v5, s40, v0
	s_cselect_b32 s41, -1, 0
	s_cmpk_eq_i32 s8, 0x84
	s_mov_b32 s12, s9
	s_cselect_b32 s42, -1, 0
	v_ashrrev_i32_e32 v6, 31, v5
	v_mul_lo_u32 v7, v5, s25
	v_mad_u64_u32 v[2:3], null, v5, s24, 0
	v_add_co_u32 v9, vcc_lo, v5, 16
	s_delay_alu instid0(VALU_DEP_4)
	v_mul_lo_u32 v8, v6, s24
	v_add_co_ci_u32_e32 v10, vcc_lo, 0, v6, vcc_lo
	s_ashr_i32 s13, s9, 31
	s_ashr_i32 s43, s10, 31
	s_add_u32 s22, s9, -16
	v_cmp_le_i32_e64 s0, s9, v5
	s_mul_i32 s8, s39, s15
	s_delay_alu instid0(VALU_DEP_3)
	v_add3_u32 v3, v3, v7, v8
	v_add_nc_u32_e32 v7, 16, v5
	v_lshlrev_b64 v[13:14], 4, v[5:6]
	s_addc_u32 s23, s13, -1
	s_lshl_b64 s[26:27], s[30:31], 4
	v_lshlrev_b64 v[2:3], 4, v[2:3]
	v_cmp_le_i64_e64 s1, s[12:13], v[9:10]
	v_add_nc_u32_e32 v52, 0x100, v51
	v_add_nc_u32_e32 v53, 0x2000, v51
	;; [unrolled: 1-line block ×3, first 2 shown]
	v_ashrrev_i32_e32 v8, 31, v7
	v_add_co_u32 v2, vcc_lo, s2, v2
	v_add_co_ci_u32_e32 v3, vcc_lo, s3, v3, vcc_lo
	v_cmp_gt_i32_e64 s2, s9, v5
	s_delay_alu instid0(VALU_DEP_3) | instskip(NEXT) | instid1(VALU_DEP_3)
	v_add_co_u32 v54, vcc_lo, v2, v4
	v_add_co_ci_u32_e32 v55, vcc_lo, 0, v3, vcc_lo
	v_sub_co_u32 v11, vcc_lo, v5, v47
	v_cmp_gt_i32_e64 s3, s9, v7
	s_mul_hi_u32 s9, s38, s15
	v_subrev_co_ci_u32_e32 v12, vcc_lo, 0, v6, vcc_lo
	s_add_i32 s9, s9, s8
	s_mul_i32 s8, s38, s15
	v_add_co_u32 v15, vcc_lo, v11, 16
	s_lshl_b64 s[8:9], s[8:9], 4
	v_add_co_ci_u32_e32 v16, vcc_lo, 0, v12, vcc_lo
	s_add_u32 s8, s8, s26
	v_add_co_u32 v17, vcc_lo, 0x100, v13
	s_addc_u32 s9, s9, s27
	v_add_co_ci_u32_e32 v2, vcc_lo, 0, v14, vcc_lo
	s_add_u32 s8, s28, s8
	s_addc_u32 s15, s29, s9
	s_lshl_b64 s[26:27], s[36:37], 4
	s_lshl_b32 s9, s33, 5
	s_add_u32 s4, s6, s4
	s_addc_u32 s5, s7, s5
	v_mul_lo_u32 v19, s24, v2
	v_mul_lo_u32 v20, s25, v17
	v_mad_u64_u32 v[2:3], null, s24, v17, s[4:5]
	v_add_co_u32 v21, s4, s8, v48
	v_add_co_u32 v17, vcc_lo, v11, -16
	v_add_co_ci_u32_e64 v22, null, s15, 0, s4
	v_add_co_ci_u32_e32 v18, vcc_lo, -1, v12, vcc_lo
	v_add3_u32 v3, v20, v3, v19
	v_add_co_u32 v19, vcc_lo, 0x100, v21
	s_delay_alu instid0(VALU_DEP_4) | instskip(SKIP_1) | instid1(VALU_DEP_4)
	v_add_co_ci_u32_e32 v20, vcc_lo, 0, v22, vcc_lo
	v_add_co_u32 v2, vcc_lo, v2, v4
	v_add_co_ci_u32_e32 v3, vcc_lo, 0, v3, vcc_lo
	v_lshl_add_u32 v21, s14, 5, v47
	s_delay_alu instid0(VALU_DEP_3) | instskip(SKIP_1) | instid1(VALU_DEP_4)
	v_add_co_u32 v57, vcc_lo, s20, v2
	v_mov_b32_e32 v2, 0x3ff00000
	v_add_co_ci_u32_e32 v58, vcc_lo, s21, v3, vcc_lo
	s_branch .LBB118_4
.LBB118_3:                              ;   in Loop: Header=BB118_4 Depth=1
	s_or_b32 exec_lo, exec_lo, s4
	v_add_nc_u32_e32 v21, s9, v21
	s_add_i32 s14, s33, s14
	s_delay_alu instid0(SALU_CYCLE_1)
	s_cmp_le_i32 s14, s11
	s_cbranch_scc0 .LBB118_63
.LBB118_4:                              ; =>This Loop Header: Depth=1
                                        ;     Child Loop BB118_7 Depth 2
	v_mov_b32_e32 v39, 0
	v_lshl_add_u32 v59, s14, 5, v47
	v_mov_b32_e32 v40, 0
	s_delay_alu instid0(VALU_DEP_3)
	v_mov_b32_e32 v29, v39
	v_mov_b32_e32 v31, v39
	;; [unrolled: 1-line block ×3, first 2 shown]
	v_ashrrev_i32_e32 v60, 31, v59
	v_mov_b32_e32 v36, v40
	v_dual_mov_b32 v42, v40 :: v_dual_mov_b32 v41, v39
	v_mov_b32_e32 v30, v40
	v_dual_mov_b32 v32, v40 :: v_dual_mov_b32 v37, v39
	v_dual_mov_b32 v38, v40 :: v_dual_mov_b32 v33, v39
	v_dual_mov_b32 v34, v40 :: v_dual_mov_b32 v27, v39
	v_mov_b32_e32 v28, v40
	s_and_not1_b32 vcc_lo, exec_lo, s41
	s_mov_b64 s[20:21], 0
	s_cbranch_vccnz .LBB118_55
; %bb.5:                                ;   in Loop: Header=BB118_4 Depth=1
	v_ashrrev_i32_e32 v22, 31, v21
	v_mad_u64_u32 v[23:24], null, s26, v21, v[19:20]
	v_mul_lo_u32 v29, s27, v21
	v_mov_b32_e32 v27, 0
	s_delay_alu instid0(VALU_DEP_4) | instskip(SKIP_3) | instid1(VALU_DEP_3)
	v_lshlrev_b64 v[3:4], 4, v[21:22]
	v_mul_lo_u32 v22, s26, v22
	v_mov_b32_e32 v28, 0
	s_mov_b64 s[24:25], 0
	v_add_co_u32 v30, vcc_lo, 0x100, v3
	s_delay_alu instid0(VALU_DEP_4) | instskip(SKIP_1) | instid1(VALU_DEP_3)
	v_add_co_ci_u32_e32 v25, vcc_lo, 0, v4, vcc_lo
	v_sub_co_u32 v3, vcc_lo, s10, v59
	v_mul_lo_u32 v32, s37, v30
	s_delay_alu instid0(VALU_DEP_3) | instskip(SKIP_4) | instid1(VALU_DEP_3)
	v_mul_lo_u32 v31, s36, v25
	v_mad_u64_u32 v[25:26], null, s36, v30, v[19:20]
	v_sub_co_ci_u32_e32 v4, vcc_lo, s43, v60, vcc_lo
	v_dual_mov_b32 v34, v28 :: v_dual_mov_b32 v33, v27
	v_dual_mov_b32 v38, v28 :: v_dual_mov_b32 v37, v27
	v_cmp_lt_i64_e32 vcc_lo, 0, v[3:4]
	v_cmp_lt_i64_e64 s4, 16, v[3:4]
	v_add3_u32 v24, v29, v24, v22
	v_add3_u32 v26, v32, v26, v31
	v_dual_mov_b32 v36, v28 :: v_dual_mov_b32 v35, v27
	v_dual_mov_b32 v32, v28 :: v_dual_mov_b32 v31, v27
	;; [unrolled: 1-line block ×5, first 2 shown]
	s_branch .LBB118_7
.LBB118_6:                              ;   in Loop: Header=BB118_7 Depth=2
	s_or_b32 exec_lo, exec_lo, s6
	s_waitcnt lgkmcnt(0)
	s_waitcnt_vscnt null, 0x0
	s_barrier
	buffer_gl0_inv
	ds_load_b128 v[43:46], v49
	ds_load_b128 v[61:64], v49 offset:16
	ds_load_b128 v[65:68], v49 offset:32
	;; [unrolled: 1-line block ×3, first 2 shown]
	ds_load_b128 v[73:76], v48
	s_add_u32 s24, s24, 32
	s_addc_u32 s25, s25, 0
	s_sub_i32 s5, s24, 32
	s_add_u32 s20, s20, 0x200
	s_addc_u32 s21, s21, 0
	s_cmp_ge_i32 s5, s40
	s_waitcnt lgkmcnt(0)
	v_mul_f64 v[3:4], v[45:46], v[75:76]
	v_mul_f64 v[77:78], v[43:44], v[75:76]
	s_delay_alu instid0(VALU_DEP_2) | instskip(NEXT) | instid1(VALU_DEP_2)
	v_fma_f64 v[3:4], v[43:44], v[73:74], -v[3:4]
	v_fma_f64 v[77:78], v[45:46], v[73:74], v[77:78]
	s_delay_alu instid0(VALU_DEP_2) | instskip(NEXT) | instid1(VALU_DEP_2)
	v_add_f64 v[3:4], v[39:40], v[3:4]
	v_add_f64 v[77:78], v[41:42], v[77:78]
	ds_load_b128 v[39:42], v48 offset:256
	s_waitcnt lgkmcnt(0)
	v_mul_f64 v[79:80], v[45:46], v[41:42]
	s_delay_alu instid0(VALU_DEP_1) | instskip(SKIP_1) | instid1(VALU_DEP_1)
	v_fma_f64 v[79:80], v[43:44], v[39:40], -v[79:80]
	v_mul_f64 v[43:44], v[43:44], v[41:42]
	v_fma_f64 v[43:44], v[45:46], v[39:40], v[43:44]
	s_delay_alu instid0(VALU_DEP_3) | instskip(NEXT) | instid1(VALU_DEP_2)
	v_add_f64 v[45:46], v[29:30], v[79:80]
	v_add_f64 v[43:44], v[31:32], v[43:44]
	ds_load_b128 v[29:32], v49 offset:8192
	s_waitcnt lgkmcnt(0)
	v_mul_f64 v[79:80], v[31:32], v[75:76]
	v_mul_f64 v[75:76], v[29:30], v[75:76]
	s_delay_alu instid0(VALU_DEP_2) | instskip(NEXT) | instid1(VALU_DEP_2)
	v_fma_f64 v[79:80], v[29:30], v[73:74], -v[79:80]
	v_fma_f64 v[73:74], v[31:32], v[73:74], v[75:76]
	s_delay_alu instid0(VALU_DEP_2) | instskip(SKIP_1) | instid1(VALU_DEP_3)
	v_add_f64 v[75:76], v[35:36], v[79:80]
	v_mul_f64 v[35:36], v[31:32], v[41:42]
	v_add_f64 v[73:74], v[37:38], v[73:74]
	s_delay_alu instid0(VALU_DEP_2) | instskip(SKIP_1) | instid1(VALU_DEP_1)
	v_fma_f64 v[35:36], v[29:30], v[39:40], -v[35:36]
	v_mul_f64 v[29:30], v[29:30], v[41:42]
	v_fma_f64 v[29:30], v[31:32], v[39:40], v[29:30]
	s_delay_alu instid0(VALU_DEP_3) | instskip(NEXT) | instid1(VALU_DEP_2)
	v_add_f64 v[39:40], v[33:34], v[35:36]
	v_add_f64 v[41:42], v[27:28], v[29:30]
	ds_load_b128 v[27:30], v48 offset:512
	s_waitcnt lgkmcnt(0)
	v_mul_f64 v[31:32], v[63:64], v[29:30]
	v_mul_f64 v[33:34], v[61:62], v[29:30]
	s_delay_alu instid0(VALU_DEP_2) | instskip(NEXT) | instid1(VALU_DEP_2)
	v_fma_f64 v[31:32], v[61:62], v[27:28], -v[31:32]
	v_fma_f64 v[33:34], v[63:64], v[27:28], v[33:34]
	s_delay_alu instid0(VALU_DEP_2) | instskip(NEXT) | instid1(VALU_DEP_2)
	v_add_f64 v[3:4], v[3:4], v[31:32]
	v_add_f64 v[77:78], v[77:78], v[33:34]
	ds_load_b128 v[31:34], v48 offset:768
	s_waitcnt lgkmcnt(0)
	v_mul_f64 v[35:36], v[63:64], v[33:34]
	v_mul_f64 v[37:38], v[61:62], v[33:34]
	s_delay_alu instid0(VALU_DEP_2) | instskip(NEXT) | instid1(VALU_DEP_2)
	v_fma_f64 v[35:36], v[61:62], v[31:32], -v[35:36]
	v_fma_f64 v[37:38], v[63:64], v[31:32], v[37:38]
	s_delay_alu instid0(VALU_DEP_2) | instskip(NEXT) | instid1(VALU_DEP_2)
	v_add_f64 v[45:46], v[45:46], v[35:36]
	v_add_f64 v[43:44], v[43:44], v[37:38]
	ds_load_b128 v[35:38], v49 offset:8208
	s_waitcnt lgkmcnt(0)
	v_mul_f64 v[61:62], v[37:38], v[29:30]
	v_mul_f64 v[29:30], v[35:36], v[29:30]
	s_delay_alu instid0(VALU_DEP_2) | instskip(NEXT) | instid1(VALU_DEP_2)
	v_fma_f64 v[61:62], v[35:36], v[27:28], -v[61:62]
	v_fma_f64 v[27:28], v[37:38], v[27:28], v[29:30]
	v_mul_f64 v[29:30], v[35:36], v[33:34]
	s_delay_alu instid0(VALU_DEP_3) | instskip(NEXT) | instid1(VALU_DEP_3)
	v_add_f64 v[61:62], v[75:76], v[61:62]
	v_add_f64 v[63:64], v[73:74], v[27:28]
	v_mul_f64 v[27:28], v[37:38], v[33:34]
	s_delay_alu instid0(VALU_DEP_4) | instskip(NEXT) | instid1(VALU_DEP_2)
	v_fma_f64 v[29:30], v[37:38], v[31:32], v[29:30]
	v_fma_f64 v[27:28], v[35:36], v[31:32], -v[27:28]
	s_delay_alu instid0(VALU_DEP_2) | instskip(NEXT) | instid1(VALU_DEP_2)
	v_add_f64 v[41:42], v[41:42], v[29:30]
	v_add_f64 v[39:40], v[39:40], v[27:28]
	ds_load_b128 v[27:30], v48 offset:1024
	s_waitcnt lgkmcnt(0)
	v_mul_f64 v[31:32], v[67:68], v[29:30]
	v_mul_f64 v[33:34], v[65:66], v[29:30]
	s_delay_alu instid0(VALU_DEP_2) | instskip(NEXT) | instid1(VALU_DEP_2)
	v_fma_f64 v[31:32], v[65:66], v[27:28], -v[31:32]
	v_fma_f64 v[33:34], v[67:68], v[27:28], v[33:34]
	s_delay_alu instid0(VALU_DEP_2) | instskip(NEXT) | instid1(VALU_DEP_2)
	v_add_f64 v[3:4], v[3:4], v[31:32]
	v_add_f64 v[73:74], v[77:78], v[33:34]
	ds_load_b128 v[31:34], v48 offset:1280
	s_waitcnt lgkmcnt(0)
	v_mul_f64 v[35:36], v[67:68], v[33:34]
	v_mul_f64 v[37:38], v[65:66], v[33:34]
	s_delay_alu instid0(VALU_DEP_2) | instskip(NEXT) | instid1(VALU_DEP_2)
	v_fma_f64 v[35:36], v[65:66], v[31:32], -v[35:36]
	v_fma_f64 v[37:38], v[67:68], v[31:32], v[37:38]
	s_delay_alu instid0(VALU_DEP_2) | instskip(NEXT) | instid1(VALU_DEP_2)
	v_add_f64 v[45:46], v[45:46], v[35:36]
	v_add_f64 v[43:44], v[43:44], v[37:38]
	ds_load_b128 v[35:38], v49 offset:8224
	s_waitcnt lgkmcnt(0)
	v_mul_f64 v[65:66], v[37:38], v[29:30]
	v_mul_f64 v[29:30], v[35:36], v[29:30]
	s_delay_alu instid0(VALU_DEP_2) | instskip(NEXT) | instid1(VALU_DEP_2)
	v_fma_f64 v[65:66], v[35:36], v[27:28], -v[65:66]
	v_fma_f64 v[27:28], v[37:38], v[27:28], v[29:30]
	v_mul_f64 v[29:30], v[35:36], v[33:34]
	s_delay_alu instid0(VALU_DEP_3) | instskip(NEXT) | instid1(VALU_DEP_3)
	v_add_f64 v[61:62], v[61:62], v[65:66]
	v_add_f64 v[63:64], v[63:64], v[27:28]
	v_mul_f64 v[27:28], v[37:38], v[33:34]
	s_delay_alu instid0(VALU_DEP_4) | instskip(NEXT) | instid1(VALU_DEP_2)
	v_fma_f64 v[29:30], v[37:38], v[31:32], v[29:30]
	v_fma_f64 v[27:28], v[35:36], v[31:32], -v[27:28]
	s_delay_alu instid0(VALU_DEP_2) | instskip(NEXT) | instid1(VALU_DEP_2)
	v_add_f64 v[41:42], v[41:42], v[29:30]
	v_add_f64 v[39:40], v[39:40], v[27:28]
	ds_load_b128 v[27:30], v48 offset:1536
	s_waitcnt lgkmcnt(0)
	v_mul_f64 v[31:32], v[71:72], v[29:30]
	v_mul_f64 v[33:34], v[69:70], v[29:30]
	s_delay_alu instid0(VALU_DEP_2) | instskip(NEXT) | instid1(VALU_DEP_2)
	v_fma_f64 v[31:32], v[69:70], v[27:28], -v[31:32]
	v_fma_f64 v[33:34], v[71:72], v[27:28], v[33:34]
	s_delay_alu instid0(VALU_DEP_2) | instskip(NEXT) | instid1(VALU_DEP_2)
	v_add_f64 v[3:4], v[3:4], v[31:32]
	v_add_f64 v[65:66], v[73:74], v[33:34]
	ds_load_b128 v[31:34], v48 offset:1792
	s_waitcnt lgkmcnt(0)
	v_mul_f64 v[35:36], v[71:72], v[33:34]
	v_mul_f64 v[37:38], v[69:70], v[33:34]
	s_delay_alu instid0(VALU_DEP_2) | instskip(NEXT) | instid1(VALU_DEP_2)
	v_fma_f64 v[35:36], v[69:70], v[31:32], -v[35:36]
	v_fma_f64 v[37:38], v[71:72], v[31:32], v[37:38]
	s_delay_alu instid0(VALU_DEP_2) | instskip(NEXT) | instid1(VALU_DEP_2)
	v_add_f64 v[45:46], v[45:46], v[35:36]
	v_add_f64 v[43:44], v[43:44], v[37:38]
	ds_load_b128 v[35:38], v49 offset:8240
	s_waitcnt lgkmcnt(0)
	v_mul_f64 v[67:68], v[37:38], v[29:30]
	v_mul_f64 v[29:30], v[35:36], v[29:30]
	s_delay_alu instid0(VALU_DEP_2) | instskip(NEXT) | instid1(VALU_DEP_2)
	v_fma_f64 v[67:68], v[35:36], v[27:28], -v[67:68]
	v_fma_f64 v[27:28], v[37:38], v[27:28], v[29:30]
	v_mul_f64 v[29:30], v[35:36], v[33:34]
	s_delay_alu instid0(VALU_DEP_3) | instskip(NEXT) | instid1(VALU_DEP_3)
	v_add_f64 v[61:62], v[61:62], v[67:68]
	v_add_f64 v[63:64], v[63:64], v[27:28]
	v_mul_f64 v[27:28], v[37:38], v[33:34]
	s_delay_alu instid0(VALU_DEP_4) | instskip(NEXT) | instid1(VALU_DEP_2)
	v_fma_f64 v[29:30], v[37:38], v[31:32], v[29:30]
	v_fma_f64 v[27:28], v[35:36], v[31:32], -v[27:28]
	s_delay_alu instid0(VALU_DEP_2) | instskip(NEXT) | instid1(VALU_DEP_2)
	v_add_f64 v[41:42], v[41:42], v[29:30]
	v_add_f64 v[39:40], v[39:40], v[27:28]
	ds_load_b128 v[27:30], v49 offset:64
	ds_load_b128 v[31:34], v48 offset:2048
	s_waitcnt lgkmcnt(0)
	v_mul_f64 v[35:36], v[29:30], v[33:34]
	v_mul_f64 v[37:38], v[27:28], v[33:34]
	s_delay_alu instid0(VALU_DEP_2) | instskip(NEXT) | instid1(VALU_DEP_2)
	v_fma_f64 v[35:36], v[27:28], v[31:32], -v[35:36]
	v_fma_f64 v[37:38], v[29:30], v[31:32], v[37:38]
	s_delay_alu instid0(VALU_DEP_2) | instskip(NEXT) | instid1(VALU_DEP_2)
	v_add_f64 v[3:4], v[3:4], v[35:36]
	v_add_f64 v[65:66], v[65:66], v[37:38]
	ds_load_b128 v[35:38], v48 offset:2304
	s_waitcnt lgkmcnt(0)
	v_mul_f64 v[67:68], v[29:30], v[37:38]
	s_delay_alu instid0(VALU_DEP_1) | instskip(SKIP_1) | instid1(VALU_DEP_2)
	v_fma_f64 v[67:68], v[27:28], v[35:36], -v[67:68]
	v_mul_f64 v[27:28], v[27:28], v[37:38]
	v_add_f64 v[45:46], v[45:46], v[67:68]
	s_delay_alu instid0(VALU_DEP_2) | instskip(NEXT) | instid1(VALU_DEP_1)
	v_fma_f64 v[27:28], v[29:30], v[35:36], v[27:28]
	v_add_f64 v[43:44], v[43:44], v[27:28]
	ds_load_b128 v[27:30], v49 offset:8256
	s_waitcnt lgkmcnt(0)
	v_mul_f64 v[67:68], v[29:30], v[33:34]
	v_mul_f64 v[33:34], v[27:28], v[33:34]
	s_delay_alu instid0(VALU_DEP_2) | instskip(NEXT) | instid1(VALU_DEP_2)
	v_fma_f64 v[67:68], v[27:28], v[31:32], -v[67:68]
	v_fma_f64 v[31:32], v[29:30], v[31:32], v[33:34]
	s_delay_alu instid0(VALU_DEP_2) | instskip(NEXT) | instid1(VALU_DEP_2)
	v_add_f64 v[61:62], v[61:62], v[67:68]
	v_add_f64 v[63:64], v[63:64], v[31:32]
	v_mul_f64 v[31:32], v[29:30], v[37:38]
	s_delay_alu instid0(VALU_DEP_1) | instskip(SKIP_1) | instid1(VALU_DEP_2)
	v_fma_f64 v[31:32], v[27:28], v[35:36], -v[31:32]
	v_mul_f64 v[27:28], v[27:28], v[37:38]
	v_add_f64 v[39:40], v[39:40], v[31:32]
	s_delay_alu instid0(VALU_DEP_2) | instskip(NEXT) | instid1(VALU_DEP_1)
	v_fma_f64 v[27:28], v[29:30], v[35:36], v[27:28]
	v_add_f64 v[41:42], v[41:42], v[27:28]
	ds_load_b128 v[27:30], v49 offset:80
	ds_load_b128 v[31:34], v48 offset:2560
	s_waitcnt lgkmcnt(0)
	v_mul_f64 v[35:36], v[29:30], v[33:34]
	v_mul_f64 v[37:38], v[27:28], v[33:34]
	s_delay_alu instid0(VALU_DEP_2) | instskip(NEXT) | instid1(VALU_DEP_2)
	v_fma_f64 v[35:36], v[27:28], v[31:32], -v[35:36]
	v_fma_f64 v[37:38], v[29:30], v[31:32], v[37:38]
	s_delay_alu instid0(VALU_DEP_2) | instskip(NEXT) | instid1(VALU_DEP_2)
	v_add_f64 v[3:4], v[3:4], v[35:36]
	v_add_f64 v[65:66], v[65:66], v[37:38]
	ds_load_b128 v[35:38], v48 offset:2816
	s_waitcnt lgkmcnt(0)
	v_mul_f64 v[67:68], v[29:30], v[37:38]
	s_delay_alu instid0(VALU_DEP_1) | instskip(SKIP_1) | instid1(VALU_DEP_2)
	v_fma_f64 v[67:68], v[27:28], v[35:36], -v[67:68]
	v_mul_f64 v[27:28], v[27:28], v[37:38]
	v_add_f64 v[45:46], v[45:46], v[67:68]
	s_delay_alu instid0(VALU_DEP_2) | instskip(NEXT) | instid1(VALU_DEP_1)
	v_fma_f64 v[27:28], v[29:30], v[35:36], v[27:28]
	v_add_f64 v[43:44], v[43:44], v[27:28]
	ds_load_b128 v[27:30], v49 offset:8272
	s_waitcnt lgkmcnt(0)
	v_mul_f64 v[67:68], v[29:30], v[33:34]
	v_mul_f64 v[33:34], v[27:28], v[33:34]
	s_delay_alu instid0(VALU_DEP_2) | instskip(NEXT) | instid1(VALU_DEP_2)
	v_fma_f64 v[67:68], v[27:28], v[31:32], -v[67:68]
	v_fma_f64 v[31:32], v[29:30], v[31:32], v[33:34]
	s_delay_alu instid0(VALU_DEP_2) | instskip(NEXT) | instid1(VALU_DEP_2)
	v_add_f64 v[61:62], v[61:62], v[67:68]
	v_add_f64 v[63:64], v[63:64], v[31:32]
	v_mul_f64 v[31:32], v[29:30], v[37:38]
	s_delay_alu instid0(VALU_DEP_1) | instskip(SKIP_1) | instid1(VALU_DEP_2)
	v_fma_f64 v[31:32], v[27:28], v[35:36], -v[31:32]
	v_mul_f64 v[27:28], v[27:28], v[37:38]
	v_add_f64 v[39:40], v[39:40], v[31:32]
	s_delay_alu instid0(VALU_DEP_2) | instskip(NEXT) | instid1(VALU_DEP_1)
	v_fma_f64 v[27:28], v[29:30], v[35:36], v[27:28]
	;; [unrolled: 39-line block ×27, first 2 shown]
	v_add_f64 v[77:78], v[41:42], v[27:28]
	ds_load_b128 v[27:30], v49 offset:496
	ds_load_b128 v[33:36], v48 offset:15872
	;; [unrolled: 1-line block ×4, first 2 shown]
	s_waitcnt lgkmcnt(0)
	s_barrier
	buffer_gl0_inv
	v_mul_f64 v[31:32], v[29:30], v[35:36]
	v_mul_f64 v[37:38], v[27:28], v[35:36]
	s_delay_alu instid0(VALU_DEP_2) | instskip(NEXT) | instid1(VALU_DEP_2)
	v_fma_f64 v[31:32], v[27:28], v[33:34], -v[31:32]
	v_fma_f64 v[37:38], v[29:30], v[33:34], v[37:38]
	s_delay_alu instid0(VALU_DEP_2) | instskip(SKIP_1) | instid1(VALU_DEP_3)
	v_add_f64 v[39:40], v[3:4], v[31:32]
	v_mul_f64 v[3:4], v[29:30], v[45:46]
	v_add_f64 v[41:42], v[65:66], v[37:38]
	s_delay_alu instid0(VALU_DEP_2) | instskip(SKIP_1) | instid1(VALU_DEP_1)
	v_fma_f64 v[3:4], v[27:28], v[43:44], -v[3:4]
	v_mul_f64 v[27:28], v[27:28], v[45:46]
	v_fma_f64 v[27:28], v[29:30], v[43:44], v[27:28]
	s_delay_alu instid0(VALU_DEP_3) | instskip(SKIP_1) | instid1(VALU_DEP_3)
	v_add_f64 v[29:30], v[67:68], v[3:4]
	v_mul_f64 v[3:4], v[63:64], v[35:36]
	v_add_f64 v[31:32], v[69:70], v[27:28]
	v_mul_f64 v[27:28], v[61:62], v[35:36]
	s_delay_alu instid0(VALU_DEP_3) | instskip(NEXT) | instid1(VALU_DEP_2)
	v_fma_f64 v[3:4], v[61:62], v[33:34], -v[3:4]
	v_fma_f64 v[27:28], v[63:64], v[33:34], v[27:28]
	s_delay_alu instid0(VALU_DEP_2) | instskip(SKIP_1) | instid1(VALU_DEP_3)
	v_add_f64 v[35:36], v[71:72], v[3:4]
	v_mul_f64 v[3:4], v[63:64], v[45:46]
	v_add_f64 v[37:38], v[73:74], v[27:28]
	v_mul_f64 v[27:28], v[61:62], v[45:46]
	s_delay_alu instid0(VALU_DEP_3) | instskip(NEXT) | instid1(VALU_DEP_2)
	v_fma_f64 v[3:4], v[61:62], v[43:44], -v[3:4]
	v_fma_f64 v[27:28], v[63:64], v[43:44], v[27:28]
	s_delay_alu instid0(VALU_DEP_2) | instskip(NEXT) | instid1(VALU_DEP_2)
	v_add_f64 v[33:34], v[75:76], v[3:4]
	v_add_f64 v[27:28], v[77:78], v[27:28]
	s_cbranch_scc1 .LBB118_55
.LBB118_7:                              ;   Parent Loop BB118_4 Depth=1
                                        ; =>  This Inner Loop Header: Depth=2
	v_add_co_u32 v45, s5, v47, s24
	s_delay_alu instid0(VALU_DEP_1) | instskip(SKIP_1) | instid1(VALU_DEP_2)
	v_add_co_ci_u32_e64 v46, null, 0, s25, s5
	v_cmp_eq_u64_e64 s7, s[24:25], v[11:12]
	v_cmp_le_i64_e64 s6, s[12:13], v[45:46]
	v_cmp_gt_i64_e64 s5, v[45:46], v[5:6]
	s_delay_alu instid0(VALU_DEP_3) | instskip(NEXT) | instid1(VALU_DEP_1)
	s_and_b32 s28, s42, s7
	s_or_b32 s7, s6, s5
	s_delay_alu instid0(SALU_CYCLE_1) | instskip(SKIP_1) | instid1(VALU_DEP_1)
	s_or_b32 s8, s7, s28
	v_add_co_u32 v43, s7, v54, s20
	v_add_co_ci_u32_e64 v44, s7, s21, v55, s7
	s_or_b32 s7, s0, s8
	s_delay_alu instid0(SALU_CYCLE_1) | instskip(NEXT) | instid1(SALU_CYCLE_1)
	s_xor_b32 s7, s7, -1
	s_and_saveexec_b32 s8, s7
	s_delay_alu instid0(SALU_CYCLE_1)
	s_xor_b32 s7, exec_lo, s8
	s_cbranch_execz .LBB118_9
; %bb.8:                                ;   in Loop: Header=BB118_7 Depth=2
	global_load_b128 v[61:64], v[43:44], off
	s_waitcnt vmcnt(0)
	v_xor_b32_e32 v64, 0x80000000, v64
	ds_store_b128 v50, v[61:64]
.LBB118_9:                              ;   in Loop: Header=BB118_7 Depth=2
	s_or_saveexec_b32 s7, s7
	s_xor_b32 s15, s28, -1
	s_xor_b32 exec_lo, exec_lo, s7
	s_cbranch_execz .LBB118_15
; %bb.10:                               ;   in Loop: Header=BB118_7 Depth=2
	s_and_saveexec_b32 s8, s15
	s_delay_alu instid0(SALU_CYCLE_1)
	s_xor_b32 s8, exec_lo, s8
	s_cbranch_execz .LBB118_12
; %bb.11:                               ;   in Loop: Header=BB118_7 Depth=2
	v_mov_b32_e32 v61, v1
	v_mov_b32_e32 v62, v1
	;; [unrolled: 1-line block ×4, first 2 shown]
	ds_store_b128 v50, v[61:64]
.LBB118_12:                             ;   in Loop: Header=BB118_7 Depth=2
	s_and_not1_saveexec_b32 s8, s8
	s_cbranch_execz .LBB118_14
; %bb.13:                               ;   in Loop: Header=BB118_7 Depth=2
	v_mov_b32_e32 v3, v1
	v_mov_b32_e32 v4, v1
	ds_store_b128 v50, v[1:4]
.LBB118_14:                             ;   in Loop: Header=BB118_7 Depth=2
	s_or_b32 exec_lo, exec_lo, s8
.LBB118_15:                             ;   in Loop: Header=BB118_7 Depth=2
	s_delay_alu instid0(SALU_CYCLE_1) | instskip(SKIP_2) | instid1(VALU_DEP_2)
	s_or_b32 exec_lo, exec_lo, s7
	v_cmp_eq_u64_e64 s7, s[24:25], v[15:16]
	v_cmp_lt_i64_e64 s8, v[9:10], v[45:46]
	s_and_b32 s7, s42, s7
	s_delay_alu instid0(VALU_DEP_1) | instskip(NEXT) | instid1(SALU_CYCLE_1)
	s_or_b32 s6, s6, s8
	s_or_b32 s6, s6, s7
	s_delay_alu instid0(SALU_CYCLE_1) | instskip(NEXT) | instid1(SALU_CYCLE_1)
	s_or_b32 s6, s1, s6
	s_xor_b32 s6, s6, -1
	s_delay_alu instid0(SALU_CYCLE_1) | instskip(NEXT) | instid1(SALU_CYCLE_1)
	s_and_saveexec_b32 s8, s6
	s_xor_b32 s8, exec_lo, s8
	s_cbranch_execz .LBB118_17
; %bb.16:                               ;   in Loop: Header=BB118_7 Depth=2
	v_add_co_u32 v3, s6, v57, s20
	s_delay_alu instid0(VALU_DEP_1)
	v_add_co_ci_u32_e64 v4, s6, s21, v58, s6
	global_load_b128 v[61:64], v[3:4], off
	s_waitcnt vmcnt(0)
	v_xor_b32_e32 v64, 0x80000000, v64
	ds_store_b128 v50, v[61:64] offset:256
.LBB118_17:                             ;   in Loop: Header=BB118_7 Depth=2
	s_and_not1_saveexec_b32 s6, s8
	s_cbranch_execz .LBB118_23
; %bb.18:                               ;   in Loop: Header=BB118_7 Depth=2
	s_xor_b32 s7, s7, -1
	s_delay_alu instid0(SALU_CYCLE_1) | instskip(NEXT) | instid1(SALU_CYCLE_1)
	s_and_saveexec_b32 s8, s7
	s_xor_b32 s7, exec_lo, s8
	s_cbranch_execz .LBB118_20
; %bb.19:                               ;   in Loop: Header=BB118_7 Depth=2
	v_mov_b32_e32 v61, v1
	v_mov_b32_e32 v62, v1
	v_mov_b32_e32 v63, v1
	v_mov_b32_e32 v64, v1
	ds_store_b128 v50, v[61:64] offset:256
.LBB118_20:                             ;   in Loop: Header=BB118_7 Depth=2
	s_and_not1_saveexec_b32 s7, s7
	s_cbranch_execz .LBB118_22
; %bb.21:                               ;   in Loop: Header=BB118_7 Depth=2
	v_mov_b32_e32 v3, v1
	v_mov_b32_e32 v4, v1
	ds_store_b128 v50, v[1:4] offset:256
.LBB118_22:                             ;   in Loop: Header=BB118_7 Depth=2
	s_or_b32 exec_lo, exec_lo, s7
.LBB118_23:                             ;   in Loop: Header=BB118_7 Depth=2
	s_delay_alu instid0(SALU_CYCLE_1) | instskip(SKIP_1) | instid1(VALU_DEP_1)
	s_or_b32 exec_lo, exec_lo, s6
	v_add_co_u32 v3, s6, v45, 16
	v_add_co_ci_u32_e64 v4, s6, 0, v46, s6
	v_cmp_eq_u64_e64 s7, s[24:25], v[17:18]
	s_delay_alu instid0(VALU_DEP_2) | instskip(SKIP_1) | instid1(VALU_DEP_3)
	v_cmp_le_i64_e64 s6, s[12:13], v[3:4]
	v_cmp_gt_i64_e64 s8, v[3:4], v[5:6]
	s_and_b32 s29, s42, s7
	s_delay_alu instid0(VALU_DEP_1) | instskip(NEXT) | instid1(SALU_CYCLE_1)
	s_or_b32 s7, s6, s8
	s_or_b32 s7, s7, s29
	s_delay_alu instid0(SALU_CYCLE_1) | instskip(NEXT) | instid1(SALU_CYCLE_1)
	s_or_b32 s7, s0, s7
	s_xor_b32 s7, s7, -1
	s_delay_alu instid0(SALU_CYCLE_1) | instskip(NEXT) | instid1(SALU_CYCLE_1)
	s_and_saveexec_b32 s8, s7
	s_xor_b32 s7, exec_lo, s8
	s_cbranch_execz .LBB118_25
; %bb.24:                               ;   in Loop: Header=BB118_7 Depth=2
	global_load_b128 v[43:46], v[43:44], off offset:256
	s_waitcnt vmcnt(0)
	v_xor_b32_e32 v46, 0x80000000, v46
	ds_store_b128 v50, v[43:46] offset:8192
.LBB118_25:                             ;   in Loop: Header=BB118_7 Depth=2
	s_and_not1_saveexec_b32 s7, s7
	s_cbranch_execz .LBB118_31
; %bb.26:                               ;   in Loop: Header=BB118_7 Depth=2
	s_xor_b32 s8, s29, -1
	s_delay_alu instid0(SALU_CYCLE_1) | instskip(NEXT) | instid1(SALU_CYCLE_1)
	s_and_saveexec_b32 s29, s8
	s_xor_b32 s8, exec_lo, s29
	s_cbranch_execz .LBB118_28
; %bb.27:                               ;   in Loop: Header=BB118_7 Depth=2
	v_mov_b32_e32 v43, v1
	v_mov_b32_e32 v44, v1
	;; [unrolled: 1-line block ×4, first 2 shown]
	ds_store_b128 v50, v[43:46] offset:8192
.LBB118_28:                             ;   in Loop: Header=BB118_7 Depth=2
	s_and_not1_saveexec_b32 s8, s8
	s_cbranch_execz .LBB118_30
; %bb.29:                               ;   in Loop: Header=BB118_7 Depth=2
	v_mov_b32_e32 v3, v1
	v_mov_b32_e32 v4, v1
	ds_store_b128 v50, v[1:4] offset:8192
.LBB118_30:                             ;   in Loop: Header=BB118_7 Depth=2
	s_or_b32 exec_lo, exec_lo, s8
.LBB118_31:                             ;   in Loop: Header=BB118_7 Depth=2
	s_delay_alu instid0(SALU_CYCLE_1) | instskip(SKIP_1) | instid1(SALU_CYCLE_1)
	s_or_b32 exec_lo, exec_lo, s7
	s_or_b32 s5, s6, s5
	s_or_b32 s5, s5, s28
	s_delay_alu instid0(SALU_CYCLE_1) | instskip(NEXT) | instid1(SALU_CYCLE_1)
	s_or_b32 s5, s1, s5
	s_xor_b32 s5, s5, -1
	s_delay_alu instid0(SALU_CYCLE_1) | instskip(NEXT) | instid1(SALU_CYCLE_1)
	s_and_saveexec_b32 s6, s5
	s_xor_b32 s6, exec_lo, s6
	s_cbranch_execz .LBB118_33
; %bb.32:                               ;   in Loop: Header=BB118_7 Depth=2
	v_add_co_u32 v3, s5, v57, s20
	s_delay_alu instid0(VALU_DEP_1)
	v_add_co_ci_u32_e64 v4, s5, s21, v58, s5
	global_load_b128 v[43:46], v[3:4], off offset:256
	s_waitcnt vmcnt(0)
	v_xor_b32_e32 v46, 0x80000000, v46
	ds_store_b128 v50, v[43:46] offset:8448
.LBB118_33:                             ;   in Loop: Header=BB118_7 Depth=2
	s_and_not1_saveexec_b32 s5, s6
	s_cbranch_execz .LBB118_39
; %bb.34:                               ;   in Loop: Header=BB118_7 Depth=2
	s_and_saveexec_b32 s6, s15
	s_delay_alu instid0(SALU_CYCLE_1)
	s_xor_b32 s6, exec_lo, s6
	s_cbranch_execz .LBB118_36
; %bb.35:                               ;   in Loop: Header=BB118_7 Depth=2
	v_mov_b32_e32 v43, v1
	v_mov_b32_e32 v44, v1
	;; [unrolled: 1-line block ×4, first 2 shown]
	ds_store_b128 v50, v[43:46] offset:8448
.LBB118_36:                             ;   in Loop: Header=BB118_7 Depth=2
	s_and_not1_saveexec_b32 s6, s6
	s_cbranch_execz .LBB118_38
; %bb.37:                               ;   in Loop: Header=BB118_7 Depth=2
	v_mov_b32_e32 v3, v1
	v_mov_b32_e32 v4, v1
	ds_store_b128 v50, v[1:4] offset:8448
.LBB118_38:                             ;   in Loop: Header=BB118_7 Depth=2
	s_or_b32 exec_lo, exec_lo, s6
.LBB118_39:                             ;   in Loop: Header=BB118_7 Depth=2
	s_delay_alu instid0(SALU_CYCLE_1) | instskip(SKIP_1) | instid1(VALU_DEP_1)
	s_or_b32 exec_lo, exec_lo, s5
	v_add_co_u32 v3, s5, v0, s24
	v_add_co_ci_u32_e64 v4, null, 0, s25, s5
	s_delay_alu instid0(VALU_DEP_1) | instskip(NEXT) | instid1(VALU_DEP_1)
	v_cmp_gt_i64_e64 s5, s[12:13], v[3:4]
	s_and_b32 s6, vcc_lo, s5
	s_delay_alu instid0(SALU_CYCLE_1) | instskip(NEXT) | instid1(SALU_CYCLE_1)
	s_xor_b32 s6, s6, -1
	s_and_saveexec_b32 s7, s6
	s_delay_alu instid0(SALU_CYCLE_1)
	s_xor_b32 s6, exec_lo, s7
	s_cbranch_execz .LBB118_41
; %bb.40:                               ;   in Loop: Header=BB118_7 Depth=2
	v_mov_b32_e32 v43, v1
	v_mov_b32_e32 v44, v1
	;; [unrolled: 1-line block ×4, first 2 shown]
	ds_store_b128 v51, v[43:46]
.LBB118_41:                             ;   in Loop: Header=BB118_7 Depth=2
	s_or_saveexec_b32 s7, s6
	v_add_co_u32 v43, s6, v23, s20
	s_delay_alu instid0(VALU_DEP_1)
	v_add_co_ci_u32_e64 v44, s6, s21, v24, s6
	s_xor_b32 exec_lo, exec_lo, s7
	s_cbranch_execz .LBB118_43
; %bb.42:                               ;   in Loop: Header=BB118_7 Depth=2
	global_load_b128 v[61:64], v[43:44], off offset:-256
	s_waitcnt vmcnt(0)
	ds_store_2addr_b64 v51, v[61:62], v[63:64] offset1:1
.LBB118_43:                             ;   in Loop: Header=BB118_7 Depth=2
	s_or_b32 exec_lo, exec_lo, s7
	v_cmp_gt_i64_e64 s6, s[22:23], v[3:4]
	s_delay_alu instid0(VALU_DEP_1) | instskip(NEXT) | instid1(SALU_CYCLE_1)
	s_and_b32 s7, vcc_lo, s6
	s_xor_b32 s7, s7, -1
	s_delay_alu instid0(SALU_CYCLE_1) | instskip(NEXT) | instid1(SALU_CYCLE_1)
	s_and_saveexec_b32 s8, s7
	s_xor_b32 s7, exec_lo, s8
	s_cbranch_execz .LBB118_45
; %bb.44:                               ;   in Loop: Header=BB118_7 Depth=2
	v_mov_b32_e32 v43, v1
	v_mov_b32_e32 v44, v1
	;; [unrolled: 1-line block ×4, first 2 shown]
	ds_store_b128 v52, v[43:46]
                                        ; implicit-def: $vgpr43_vgpr44
.LBB118_45:                             ;   in Loop: Header=BB118_7 Depth=2
	s_and_not1_saveexec_b32 s7, s7
	s_cbranch_execz .LBB118_47
; %bb.46:                               ;   in Loop: Header=BB118_7 Depth=2
	global_load_b128 v[43:46], v[43:44], off
	s_waitcnt vmcnt(0)
	ds_store_2addr_b64 v52, v[43:44], v[45:46] offset1:1
.LBB118_47:                             ;   in Loop: Header=BB118_7 Depth=2
	s_or_b32 exec_lo, exec_lo, s7
	s_and_b32 s5, s4, s5
	s_delay_alu instid0(SALU_CYCLE_1) | instskip(NEXT) | instid1(SALU_CYCLE_1)
	s_xor_b32 s5, s5, -1
	s_and_saveexec_b32 s7, s5
	s_delay_alu instid0(SALU_CYCLE_1)
	s_xor_b32 s5, exec_lo, s7
	s_cbranch_execz .LBB118_49
; %bb.48:                               ;   in Loop: Header=BB118_7 Depth=2
	v_mov_b32_e32 v43, v1
	v_mov_b32_e32 v44, v1
	;; [unrolled: 1-line block ×4, first 2 shown]
	ds_store_b128 v53, v[43:46]
.LBB118_49:                             ;   in Loop: Header=BB118_7 Depth=2
	s_and_not1_saveexec_b32 s7, s5
	s_cbranch_execz .LBB118_51
; %bb.50:                               ;   in Loop: Header=BB118_7 Depth=2
	v_add_co_u32 v3, s5, v25, s20
	s_delay_alu instid0(VALU_DEP_1)
	v_add_co_ci_u32_e64 v4, s5, s21, v26, s5
	global_load_b128 v[43:46], v[3:4], off offset:-256
	s_waitcnt vmcnt(0)
	ds_store_2addr_b64 v53, v[43:44], v[45:46] offset1:1
.LBB118_51:                             ;   in Loop: Header=BB118_7 Depth=2
	s_or_b32 exec_lo, exec_lo, s7
	s_and_b32 s5, s4, s6
	s_delay_alu instid0(SALU_CYCLE_1) | instskip(NEXT) | instid1(SALU_CYCLE_1)
	s_xor_b32 s5, s5, -1
	s_and_saveexec_b32 s6, s5
	s_delay_alu instid0(SALU_CYCLE_1)
	s_xor_b32 s5, exec_lo, s6
	s_cbranch_execz .LBB118_53
; %bb.52:                               ;   in Loop: Header=BB118_7 Depth=2
	v_mov_b32_e32 v43, v1
	v_mov_b32_e32 v44, v1
	;; [unrolled: 1-line block ×4, first 2 shown]
	ds_store_b128 v56, v[43:46]
.LBB118_53:                             ;   in Loop: Header=BB118_7 Depth=2
	s_and_not1_saveexec_b32 s6, s5
	s_cbranch_execz .LBB118_6
; %bb.54:                               ;   in Loop: Header=BB118_7 Depth=2
	v_add_co_u32 v3, s5, v25, s20
	s_delay_alu instid0(VALU_DEP_1)
	v_add_co_ci_u32_e64 v4, s5, s21, v26, s5
	global_load_b128 v[43:46], v[3:4], off
	s_waitcnt vmcnt(0)
	ds_store_2addr_b64 v56, v[43:44], v[45:46] offset1:1
	s_branch .LBB118_6
.LBB118_55:                             ;   in Loop: Header=BB118_4 Depth=1
	v_mul_lo_u32 v22, v60, s44
	v_mul_lo_u32 v23, v59, s45
	v_mad_u64_u32 v[3:4], null, v59, s44, 0
	v_cmp_gt_i32_e32 vcc_lo, s10, v59
	s_delay_alu instid0(VALU_DEP_2) | instskip(NEXT) | instid1(VALU_DEP_1)
	v_add3_u32 v4, v4, v23, v22
	v_lshlrev_b64 v[3:4], 4, v[3:4]
	s_delay_alu instid0(VALU_DEP_1) | instskip(NEXT) | instid1(VALU_DEP_1)
	v_add_co_u32 v3, s4, s34, v3
	v_add_co_ci_u32_e64 v4, s4, s35, v4, s4
	s_and_b32 s4, s2, vcc_lo
	s_delay_alu instid0(SALU_CYCLE_1)
	s_and_saveexec_b32 s5, s4
	s_cbranch_execz .LBB118_57
; %bb.56:                               ;   in Loop: Header=BB118_4 Depth=1
	v_add_co_u32 v43, s4, v3, v13
	s_delay_alu instid0(VALU_DEP_1)
	v_add_co_ci_u32_e64 v44, s4, v4, v14, s4
	v_mul_f64 v[45:46], s[18:19], v[41:42]
	v_mul_f64 v[41:42], s[16:17], v[41:42]
	global_load_b128 v[22:25], v[43:44], off
	v_fma_f64 v[45:46], s[16:17], v[39:40], -v[45:46]
	v_fma_f64 v[39:40], s[18:19], v[39:40], v[41:42]
	s_waitcnt vmcnt(0)
	s_delay_alu instid0(VALU_DEP_2) | instskip(NEXT) | instid1(VALU_DEP_2)
	v_add_f64 v[22:23], v[22:23], v[45:46]
	v_add_f64 v[24:25], v[24:25], v[39:40]
	global_store_b128 v[43:44], v[22:25], off
.LBB118_57:                             ;   in Loop: Header=BB118_4 Depth=1
	s_or_b32 exec_lo, exec_lo, s5
	s_and_b32 s5, s3, vcc_lo
	s_delay_alu instid0(SALU_CYCLE_1)
	s_and_saveexec_b32 s4, s5
	s_cbranch_execz .LBB118_59
; %bb.58:                               ;   in Loop: Header=BB118_4 Depth=1
	v_lshlrev_b64 v[22:23], 4, v[7:8]
	v_mul_f64 v[39:40], s[18:19], v[31:32]
	v_mul_f64 v[31:32], s[16:17], v[31:32]
	s_delay_alu instid0(VALU_DEP_3) | instskip(NEXT) | instid1(VALU_DEP_4)
	v_add_co_u32 v3, vcc_lo, v3, v22
	v_add_co_ci_u32_e32 v4, vcc_lo, v4, v23, vcc_lo
	global_load_b128 v[22:25], v[3:4], off
	v_fma_f64 v[39:40], s[16:17], v[29:30], -v[39:40]
	v_fma_f64 v[29:30], s[18:19], v[29:30], v[31:32]
	s_waitcnt vmcnt(0)
	s_delay_alu instid0(VALU_DEP_2) | instskip(NEXT) | instid1(VALU_DEP_2)
	v_add_f64 v[22:23], v[22:23], v[39:40]
	v_add_f64 v[24:25], v[24:25], v[29:30]
	global_store_b128 v[3:4], v[22:25], off
.LBB118_59:                             ;   in Loop: Header=BB118_4 Depth=1
	s_or_b32 exec_lo, exec_lo, s4
	v_add_nc_u32_e32 v22, 16, v59
	s_delay_alu instid0(VALU_DEP_1) | instskip(SKIP_3) | instid1(VALU_DEP_4)
	v_ashrrev_i32_e32 v23, 31, v22
	v_mul_lo_u32 v24, v22, s45
	v_mad_u64_u32 v[3:4], null, v22, s44, 0
	v_cmp_gt_i32_e32 vcc_lo, s10, v22
	v_mul_lo_u32 v23, v23, s44
	s_delay_alu instid0(VALU_DEP_1) | instskip(NEXT) | instid1(VALU_DEP_1)
	v_add3_u32 v4, v4, v24, v23
	v_lshlrev_b64 v[3:4], 4, v[3:4]
	s_delay_alu instid0(VALU_DEP_1) | instskip(NEXT) | instid1(VALU_DEP_1)
	v_add_co_u32 v3, s4, s34, v3
	v_add_co_ci_u32_e64 v4, s4, s35, v4, s4
	s_and_b32 s4, s2, vcc_lo
	s_delay_alu instid0(SALU_CYCLE_1)
	s_and_saveexec_b32 s5, s4
	s_cbranch_execz .LBB118_61
; %bb.60:                               ;   in Loop: Header=BB118_4 Depth=1
	v_add_co_u32 v29, s4, v3, v13
	s_delay_alu instid0(VALU_DEP_1)
	v_add_co_ci_u32_e64 v30, s4, v4, v14, s4
	v_mul_f64 v[31:32], s[18:19], v[37:38]
	v_mul_f64 v[37:38], s[16:17], v[37:38]
	global_load_b128 v[22:25], v[29:30], off
	v_fma_f64 v[31:32], s[16:17], v[35:36], -v[31:32]
	v_fma_f64 v[35:36], s[18:19], v[35:36], v[37:38]
	s_waitcnt vmcnt(0)
	s_delay_alu instid0(VALU_DEP_2) | instskip(NEXT) | instid1(VALU_DEP_2)
	v_add_f64 v[22:23], v[22:23], v[31:32]
	v_add_f64 v[24:25], v[24:25], v[35:36]
	global_store_b128 v[29:30], v[22:25], off
.LBB118_61:                             ;   in Loop: Header=BB118_4 Depth=1
	s_or_b32 exec_lo, exec_lo, s5
	s_and_b32 s5, s3, vcc_lo
	s_delay_alu instid0(SALU_CYCLE_1)
	s_and_saveexec_b32 s4, s5
	s_cbranch_execz .LBB118_3
; %bb.62:                               ;   in Loop: Header=BB118_4 Depth=1
	v_lshlrev_b64 v[22:23], 4, v[7:8]
	v_mul_f64 v[29:30], s[18:19], v[27:28]
	v_mul_f64 v[26:27], s[16:17], v[27:28]
	s_delay_alu instid0(VALU_DEP_3) | instskip(NEXT) | instid1(VALU_DEP_4)
	v_add_co_u32 v3, vcc_lo, v3, v22
	v_add_co_ci_u32_e32 v4, vcc_lo, v4, v23, vcc_lo
	global_load_b128 v[22:25], v[3:4], off
	v_fma_f64 v[28:29], s[16:17], v[33:34], -v[29:30]
	v_fma_f64 v[26:27], s[18:19], v[33:34], v[26:27]
	s_waitcnt vmcnt(0)
	s_delay_alu instid0(VALU_DEP_2) | instskip(NEXT) | instid1(VALU_DEP_2)
	v_add_f64 v[22:23], v[22:23], v[28:29]
	v_add_f64 v[24:25], v[24:25], v[26:27]
	global_store_b128 v[3:4], v[22:25], off
	s_branch .LBB118_3
.LBB118_63:
	s_nop 0
	s_sendmsg sendmsg(MSG_DEALLOC_VGPRS)
	s_endpgm
	.section	.rodata,"a",@progbits
	.p2align	6, 0x0
	.amdhsa_kernel _ZL30rocblas_trmm_outofplace_kernelI19rocblas_complex_numIdELi32ELi2ELb1ELb1ELb1ELb1EPKS1_S2_S1_Ev17rocblas_diagonal_iiT6_lPT7_lllS7_lllPT8_llli
		.amdhsa_group_segment_fixed_size 32768
		.amdhsa_private_segment_fixed_size 0
		.amdhsa_kernarg_size 392
		.amdhsa_user_sgpr_count 13
		.amdhsa_user_sgpr_dispatch_ptr 0
		.amdhsa_user_sgpr_queue_ptr 0
		.amdhsa_user_sgpr_kernarg_segment_ptr 1
		.amdhsa_user_sgpr_dispatch_id 0
		.amdhsa_user_sgpr_private_segment_size 0
		.amdhsa_wavefront_size32 1
		.amdhsa_uses_dynamic_stack 0
		.amdhsa_enable_private_segment 0
		.amdhsa_system_sgpr_workgroup_id_x 1
		.amdhsa_system_sgpr_workgroup_id_y 1
		.amdhsa_system_sgpr_workgroup_id_z 1
		.amdhsa_system_sgpr_workgroup_info 0
		.amdhsa_system_vgpr_workitem_id 1
		.amdhsa_next_free_vgpr 81
		.amdhsa_next_free_sgpr 48
		.amdhsa_reserve_vcc 1
		.amdhsa_float_round_mode_32 0
		.amdhsa_float_round_mode_16_64 0
		.amdhsa_float_denorm_mode_32 3
		.amdhsa_float_denorm_mode_16_64 3
		.amdhsa_dx10_clamp 1
		.amdhsa_ieee_mode 1
		.amdhsa_fp16_overflow 0
		.amdhsa_workgroup_processor_mode 1
		.amdhsa_memory_ordered 1
		.amdhsa_forward_progress 0
		.amdhsa_shared_vgpr_count 0
		.amdhsa_exception_fp_ieee_invalid_op 0
		.amdhsa_exception_fp_denorm_src 0
		.amdhsa_exception_fp_ieee_div_zero 0
		.amdhsa_exception_fp_ieee_overflow 0
		.amdhsa_exception_fp_ieee_underflow 0
		.amdhsa_exception_fp_ieee_inexact 0
		.amdhsa_exception_int_div_zero 0
	.end_amdhsa_kernel
	.section	.text._ZL30rocblas_trmm_outofplace_kernelI19rocblas_complex_numIdELi32ELi2ELb1ELb1ELb1ELb1EPKS1_S2_S1_Ev17rocblas_diagonal_iiT6_lPT7_lllS7_lllPT8_llli,"axG",@progbits,_ZL30rocblas_trmm_outofplace_kernelI19rocblas_complex_numIdELi32ELi2ELb1ELb1ELb1ELb1EPKS1_S2_S1_Ev17rocblas_diagonal_iiT6_lPT7_lllS7_lllPT8_llli,comdat
.Lfunc_end118:
	.size	_ZL30rocblas_trmm_outofplace_kernelI19rocblas_complex_numIdELi32ELi2ELb1ELb1ELb1ELb1EPKS1_S2_S1_Ev17rocblas_diagonal_iiT6_lPT7_lllS7_lllPT8_llli, .Lfunc_end118-_ZL30rocblas_trmm_outofplace_kernelI19rocblas_complex_numIdELi32ELi2ELb1ELb1ELb1ELb1EPKS1_S2_S1_Ev17rocblas_diagonal_iiT6_lPT7_lllS7_lllPT8_llli
                                        ; -- End function
	.section	.AMDGPU.csdata,"",@progbits
; Kernel info:
; codeLenInByte = 11532
; NumSgprs: 50
; NumVgprs: 81
; ScratchSize: 0
; MemoryBound: 0
; FloatMode: 240
; IeeeMode: 1
; LDSByteSize: 32768 bytes/workgroup (compile time only)
; SGPRBlocks: 6
; VGPRBlocks: 10
; NumSGPRsForWavesPerEU: 50
; NumVGPRsForWavesPerEU: 81
; Occupancy: 16
; WaveLimiterHint : 0
; COMPUTE_PGM_RSRC2:SCRATCH_EN: 0
; COMPUTE_PGM_RSRC2:USER_SGPR: 13
; COMPUTE_PGM_RSRC2:TRAP_HANDLER: 0
; COMPUTE_PGM_RSRC2:TGID_X_EN: 1
; COMPUTE_PGM_RSRC2:TGID_Y_EN: 1
; COMPUTE_PGM_RSRC2:TGID_Z_EN: 1
; COMPUTE_PGM_RSRC2:TIDIG_COMP_CNT: 1
	.section	.text._ZL30rocblas_trmm_outofplace_kernelI19rocblas_complex_numIdELi32ELi2ELb1ELb1ELb1ELb1ES1_KS1_S1_Ev17rocblas_diagonal_iiT6_lPT7_lllS6_lllPT8_llli,"axG",@progbits,_ZL30rocblas_trmm_outofplace_kernelI19rocblas_complex_numIdELi32ELi2ELb1ELb1ELb1ELb1ES1_KS1_S1_Ev17rocblas_diagonal_iiT6_lPT7_lllS6_lllPT8_llli,comdat
	.globl	_ZL30rocblas_trmm_outofplace_kernelI19rocblas_complex_numIdELi32ELi2ELb1ELb1ELb1ELb1ES1_KS1_S1_Ev17rocblas_diagonal_iiT6_lPT7_lllS6_lllPT8_llli ; -- Begin function _ZL30rocblas_trmm_outofplace_kernelI19rocblas_complex_numIdELi32ELi2ELb1ELb1ELb1ELb1ES1_KS1_S1_Ev17rocblas_diagonal_iiT6_lPT7_lllS6_lllPT8_llli
	.p2align	8
	.type	_ZL30rocblas_trmm_outofplace_kernelI19rocblas_complex_numIdELi32ELi2ELb1ELb1ELb1ELb1ES1_KS1_S1_Ev17rocblas_diagonal_iiT6_lPT7_lllS6_lllPT8_llli,@function
_ZL30rocblas_trmm_outofplace_kernelI19rocblas_complex_numIdELi32ELi2ELb1ELb1ELb1ELb1ES1_KS1_S1_Ev17rocblas_diagonal_iiT6_lPT7_lllS6_lllPT8_llli: ; @_ZL30rocblas_trmm_outofplace_kernelI19rocblas_complex_numIdELi32ELi2ELb1ELb1ELb1ELb1ES1_KS1_S1_Ev17rocblas_diagonal_iiT6_lPT7_lllS6_lllPT8_llli
; %bb.0:
	s_load_b128 s[44:47], s[0:1], 0x10
	s_waitcnt lgkmcnt(0)
	v_cmp_eq_f64_e64 s2, s[44:45], 0
	v_cmp_eq_f64_e64 s3, s[46:47], 0
	s_delay_alu instid0(VALU_DEP_1) | instskip(NEXT) | instid1(SALU_CYCLE_1)
	s_and_b32 s2, s2, s3
	s_and_b32 vcc_lo, exec_lo, s2
	s_cbranch_vccnz .LBB119_63
; %bb.1:
	s_load_b128 s[8:11], s[0:1], 0x0
	s_waitcnt lgkmcnt(0)
	s_add_i32 s2, s10, -1
	s_delay_alu instid0(SALU_CYCLE_1) | instskip(NEXT) | instid1(SALU_CYCLE_1)
	s_ashr_i32 s3, s2, 31
	s_lshr_b32 s3, s3, 27
	s_delay_alu instid0(SALU_CYCLE_1) | instskip(NEXT) | instid1(SALU_CYCLE_1)
	s_add_i32 s2, s2, s3
	s_ashr_i32 s11, s2, 5
	s_delay_alu instid0(SALU_CYCLE_1)
	s_cmp_gt_i32 s14, s11
	s_cbranch_scc1 .LBB119_63
; %bb.2:
	s_clause 0x2
	s_load_b512 s[16:31], s[0:1], 0x28
	s_load_b256 s[36:43], s[0:1], 0x68
	s_load_b32 s33, s[0:1], 0x94
	v_bfe_u32 v47, v0, 10, 10
	v_dual_mov_b32 v1, 0 :: v_dual_and_b32 v0, 0x3ff, v0
	s_mov_b32 s12, s9
	s_delay_alu instid0(VALU_DEP_2) | instskip(SKIP_1) | instid1(VALU_DEP_3)
	v_lshlrev_b32_e32 v2, 9, v47
	v_lshlrev_b32_e32 v4, 4, v47
	;; [unrolled: 1-line block ×3, first 2 shown]
	s_delay_alu instid0(VALU_DEP_3) | instskip(NEXT) | instid1(VALU_DEP_2)
	v_add_nc_u32_e32 v49, 0x4000, v2
	v_add_nc_u32_e32 v51, v48, v2
	s_delay_alu instid0(VALU_DEP_2)
	v_add_nc_u32_e32 v50, v49, v48
	s_waitcnt lgkmcnt(0)
	s_mul_i32 s1, s15, s23
	s_mul_hi_u32 s2, s15, s22
	s_mul_i32 s0, s15, s22
	s_add_i32 s1, s2, s1
	s_mul_i32 s2, s15, s43
	s_lshl_b64 s[4:5], s[0:1], 4
	s_mul_hi_u32 s1, s15, s42
	s_add_u32 s3, s16, s4
	s_addc_u32 s22, s17, s5
	s_lshl_b64 s[6:7], s[18:19], 4
	s_mul_i32 s0, s15, s42
	s_add_u32 s3, s3, s6
	s_addc_u32 s42, s22, s7
	s_add_i32 s1, s1, s2
	s_mul_hi_u32 s23, s30, s15
	s_lshl_b64 s[0:1], s[0:1], 4
	s_mul_i32 s22, s30, s15
	s_add_u32 s2, s36, s0
	s_addc_u32 s18, s37, s1
	s_lshl_b64 s[0:1], s[38:39], 4
	v_add_nc_u32_e32 v52, 0x100, v50
	s_add_u32 s34, s2, s0
	s_addc_u32 s35, s18, s1
	s_lshl_b32 s36, s13, 5
	s_cmp_gt_i32 s13, -1
	v_add_nc_u32_e32 v5, s36, v0
	s_mul_i32 s2, s31, s15
	s_cselect_b32 s31, -1, 0
	s_cmpk_eq_i32 s8, 0x84
	v_add_nc_u32_e32 v53, 0x2000, v50
	v_ashrrev_i32_e32 v6, 31, v5
	v_mul_lo_u32 v7, v5, s21
	v_mad_u64_u32 v[2:3], null, v5, s20, 0
	v_add_co_u32 v9, vcc_lo, v5, 16
	s_delay_alu instid0(VALU_DEP_4)
	v_mul_lo_u32 v8, v6, s20
	v_add_co_ci_u32_e32 v10, vcc_lo, 0, v6, vcc_lo
	s_cselect_b32 s15, -1, 0
	s_ashr_i32 s13, s9, 31
	s_ashr_i32 s30, s10, 31
	v_lshlrev_b64 v[13:14], 4, v[5:6]
	s_add_u32 s18, s9, -16
	s_delay_alu instid0(VALU_DEP_3)
	v_add3_u32 v3, v3, v7, v8
	v_add_nc_u32_e32 v7, 16, v5
	s_addc_u32 s19, s13, -1
	s_add_i32 s23, s23, s2
	v_cmp_le_i32_e64 s0, s9, v5
	v_lshlrev_b64 v[2:3], 4, v[2:3]
	v_cmp_gt_i32_e64 s1, s9, v5
	v_cmp_gt_i32_e64 s2, s9, v7
	s_lshl_b64 s[8:9], s[22:23], 4
	s_lshl_b64 s[22:23], s[26:27], 4
	v_add_nc_u32_e32 v54, 0x2100, v50
	v_add_co_u32 v2, vcc_lo, s3, v2
	v_add_co_ci_u32_e32 v3, vcc_lo, s42, v3, vcc_lo
	s_add_u32 s8, s8, s22
	s_delay_alu instid0(VALU_DEP_2) | instskip(NEXT) | instid1(VALU_DEP_2)
	v_add_co_u32 v55, vcc_lo, v2, v4
	v_add_co_ci_u32_e32 v56, vcc_lo, 0, v3, vcc_lo
	v_sub_co_u32 v11, vcc_lo, v5, v47
	v_subrev_co_ci_u32_e32 v12, vcc_lo, 0, v6, vcc_lo
	s_addc_u32 s9, s9, s23
	s_delay_alu instid0(VALU_DEP_2) | instskip(NEXT) | instid1(VALU_DEP_2)
	v_add_co_u32 v15, vcc_lo, v11, 16
	v_add_co_ci_u32_e32 v16, vcc_lo, 0, v12, vcc_lo
	v_add_co_u32 v17, vcc_lo, 0x100, v13
	v_add_co_ci_u32_e32 v2, vcc_lo, 0, v14, vcc_lo
	s_add_u32 s8, s24, s8
	s_addc_u32 s24, s25, s9
	s_lshl_b64 s[22:23], s[28:29], 4
	s_lshl_b32 s9, s33, 5
	s_add_u32 s4, s6, s4
	s_addc_u32 s5, s7, s5
	v_mul_lo_u32 v19, s20, v2
	v_mul_lo_u32 v20, s21, v17
	v_mad_u64_u32 v[2:3], null, s20, v17, s[4:5]
	v_add_co_u32 v21, s4, s8, v48
	v_add_co_u32 v17, vcc_lo, v11, -16
	v_add_co_ci_u32_e64 v22, null, s24, 0, s4
	v_add_co_ci_u32_e32 v18, vcc_lo, -1, v12, vcc_lo
	v_add3_u32 v3, v20, v3, v19
	v_add_co_u32 v19, vcc_lo, 0x100, v21
	s_delay_alu instid0(VALU_DEP_4) | instskip(SKIP_1) | instid1(VALU_DEP_4)
	v_add_co_ci_u32_e32 v20, vcc_lo, 0, v22, vcc_lo
	v_add_co_u32 v2, vcc_lo, v2, v4
	v_add_co_ci_u32_e32 v3, vcc_lo, 0, v3, vcc_lo
	v_cmp_le_i64_e64 s3, s[12:13], v[9:10]
	s_delay_alu instid0(VALU_DEP_3)
	v_add_co_u32 v57, vcc_lo, s16, v2
	v_mov_b32_e32 v2, 0x3ff00000
	v_ashrrev_i32_e32 v8, 31, v7
	v_lshl_add_u32 v21, s14, 5, v47
	v_add_co_ci_u32_e32 v58, vcc_lo, s17, v3, vcc_lo
	s_branch .LBB119_4
.LBB119_3:                              ;   in Loop: Header=BB119_4 Depth=1
	s_or_b32 exec_lo, exec_lo, s4
	v_add_nc_u32_e32 v21, s9, v21
	s_add_i32 s14, s33, s14
	s_delay_alu instid0(SALU_CYCLE_1)
	s_cmp_le_i32 s14, s11
	s_cbranch_scc0 .LBB119_63
.LBB119_4:                              ; =>This Loop Header: Depth=1
                                        ;     Child Loop BB119_7 Depth 2
	v_mov_b32_e32 v39, 0
	v_lshl_add_u32 v59, s14, 5, v47
	v_mov_b32_e32 v40, 0
	s_delay_alu instid0(VALU_DEP_3)
	v_mov_b32_e32 v29, v39
	v_mov_b32_e32 v31, v39
	;; [unrolled: 1-line block ×3, first 2 shown]
	v_ashrrev_i32_e32 v60, 31, v59
	v_mov_b32_e32 v36, v40
	v_dual_mov_b32 v42, v40 :: v_dual_mov_b32 v41, v39
	v_mov_b32_e32 v30, v40
	v_dual_mov_b32 v32, v40 :: v_dual_mov_b32 v37, v39
	v_dual_mov_b32 v38, v40 :: v_dual_mov_b32 v33, v39
	;; [unrolled: 1-line block ×3, first 2 shown]
	v_mov_b32_e32 v28, v40
	s_and_not1_b32 vcc_lo, exec_lo, s31
	s_mov_b64 s[16:17], 0
	s_cbranch_vccnz .LBB119_55
; %bb.5:                                ;   in Loop: Header=BB119_4 Depth=1
	v_ashrrev_i32_e32 v22, 31, v21
	v_mad_u64_u32 v[23:24], null, s22, v21, v[19:20]
	v_mul_lo_u32 v29, s23, v21
	v_mov_b32_e32 v27, 0
	s_delay_alu instid0(VALU_DEP_4) | instskip(SKIP_3) | instid1(VALU_DEP_3)
	v_lshlrev_b64 v[3:4], 4, v[21:22]
	v_mul_lo_u32 v22, s22, v22
	v_mov_b32_e32 v28, 0
	s_mov_b64 s[20:21], 0
	v_add_co_u32 v30, vcc_lo, 0x100, v3
	s_delay_alu instid0(VALU_DEP_4) | instskip(SKIP_1) | instid1(VALU_DEP_3)
	v_add_co_ci_u32_e32 v25, vcc_lo, 0, v4, vcc_lo
	v_sub_co_u32 v3, vcc_lo, s10, v59
	v_mul_lo_u32 v32, s29, v30
	s_delay_alu instid0(VALU_DEP_3) | instskip(SKIP_4) | instid1(VALU_DEP_3)
	v_mul_lo_u32 v31, s28, v25
	v_mad_u64_u32 v[25:26], null, s28, v30, v[19:20]
	v_sub_co_ci_u32_e32 v4, vcc_lo, s30, v60, vcc_lo
	v_dual_mov_b32 v34, v28 :: v_dual_mov_b32 v33, v27
	v_dual_mov_b32 v38, v28 :: v_dual_mov_b32 v37, v27
	v_cmp_lt_i64_e32 vcc_lo, 0, v[3:4]
	v_cmp_lt_i64_e64 s4, 16, v[3:4]
	v_add3_u32 v24, v29, v24, v22
	v_add3_u32 v26, v32, v26, v31
	v_dual_mov_b32 v36, v28 :: v_dual_mov_b32 v35, v27
	v_dual_mov_b32 v32, v28 :: v_dual_mov_b32 v31, v27
	v_dual_mov_b32 v30, v28 :: v_dual_mov_b32 v29, v27
	v_dual_mov_b32 v42, v28 :: v_dual_mov_b32 v41, v27
	v_dual_mov_b32 v40, v28 :: v_dual_mov_b32 v39, v27
	s_branch .LBB119_7
.LBB119_6:                              ;   in Loop: Header=BB119_7 Depth=2
	s_or_b32 exec_lo, exec_lo, s6
	s_waitcnt lgkmcnt(0)
	s_waitcnt_vscnt null, 0x0
	s_barrier
	buffer_gl0_inv
	ds_load_b128 v[43:46], v49
	ds_load_b128 v[61:64], v49 offset:16
	ds_load_b128 v[65:68], v49 offset:32
	;; [unrolled: 1-line block ×3, first 2 shown]
	ds_load_b128 v[73:76], v48
	s_add_u32 s20, s20, 32
	s_addc_u32 s21, s21, 0
	s_sub_i32 s5, s20, 32
	s_add_u32 s16, s16, 0x200
	s_addc_u32 s17, s17, 0
	s_cmp_ge_i32 s5, s36
	s_waitcnt lgkmcnt(0)
	v_mul_f64 v[3:4], v[45:46], v[75:76]
	v_mul_f64 v[77:78], v[43:44], v[75:76]
	s_delay_alu instid0(VALU_DEP_2) | instskip(NEXT) | instid1(VALU_DEP_2)
	v_fma_f64 v[3:4], v[43:44], v[73:74], -v[3:4]
	v_fma_f64 v[77:78], v[45:46], v[73:74], v[77:78]
	s_delay_alu instid0(VALU_DEP_2) | instskip(NEXT) | instid1(VALU_DEP_2)
	v_add_f64 v[3:4], v[39:40], v[3:4]
	v_add_f64 v[77:78], v[41:42], v[77:78]
	ds_load_b128 v[39:42], v48 offset:256
	s_waitcnt lgkmcnt(0)
	v_mul_f64 v[79:80], v[45:46], v[41:42]
	s_delay_alu instid0(VALU_DEP_1) | instskip(SKIP_1) | instid1(VALU_DEP_1)
	v_fma_f64 v[79:80], v[43:44], v[39:40], -v[79:80]
	v_mul_f64 v[43:44], v[43:44], v[41:42]
	v_fma_f64 v[43:44], v[45:46], v[39:40], v[43:44]
	s_delay_alu instid0(VALU_DEP_3) | instskip(NEXT) | instid1(VALU_DEP_2)
	v_add_f64 v[45:46], v[29:30], v[79:80]
	v_add_f64 v[43:44], v[31:32], v[43:44]
	ds_load_b128 v[29:32], v49 offset:8192
	s_waitcnt lgkmcnt(0)
	v_mul_f64 v[79:80], v[31:32], v[75:76]
	v_mul_f64 v[75:76], v[29:30], v[75:76]
	s_delay_alu instid0(VALU_DEP_2) | instskip(NEXT) | instid1(VALU_DEP_2)
	v_fma_f64 v[79:80], v[29:30], v[73:74], -v[79:80]
	v_fma_f64 v[73:74], v[31:32], v[73:74], v[75:76]
	s_delay_alu instid0(VALU_DEP_2) | instskip(SKIP_1) | instid1(VALU_DEP_3)
	v_add_f64 v[75:76], v[35:36], v[79:80]
	v_mul_f64 v[35:36], v[31:32], v[41:42]
	v_add_f64 v[73:74], v[37:38], v[73:74]
	s_delay_alu instid0(VALU_DEP_2) | instskip(SKIP_1) | instid1(VALU_DEP_1)
	v_fma_f64 v[35:36], v[29:30], v[39:40], -v[35:36]
	v_mul_f64 v[29:30], v[29:30], v[41:42]
	v_fma_f64 v[29:30], v[31:32], v[39:40], v[29:30]
	s_delay_alu instid0(VALU_DEP_3) | instskip(NEXT) | instid1(VALU_DEP_2)
	v_add_f64 v[39:40], v[33:34], v[35:36]
	v_add_f64 v[41:42], v[27:28], v[29:30]
	ds_load_b128 v[27:30], v48 offset:512
	s_waitcnt lgkmcnt(0)
	v_mul_f64 v[31:32], v[63:64], v[29:30]
	v_mul_f64 v[33:34], v[61:62], v[29:30]
	s_delay_alu instid0(VALU_DEP_2) | instskip(NEXT) | instid1(VALU_DEP_2)
	v_fma_f64 v[31:32], v[61:62], v[27:28], -v[31:32]
	v_fma_f64 v[33:34], v[63:64], v[27:28], v[33:34]
	s_delay_alu instid0(VALU_DEP_2) | instskip(NEXT) | instid1(VALU_DEP_2)
	v_add_f64 v[3:4], v[3:4], v[31:32]
	v_add_f64 v[77:78], v[77:78], v[33:34]
	ds_load_b128 v[31:34], v48 offset:768
	s_waitcnt lgkmcnt(0)
	v_mul_f64 v[35:36], v[63:64], v[33:34]
	v_mul_f64 v[37:38], v[61:62], v[33:34]
	s_delay_alu instid0(VALU_DEP_2) | instskip(NEXT) | instid1(VALU_DEP_2)
	v_fma_f64 v[35:36], v[61:62], v[31:32], -v[35:36]
	v_fma_f64 v[37:38], v[63:64], v[31:32], v[37:38]
	s_delay_alu instid0(VALU_DEP_2) | instskip(NEXT) | instid1(VALU_DEP_2)
	v_add_f64 v[45:46], v[45:46], v[35:36]
	v_add_f64 v[43:44], v[43:44], v[37:38]
	ds_load_b128 v[35:38], v49 offset:8208
	s_waitcnt lgkmcnt(0)
	v_mul_f64 v[61:62], v[37:38], v[29:30]
	v_mul_f64 v[29:30], v[35:36], v[29:30]
	s_delay_alu instid0(VALU_DEP_2) | instskip(NEXT) | instid1(VALU_DEP_2)
	v_fma_f64 v[61:62], v[35:36], v[27:28], -v[61:62]
	v_fma_f64 v[27:28], v[37:38], v[27:28], v[29:30]
	v_mul_f64 v[29:30], v[35:36], v[33:34]
	s_delay_alu instid0(VALU_DEP_3) | instskip(NEXT) | instid1(VALU_DEP_3)
	v_add_f64 v[61:62], v[75:76], v[61:62]
	v_add_f64 v[63:64], v[73:74], v[27:28]
	v_mul_f64 v[27:28], v[37:38], v[33:34]
	s_delay_alu instid0(VALU_DEP_4) | instskip(NEXT) | instid1(VALU_DEP_2)
	v_fma_f64 v[29:30], v[37:38], v[31:32], v[29:30]
	v_fma_f64 v[27:28], v[35:36], v[31:32], -v[27:28]
	s_delay_alu instid0(VALU_DEP_2) | instskip(NEXT) | instid1(VALU_DEP_2)
	v_add_f64 v[41:42], v[41:42], v[29:30]
	v_add_f64 v[39:40], v[39:40], v[27:28]
	ds_load_b128 v[27:30], v48 offset:1024
	s_waitcnt lgkmcnt(0)
	v_mul_f64 v[31:32], v[67:68], v[29:30]
	v_mul_f64 v[33:34], v[65:66], v[29:30]
	s_delay_alu instid0(VALU_DEP_2) | instskip(NEXT) | instid1(VALU_DEP_2)
	v_fma_f64 v[31:32], v[65:66], v[27:28], -v[31:32]
	v_fma_f64 v[33:34], v[67:68], v[27:28], v[33:34]
	s_delay_alu instid0(VALU_DEP_2) | instskip(NEXT) | instid1(VALU_DEP_2)
	v_add_f64 v[3:4], v[3:4], v[31:32]
	v_add_f64 v[73:74], v[77:78], v[33:34]
	ds_load_b128 v[31:34], v48 offset:1280
	s_waitcnt lgkmcnt(0)
	v_mul_f64 v[35:36], v[67:68], v[33:34]
	v_mul_f64 v[37:38], v[65:66], v[33:34]
	s_delay_alu instid0(VALU_DEP_2) | instskip(NEXT) | instid1(VALU_DEP_2)
	v_fma_f64 v[35:36], v[65:66], v[31:32], -v[35:36]
	v_fma_f64 v[37:38], v[67:68], v[31:32], v[37:38]
	s_delay_alu instid0(VALU_DEP_2) | instskip(NEXT) | instid1(VALU_DEP_2)
	v_add_f64 v[45:46], v[45:46], v[35:36]
	v_add_f64 v[43:44], v[43:44], v[37:38]
	ds_load_b128 v[35:38], v49 offset:8224
	s_waitcnt lgkmcnt(0)
	v_mul_f64 v[65:66], v[37:38], v[29:30]
	v_mul_f64 v[29:30], v[35:36], v[29:30]
	s_delay_alu instid0(VALU_DEP_2) | instskip(NEXT) | instid1(VALU_DEP_2)
	v_fma_f64 v[65:66], v[35:36], v[27:28], -v[65:66]
	v_fma_f64 v[27:28], v[37:38], v[27:28], v[29:30]
	v_mul_f64 v[29:30], v[35:36], v[33:34]
	s_delay_alu instid0(VALU_DEP_3) | instskip(NEXT) | instid1(VALU_DEP_3)
	v_add_f64 v[61:62], v[61:62], v[65:66]
	v_add_f64 v[63:64], v[63:64], v[27:28]
	v_mul_f64 v[27:28], v[37:38], v[33:34]
	s_delay_alu instid0(VALU_DEP_4) | instskip(NEXT) | instid1(VALU_DEP_2)
	v_fma_f64 v[29:30], v[37:38], v[31:32], v[29:30]
	v_fma_f64 v[27:28], v[35:36], v[31:32], -v[27:28]
	s_delay_alu instid0(VALU_DEP_2) | instskip(NEXT) | instid1(VALU_DEP_2)
	;; [unrolled: 38-line block ×3, first 2 shown]
	v_add_f64 v[41:42], v[41:42], v[29:30]
	v_add_f64 v[39:40], v[39:40], v[27:28]
	ds_load_b128 v[27:30], v49 offset:64
	ds_load_b128 v[31:34], v48 offset:2048
	s_waitcnt lgkmcnt(0)
	v_mul_f64 v[35:36], v[29:30], v[33:34]
	v_mul_f64 v[37:38], v[27:28], v[33:34]
	s_delay_alu instid0(VALU_DEP_2) | instskip(NEXT) | instid1(VALU_DEP_2)
	v_fma_f64 v[35:36], v[27:28], v[31:32], -v[35:36]
	v_fma_f64 v[37:38], v[29:30], v[31:32], v[37:38]
	s_delay_alu instid0(VALU_DEP_2) | instskip(NEXT) | instid1(VALU_DEP_2)
	v_add_f64 v[3:4], v[3:4], v[35:36]
	v_add_f64 v[65:66], v[65:66], v[37:38]
	ds_load_b128 v[35:38], v48 offset:2304
	s_waitcnt lgkmcnt(0)
	v_mul_f64 v[67:68], v[29:30], v[37:38]
	s_delay_alu instid0(VALU_DEP_1) | instskip(SKIP_1) | instid1(VALU_DEP_2)
	v_fma_f64 v[67:68], v[27:28], v[35:36], -v[67:68]
	v_mul_f64 v[27:28], v[27:28], v[37:38]
	v_add_f64 v[45:46], v[45:46], v[67:68]
	s_delay_alu instid0(VALU_DEP_2) | instskip(NEXT) | instid1(VALU_DEP_1)
	v_fma_f64 v[27:28], v[29:30], v[35:36], v[27:28]
	v_add_f64 v[43:44], v[43:44], v[27:28]
	ds_load_b128 v[27:30], v49 offset:8256
	s_waitcnt lgkmcnt(0)
	v_mul_f64 v[67:68], v[29:30], v[33:34]
	v_mul_f64 v[33:34], v[27:28], v[33:34]
	s_delay_alu instid0(VALU_DEP_2) | instskip(NEXT) | instid1(VALU_DEP_2)
	v_fma_f64 v[67:68], v[27:28], v[31:32], -v[67:68]
	v_fma_f64 v[31:32], v[29:30], v[31:32], v[33:34]
	s_delay_alu instid0(VALU_DEP_2) | instskip(NEXT) | instid1(VALU_DEP_2)
	v_add_f64 v[61:62], v[61:62], v[67:68]
	v_add_f64 v[63:64], v[63:64], v[31:32]
	v_mul_f64 v[31:32], v[29:30], v[37:38]
	s_delay_alu instid0(VALU_DEP_1) | instskip(SKIP_1) | instid1(VALU_DEP_2)
	v_fma_f64 v[31:32], v[27:28], v[35:36], -v[31:32]
	v_mul_f64 v[27:28], v[27:28], v[37:38]
	v_add_f64 v[39:40], v[39:40], v[31:32]
	s_delay_alu instid0(VALU_DEP_2) | instskip(NEXT) | instid1(VALU_DEP_1)
	v_fma_f64 v[27:28], v[29:30], v[35:36], v[27:28]
	v_add_f64 v[41:42], v[41:42], v[27:28]
	ds_load_b128 v[27:30], v49 offset:80
	ds_load_b128 v[31:34], v48 offset:2560
	s_waitcnt lgkmcnt(0)
	v_mul_f64 v[35:36], v[29:30], v[33:34]
	v_mul_f64 v[37:38], v[27:28], v[33:34]
	s_delay_alu instid0(VALU_DEP_2) | instskip(NEXT) | instid1(VALU_DEP_2)
	v_fma_f64 v[35:36], v[27:28], v[31:32], -v[35:36]
	v_fma_f64 v[37:38], v[29:30], v[31:32], v[37:38]
	s_delay_alu instid0(VALU_DEP_2) | instskip(NEXT) | instid1(VALU_DEP_2)
	v_add_f64 v[3:4], v[3:4], v[35:36]
	v_add_f64 v[65:66], v[65:66], v[37:38]
	ds_load_b128 v[35:38], v48 offset:2816
	s_waitcnt lgkmcnt(0)
	v_mul_f64 v[67:68], v[29:30], v[37:38]
	s_delay_alu instid0(VALU_DEP_1) | instskip(SKIP_1) | instid1(VALU_DEP_2)
	v_fma_f64 v[67:68], v[27:28], v[35:36], -v[67:68]
	v_mul_f64 v[27:28], v[27:28], v[37:38]
	v_add_f64 v[45:46], v[45:46], v[67:68]
	s_delay_alu instid0(VALU_DEP_2) | instskip(NEXT) | instid1(VALU_DEP_1)
	v_fma_f64 v[27:28], v[29:30], v[35:36], v[27:28]
	v_add_f64 v[43:44], v[43:44], v[27:28]
	ds_load_b128 v[27:30], v49 offset:8272
	s_waitcnt lgkmcnt(0)
	v_mul_f64 v[67:68], v[29:30], v[33:34]
	v_mul_f64 v[33:34], v[27:28], v[33:34]
	s_delay_alu instid0(VALU_DEP_2) | instskip(NEXT) | instid1(VALU_DEP_2)
	v_fma_f64 v[67:68], v[27:28], v[31:32], -v[67:68]
	v_fma_f64 v[31:32], v[29:30], v[31:32], v[33:34]
	s_delay_alu instid0(VALU_DEP_2) | instskip(NEXT) | instid1(VALU_DEP_2)
	v_add_f64 v[61:62], v[61:62], v[67:68]
	v_add_f64 v[63:64], v[63:64], v[31:32]
	v_mul_f64 v[31:32], v[29:30], v[37:38]
	s_delay_alu instid0(VALU_DEP_1) | instskip(SKIP_1) | instid1(VALU_DEP_2)
	v_fma_f64 v[31:32], v[27:28], v[35:36], -v[31:32]
	v_mul_f64 v[27:28], v[27:28], v[37:38]
	v_add_f64 v[39:40], v[39:40], v[31:32]
	s_delay_alu instid0(VALU_DEP_2) | instskip(NEXT) | instid1(VALU_DEP_1)
	v_fma_f64 v[27:28], v[29:30], v[35:36], v[27:28]
	;; [unrolled: 39-line block ×27, first 2 shown]
	v_add_f64 v[77:78], v[41:42], v[27:28]
	ds_load_b128 v[27:30], v49 offset:496
	ds_load_b128 v[33:36], v48 offset:15872
	;; [unrolled: 1-line block ×4, first 2 shown]
	s_waitcnt lgkmcnt(0)
	s_barrier
	buffer_gl0_inv
	v_mul_f64 v[31:32], v[29:30], v[35:36]
	v_mul_f64 v[37:38], v[27:28], v[35:36]
	s_delay_alu instid0(VALU_DEP_2) | instskip(NEXT) | instid1(VALU_DEP_2)
	v_fma_f64 v[31:32], v[27:28], v[33:34], -v[31:32]
	v_fma_f64 v[37:38], v[29:30], v[33:34], v[37:38]
	s_delay_alu instid0(VALU_DEP_2) | instskip(SKIP_1) | instid1(VALU_DEP_3)
	v_add_f64 v[39:40], v[3:4], v[31:32]
	v_mul_f64 v[3:4], v[29:30], v[45:46]
	v_add_f64 v[41:42], v[65:66], v[37:38]
	s_delay_alu instid0(VALU_DEP_2) | instskip(SKIP_1) | instid1(VALU_DEP_1)
	v_fma_f64 v[3:4], v[27:28], v[43:44], -v[3:4]
	v_mul_f64 v[27:28], v[27:28], v[45:46]
	v_fma_f64 v[27:28], v[29:30], v[43:44], v[27:28]
	s_delay_alu instid0(VALU_DEP_3) | instskip(SKIP_1) | instid1(VALU_DEP_3)
	v_add_f64 v[29:30], v[67:68], v[3:4]
	v_mul_f64 v[3:4], v[63:64], v[35:36]
	v_add_f64 v[31:32], v[69:70], v[27:28]
	v_mul_f64 v[27:28], v[61:62], v[35:36]
	s_delay_alu instid0(VALU_DEP_3) | instskip(NEXT) | instid1(VALU_DEP_2)
	v_fma_f64 v[3:4], v[61:62], v[33:34], -v[3:4]
	v_fma_f64 v[27:28], v[63:64], v[33:34], v[27:28]
	s_delay_alu instid0(VALU_DEP_2) | instskip(SKIP_1) | instid1(VALU_DEP_3)
	v_add_f64 v[35:36], v[71:72], v[3:4]
	v_mul_f64 v[3:4], v[63:64], v[45:46]
	v_add_f64 v[37:38], v[73:74], v[27:28]
	v_mul_f64 v[27:28], v[61:62], v[45:46]
	s_delay_alu instid0(VALU_DEP_3) | instskip(NEXT) | instid1(VALU_DEP_2)
	v_fma_f64 v[3:4], v[61:62], v[43:44], -v[3:4]
	v_fma_f64 v[27:28], v[63:64], v[43:44], v[27:28]
	s_delay_alu instid0(VALU_DEP_2) | instskip(NEXT) | instid1(VALU_DEP_2)
	v_add_f64 v[33:34], v[75:76], v[3:4]
	v_add_f64 v[27:28], v[77:78], v[27:28]
	s_cbranch_scc1 .LBB119_55
.LBB119_7:                              ;   Parent Loop BB119_4 Depth=1
                                        ; =>  This Inner Loop Header: Depth=2
	v_add_co_u32 v45, s5, v47, s20
	s_delay_alu instid0(VALU_DEP_1) | instskip(SKIP_1) | instid1(VALU_DEP_2)
	v_add_co_ci_u32_e64 v46, null, 0, s21, s5
	v_cmp_eq_u64_e64 s7, s[20:21], v[11:12]
	v_cmp_le_i64_e64 s6, s[12:13], v[45:46]
	v_cmp_gt_i64_e64 s5, v[45:46], v[5:6]
	s_delay_alu instid0(VALU_DEP_3) | instskip(NEXT) | instid1(VALU_DEP_1)
	s_and_b32 s25, s15, s7
	s_or_b32 s7, s6, s5
	s_delay_alu instid0(SALU_CYCLE_1) | instskip(SKIP_1) | instid1(VALU_DEP_1)
	s_or_b32 s8, s7, s25
	v_add_co_u32 v43, s7, v55, s16
	v_add_co_ci_u32_e64 v44, s7, s17, v56, s7
	s_or_b32 s7, s0, s8
	s_delay_alu instid0(SALU_CYCLE_1) | instskip(NEXT) | instid1(SALU_CYCLE_1)
	s_xor_b32 s7, s7, -1
	s_and_saveexec_b32 s8, s7
	s_delay_alu instid0(SALU_CYCLE_1)
	s_xor_b32 s7, exec_lo, s8
	s_cbranch_execz .LBB119_9
; %bb.8:                                ;   in Loop: Header=BB119_7 Depth=2
	global_load_b128 v[61:64], v[43:44], off
	s_waitcnt vmcnt(0)
	v_xor_b32_e32 v64, 0x80000000, v64
	ds_store_b128 v51, v[61:64]
.LBB119_9:                              ;   in Loop: Header=BB119_7 Depth=2
	s_or_saveexec_b32 s7, s7
	s_xor_b32 s24, s25, -1
	s_xor_b32 exec_lo, exec_lo, s7
	s_cbranch_execz .LBB119_15
; %bb.10:                               ;   in Loop: Header=BB119_7 Depth=2
	s_and_saveexec_b32 s8, s24
	s_delay_alu instid0(SALU_CYCLE_1)
	s_xor_b32 s8, exec_lo, s8
	s_cbranch_execz .LBB119_12
; %bb.11:                               ;   in Loop: Header=BB119_7 Depth=2
	v_mov_b32_e32 v61, v1
	v_mov_b32_e32 v62, v1
	;; [unrolled: 1-line block ×4, first 2 shown]
	ds_store_b128 v51, v[61:64]
.LBB119_12:                             ;   in Loop: Header=BB119_7 Depth=2
	s_and_not1_saveexec_b32 s8, s8
	s_cbranch_execz .LBB119_14
; %bb.13:                               ;   in Loop: Header=BB119_7 Depth=2
	v_mov_b32_e32 v3, v1
	v_mov_b32_e32 v4, v1
	ds_store_b128 v51, v[1:4]
.LBB119_14:                             ;   in Loop: Header=BB119_7 Depth=2
	s_or_b32 exec_lo, exec_lo, s8
.LBB119_15:                             ;   in Loop: Header=BB119_7 Depth=2
	s_delay_alu instid0(SALU_CYCLE_1) | instskip(SKIP_2) | instid1(VALU_DEP_2)
	s_or_b32 exec_lo, exec_lo, s7
	v_cmp_eq_u64_e64 s7, s[20:21], v[15:16]
	v_cmp_lt_i64_e64 s8, v[9:10], v[45:46]
	s_and_b32 s7, s15, s7
	s_delay_alu instid0(VALU_DEP_1) | instskip(NEXT) | instid1(SALU_CYCLE_1)
	s_or_b32 s6, s6, s8
	s_or_b32 s6, s6, s7
	s_delay_alu instid0(SALU_CYCLE_1) | instskip(NEXT) | instid1(SALU_CYCLE_1)
	s_or_b32 s6, s3, s6
	s_xor_b32 s6, s6, -1
	s_delay_alu instid0(SALU_CYCLE_1) | instskip(NEXT) | instid1(SALU_CYCLE_1)
	s_and_saveexec_b32 s8, s6
	s_xor_b32 s8, exec_lo, s8
	s_cbranch_execz .LBB119_17
; %bb.16:                               ;   in Loop: Header=BB119_7 Depth=2
	v_add_co_u32 v3, s6, v57, s16
	s_delay_alu instid0(VALU_DEP_1)
	v_add_co_ci_u32_e64 v4, s6, s17, v58, s6
	global_load_b128 v[61:64], v[3:4], off
	s_waitcnt vmcnt(0)
	v_xor_b32_e32 v64, 0x80000000, v64
	ds_store_b128 v51, v[61:64] offset:256
.LBB119_17:                             ;   in Loop: Header=BB119_7 Depth=2
	s_and_not1_saveexec_b32 s6, s8
	s_cbranch_execz .LBB119_23
; %bb.18:                               ;   in Loop: Header=BB119_7 Depth=2
	s_xor_b32 s7, s7, -1
	s_delay_alu instid0(SALU_CYCLE_1) | instskip(NEXT) | instid1(SALU_CYCLE_1)
	s_and_saveexec_b32 s8, s7
	s_xor_b32 s7, exec_lo, s8
	s_cbranch_execz .LBB119_20
; %bb.19:                               ;   in Loop: Header=BB119_7 Depth=2
	v_mov_b32_e32 v61, v1
	v_mov_b32_e32 v62, v1
	;; [unrolled: 1-line block ×4, first 2 shown]
	ds_store_b128 v51, v[61:64] offset:256
.LBB119_20:                             ;   in Loop: Header=BB119_7 Depth=2
	s_and_not1_saveexec_b32 s7, s7
	s_cbranch_execz .LBB119_22
; %bb.21:                               ;   in Loop: Header=BB119_7 Depth=2
	v_mov_b32_e32 v3, v1
	v_mov_b32_e32 v4, v1
	ds_store_b128 v51, v[1:4] offset:256
.LBB119_22:                             ;   in Loop: Header=BB119_7 Depth=2
	s_or_b32 exec_lo, exec_lo, s7
.LBB119_23:                             ;   in Loop: Header=BB119_7 Depth=2
	s_delay_alu instid0(SALU_CYCLE_1) | instskip(SKIP_1) | instid1(VALU_DEP_1)
	s_or_b32 exec_lo, exec_lo, s6
	v_add_co_u32 v3, s6, v45, 16
	v_add_co_ci_u32_e64 v4, s6, 0, v46, s6
	v_cmp_eq_u64_e64 s7, s[20:21], v[17:18]
	s_delay_alu instid0(VALU_DEP_2) | instskip(SKIP_1) | instid1(VALU_DEP_3)
	v_cmp_le_i64_e64 s6, s[12:13], v[3:4]
	v_cmp_gt_i64_e64 s8, v[3:4], v[5:6]
	s_and_b32 s26, s15, s7
	s_delay_alu instid0(VALU_DEP_1) | instskip(NEXT) | instid1(SALU_CYCLE_1)
	s_or_b32 s7, s6, s8
	s_or_b32 s7, s7, s26
	s_delay_alu instid0(SALU_CYCLE_1) | instskip(NEXT) | instid1(SALU_CYCLE_1)
	s_or_b32 s7, s0, s7
	s_xor_b32 s7, s7, -1
	s_delay_alu instid0(SALU_CYCLE_1) | instskip(NEXT) | instid1(SALU_CYCLE_1)
	s_and_saveexec_b32 s8, s7
	s_xor_b32 s7, exec_lo, s8
	s_cbranch_execz .LBB119_25
; %bb.24:                               ;   in Loop: Header=BB119_7 Depth=2
	global_load_b128 v[43:46], v[43:44], off offset:256
	s_waitcnt vmcnt(0)
	v_xor_b32_e32 v46, 0x80000000, v46
	ds_store_b128 v51, v[43:46] offset:8192
.LBB119_25:                             ;   in Loop: Header=BB119_7 Depth=2
	s_and_not1_saveexec_b32 s7, s7
	s_cbranch_execz .LBB119_31
; %bb.26:                               ;   in Loop: Header=BB119_7 Depth=2
	s_xor_b32 s8, s26, -1
	s_delay_alu instid0(SALU_CYCLE_1) | instskip(NEXT) | instid1(SALU_CYCLE_1)
	s_and_saveexec_b32 s26, s8
	s_xor_b32 s8, exec_lo, s26
	s_cbranch_execz .LBB119_28
; %bb.27:                               ;   in Loop: Header=BB119_7 Depth=2
	v_mov_b32_e32 v43, v1
	v_mov_b32_e32 v44, v1
	;; [unrolled: 1-line block ×4, first 2 shown]
	ds_store_b128 v51, v[43:46] offset:8192
.LBB119_28:                             ;   in Loop: Header=BB119_7 Depth=2
	s_and_not1_saveexec_b32 s8, s8
	s_cbranch_execz .LBB119_30
; %bb.29:                               ;   in Loop: Header=BB119_7 Depth=2
	v_mov_b32_e32 v3, v1
	v_mov_b32_e32 v4, v1
	ds_store_b128 v51, v[1:4] offset:8192
.LBB119_30:                             ;   in Loop: Header=BB119_7 Depth=2
	s_or_b32 exec_lo, exec_lo, s8
.LBB119_31:                             ;   in Loop: Header=BB119_7 Depth=2
	s_delay_alu instid0(SALU_CYCLE_1) | instskip(SKIP_1) | instid1(SALU_CYCLE_1)
	s_or_b32 exec_lo, exec_lo, s7
	s_or_b32 s5, s6, s5
	s_or_b32 s5, s5, s25
	s_delay_alu instid0(SALU_CYCLE_1) | instskip(NEXT) | instid1(SALU_CYCLE_1)
	s_or_b32 s5, s3, s5
	s_xor_b32 s5, s5, -1
	s_delay_alu instid0(SALU_CYCLE_1) | instskip(NEXT) | instid1(SALU_CYCLE_1)
	s_and_saveexec_b32 s6, s5
	s_xor_b32 s6, exec_lo, s6
	s_cbranch_execz .LBB119_33
; %bb.32:                               ;   in Loop: Header=BB119_7 Depth=2
	v_add_co_u32 v3, s5, v57, s16
	s_delay_alu instid0(VALU_DEP_1)
	v_add_co_ci_u32_e64 v4, s5, s17, v58, s5
	global_load_b128 v[43:46], v[3:4], off offset:256
	s_waitcnt vmcnt(0)
	v_xor_b32_e32 v46, 0x80000000, v46
	ds_store_b128 v51, v[43:46] offset:8448
.LBB119_33:                             ;   in Loop: Header=BB119_7 Depth=2
	s_and_not1_saveexec_b32 s5, s6
	s_cbranch_execz .LBB119_39
; %bb.34:                               ;   in Loop: Header=BB119_7 Depth=2
	s_and_saveexec_b32 s6, s24
	s_delay_alu instid0(SALU_CYCLE_1)
	s_xor_b32 s6, exec_lo, s6
	s_cbranch_execz .LBB119_36
; %bb.35:                               ;   in Loop: Header=BB119_7 Depth=2
	v_mov_b32_e32 v43, v1
	v_mov_b32_e32 v44, v1
	;; [unrolled: 1-line block ×4, first 2 shown]
	ds_store_b128 v51, v[43:46] offset:8448
.LBB119_36:                             ;   in Loop: Header=BB119_7 Depth=2
	s_and_not1_saveexec_b32 s6, s6
	s_cbranch_execz .LBB119_38
; %bb.37:                               ;   in Loop: Header=BB119_7 Depth=2
	v_mov_b32_e32 v3, v1
	v_mov_b32_e32 v4, v1
	ds_store_b128 v51, v[1:4] offset:8448
.LBB119_38:                             ;   in Loop: Header=BB119_7 Depth=2
	s_or_b32 exec_lo, exec_lo, s6
.LBB119_39:                             ;   in Loop: Header=BB119_7 Depth=2
	s_delay_alu instid0(SALU_CYCLE_1) | instskip(SKIP_1) | instid1(VALU_DEP_1)
	s_or_b32 exec_lo, exec_lo, s5
	v_add_co_u32 v3, s5, v0, s20
	v_add_co_ci_u32_e64 v4, null, 0, s21, s5
	s_delay_alu instid0(VALU_DEP_1) | instskip(NEXT) | instid1(VALU_DEP_1)
	v_cmp_gt_i64_e64 s5, s[12:13], v[3:4]
	s_and_b32 s6, vcc_lo, s5
	s_delay_alu instid0(SALU_CYCLE_1) | instskip(NEXT) | instid1(SALU_CYCLE_1)
	s_xor_b32 s6, s6, -1
	s_and_saveexec_b32 s7, s6
	s_delay_alu instid0(SALU_CYCLE_1)
	s_xor_b32 s6, exec_lo, s7
	s_cbranch_execz .LBB119_41
; %bb.40:                               ;   in Loop: Header=BB119_7 Depth=2
	v_mov_b32_e32 v43, v1
	v_mov_b32_e32 v44, v1
	;; [unrolled: 1-line block ×4, first 2 shown]
	ds_store_b128 v50, v[43:46]
.LBB119_41:                             ;   in Loop: Header=BB119_7 Depth=2
	s_or_saveexec_b32 s7, s6
	v_add_co_u32 v43, s6, v23, s16
	s_delay_alu instid0(VALU_DEP_1)
	v_add_co_ci_u32_e64 v44, s6, s17, v24, s6
	s_xor_b32 exec_lo, exec_lo, s7
	s_cbranch_execz .LBB119_43
; %bb.42:                               ;   in Loop: Header=BB119_7 Depth=2
	global_load_b128 v[61:64], v[43:44], off offset:-256
	s_waitcnt vmcnt(0)
	ds_store_2addr_b64 v50, v[61:62], v[63:64] offset1:1
.LBB119_43:                             ;   in Loop: Header=BB119_7 Depth=2
	s_or_b32 exec_lo, exec_lo, s7
	v_cmp_gt_i64_e64 s6, s[18:19], v[3:4]
	s_delay_alu instid0(VALU_DEP_1) | instskip(NEXT) | instid1(SALU_CYCLE_1)
	s_and_b32 s7, vcc_lo, s6
	s_xor_b32 s7, s7, -1
	s_delay_alu instid0(SALU_CYCLE_1) | instskip(NEXT) | instid1(SALU_CYCLE_1)
	s_and_saveexec_b32 s8, s7
	s_xor_b32 s7, exec_lo, s8
	s_cbranch_execz .LBB119_45
; %bb.44:                               ;   in Loop: Header=BB119_7 Depth=2
	v_mov_b32_e32 v43, v1
	v_mov_b32_e32 v44, v1
	;; [unrolled: 1-line block ×4, first 2 shown]
	ds_store_b128 v52, v[43:46]
                                        ; implicit-def: $vgpr43_vgpr44
.LBB119_45:                             ;   in Loop: Header=BB119_7 Depth=2
	s_and_not1_saveexec_b32 s7, s7
	s_cbranch_execz .LBB119_47
; %bb.46:                               ;   in Loop: Header=BB119_7 Depth=2
	global_load_b128 v[43:46], v[43:44], off
	s_waitcnt vmcnt(0)
	ds_store_2addr_b64 v52, v[43:44], v[45:46] offset1:1
.LBB119_47:                             ;   in Loop: Header=BB119_7 Depth=2
	s_or_b32 exec_lo, exec_lo, s7
	s_and_b32 s5, s4, s5
	s_delay_alu instid0(SALU_CYCLE_1) | instskip(NEXT) | instid1(SALU_CYCLE_1)
	s_xor_b32 s5, s5, -1
	s_and_saveexec_b32 s7, s5
	s_delay_alu instid0(SALU_CYCLE_1)
	s_xor_b32 s5, exec_lo, s7
	s_cbranch_execz .LBB119_49
; %bb.48:                               ;   in Loop: Header=BB119_7 Depth=2
	v_mov_b32_e32 v43, v1
	v_mov_b32_e32 v44, v1
	;; [unrolled: 1-line block ×4, first 2 shown]
	ds_store_b128 v53, v[43:46]
.LBB119_49:                             ;   in Loop: Header=BB119_7 Depth=2
	s_and_not1_saveexec_b32 s7, s5
	s_cbranch_execz .LBB119_51
; %bb.50:                               ;   in Loop: Header=BB119_7 Depth=2
	v_add_co_u32 v3, s5, v25, s16
	s_delay_alu instid0(VALU_DEP_1)
	v_add_co_ci_u32_e64 v4, s5, s17, v26, s5
	global_load_b128 v[43:46], v[3:4], off offset:-256
	s_waitcnt vmcnt(0)
	ds_store_2addr_b64 v53, v[43:44], v[45:46] offset1:1
.LBB119_51:                             ;   in Loop: Header=BB119_7 Depth=2
	s_or_b32 exec_lo, exec_lo, s7
	s_and_b32 s5, s4, s6
	s_delay_alu instid0(SALU_CYCLE_1) | instskip(NEXT) | instid1(SALU_CYCLE_1)
	s_xor_b32 s5, s5, -1
	s_and_saveexec_b32 s6, s5
	s_delay_alu instid0(SALU_CYCLE_1)
	s_xor_b32 s5, exec_lo, s6
	s_cbranch_execz .LBB119_53
; %bb.52:                               ;   in Loop: Header=BB119_7 Depth=2
	v_mov_b32_e32 v43, v1
	v_mov_b32_e32 v44, v1
	;; [unrolled: 1-line block ×4, first 2 shown]
	ds_store_b128 v54, v[43:46]
.LBB119_53:                             ;   in Loop: Header=BB119_7 Depth=2
	s_and_not1_saveexec_b32 s6, s5
	s_cbranch_execz .LBB119_6
; %bb.54:                               ;   in Loop: Header=BB119_7 Depth=2
	v_add_co_u32 v3, s5, v25, s16
	s_delay_alu instid0(VALU_DEP_1)
	v_add_co_ci_u32_e64 v4, s5, s17, v26, s5
	global_load_b128 v[43:46], v[3:4], off
	s_waitcnt vmcnt(0)
	ds_store_2addr_b64 v54, v[43:44], v[45:46] offset1:1
	s_branch .LBB119_6
.LBB119_55:                             ;   in Loop: Header=BB119_4 Depth=1
	v_mul_lo_u32 v22, v60, s40
	v_mul_lo_u32 v23, v59, s41
	v_mad_u64_u32 v[3:4], null, v59, s40, 0
	v_cmp_gt_i32_e32 vcc_lo, s10, v59
	s_delay_alu instid0(VALU_DEP_2) | instskip(NEXT) | instid1(VALU_DEP_1)
	v_add3_u32 v4, v4, v23, v22
	v_lshlrev_b64 v[3:4], 4, v[3:4]
	s_delay_alu instid0(VALU_DEP_1) | instskip(NEXT) | instid1(VALU_DEP_1)
	v_add_co_u32 v3, s4, s34, v3
	v_add_co_ci_u32_e64 v4, s4, s35, v4, s4
	s_and_b32 s4, s1, vcc_lo
	s_delay_alu instid0(SALU_CYCLE_1)
	s_and_saveexec_b32 s5, s4
	s_cbranch_execz .LBB119_57
; %bb.56:                               ;   in Loop: Header=BB119_4 Depth=1
	v_add_co_u32 v43, s4, v3, v13
	s_delay_alu instid0(VALU_DEP_1)
	v_add_co_ci_u32_e64 v44, s4, v4, v14, s4
	v_mul_f64 v[45:46], s[46:47], v[41:42]
	v_mul_f64 v[41:42], s[44:45], v[41:42]
	global_load_b128 v[22:25], v[43:44], off
	v_fma_f64 v[45:46], s[44:45], v[39:40], -v[45:46]
	v_fma_f64 v[39:40], s[46:47], v[39:40], v[41:42]
	s_waitcnt vmcnt(0)
	s_delay_alu instid0(VALU_DEP_2) | instskip(NEXT) | instid1(VALU_DEP_2)
	v_add_f64 v[22:23], v[22:23], v[45:46]
	v_add_f64 v[24:25], v[24:25], v[39:40]
	global_store_b128 v[43:44], v[22:25], off
.LBB119_57:                             ;   in Loop: Header=BB119_4 Depth=1
	s_or_b32 exec_lo, exec_lo, s5
	s_and_b32 s5, s2, vcc_lo
	s_delay_alu instid0(SALU_CYCLE_1)
	s_and_saveexec_b32 s4, s5
	s_cbranch_execz .LBB119_59
; %bb.58:                               ;   in Loop: Header=BB119_4 Depth=1
	v_lshlrev_b64 v[22:23], 4, v[7:8]
	v_mul_f64 v[39:40], s[46:47], v[31:32]
	v_mul_f64 v[31:32], s[44:45], v[31:32]
	s_delay_alu instid0(VALU_DEP_3) | instskip(NEXT) | instid1(VALU_DEP_4)
	v_add_co_u32 v3, vcc_lo, v3, v22
	v_add_co_ci_u32_e32 v4, vcc_lo, v4, v23, vcc_lo
	global_load_b128 v[22:25], v[3:4], off
	v_fma_f64 v[39:40], s[44:45], v[29:30], -v[39:40]
	v_fma_f64 v[29:30], s[46:47], v[29:30], v[31:32]
	s_waitcnt vmcnt(0)
	s_delay_alu instid0(VALU_DEP_2) | instskip(NEXT) | instid1(VALU_DEP_2)
	v_add_f64 v[22:23], v[22:23], v[39:40]
	v_add_f64 v[24:25], v[24:25], v[29:30]
	global_store_b128 v[3:4], v[22:25], off
.LBB119_59:                             ;   in Loop: Header=BB119_4 Depth=1
	s_or_b32 exec_lo, exec_lo, s4
	v_add_nc_u32_e32 v22, 16, v59
	s_delay_alu instid0(VALU_DEP_1) | instskip(SKIP_3) | instid1(VALU_DEP_4)
	v_ashrrev_i32_e32 v23, 31, v22
	v_mul_lo_u32 v24, v22, s41
	v_mad_u64_u32 v[3:4], null, v22, s40, 0
	v_cmp_gt_i32_e32 vcc_lo, s10, v22
	v_mul_lo_u32 v23, v23, s40
	s_delay_alu instid0(VALU_DEP_1) | instskip(NEXT) | instid1(VALU_DEP_1)
	v_add3_u32 v4, v4, v24, v23
	v_lshlrev_b64 v[3:4], 4, v[3:4]
	s_delay_alu instid0(VALU_DEP_1) | instskip(NEXT) | instid1(VALU_DEP_1)
	v_add_co_u32 v3, s4, s34, v3
	v_add_co_ci_u32_e64 v4, s4, s35, v4, s4
	s_and_b32 s4, s1, vcc_lo
	s_delay_alu instid0(SALU_CYCLE_1)
	s_and_saveexec_b32 s5, s4
	s_cbranch_execz .LBB119_61
; %bb.60:                               ;   in Loop: Header=BB119_4 Depth=1
	v_add_co_u32 v29, s4, v3, v13
	s_delay_alu instid0(VALU_DEP_1)
	v_add_co_ci_u32_e64 v30, s4, v4, v14, s4
	v_mul_f64 v[31:32], s[46:47], v[37:38]
	v_mul_f64 v[37:38], s[44:45], v[37:38]
	global_load_b128 v[22:25], v[29:30], off
	v_fma_f64 v[31:32], s[44:45], v[35:36], -v[31:32]
	v_fma_f64 v[35:36], s[46:47], v[35:36], v[37:38]
	s_waitcnt vmcnt(0)
	s_delay_alu instid0(VALU_DEP_2) | instskip(NEXT) | instid1(VALU_DEP_2)
	v_add_f64 v[22:23], v[22:23], v[31:32]
	v_add_f64 v[24:25], v[24:25], v[35:36]
	global_store_b128 v[29:30], v[22:25], off
.LBB119_61:                             ;   in Loop: Header=BB119_4 Depth=1
	s_or_b32 exec_lo, exec_lo, s5
	s_and_b32 s5, s2, vcc_lo
	s_delay_alu instid0(SALU_CYCLE_1)
	s_and_saveexec_b32 s4, s5
	s_cbranch_execz .LBB119_3
; %bb.62:                               ;   in Loop: Header=BB119_4 Depth=1
	v_lshlrev_b64 v[22:23], 4, v[7:8]
	v_mul_f64 v[29:30], s[46:47], v[27:28]
	v_mul_f64 v[26:27], s[44:45], v[27:28]
	s_delay_alu instid0(VALU_DEP_3) | instskip(NEXT) | instid1(VALU_DEP_4)
	v_add_co_u32 v3, vcc_lo, v3, v22
	v_add_co_ci_u32_e32 v4, vcc_lo, v4, v23, vcc_lo
	global_load_b128 v[22:25], v[3:4], off
	v_fma_f64 v[28:29], s[44:45], v[33:34], -v[29:30]
	v_fma_f64 v[26:27], s[46:47], v[33:34], v[26:27]
	s_waitcnt vmcnt(0)
	s_delay_alu instid0(VALU_DEP_2) | instskip(NEXT) | instid1(VALU_DEP_2)
	v_add_f64 v[22:23], v[22:23], v[28:29]
	v_add_f64 v[24:25], v[24:25], v[26:27]
	global_store_b128 v[3:4], v[22:25], off
	s_branch .LBB119_3
.LBB119_63:
	s_nop 0
	s_sendmsg sendmsg(MSG_DEALLOC_VGPRS)
	s_endpgm
	.section	.rodata,"a",@progbits
	.p2align	6, 0x0
	.amdhsa_kernel _ZL30rocblas_trmm_outofplace_kernelI19rocblas_complex_numIdELi32ELi2ELb1ELb1ELb1ELb1ES1_KS1_S1_Ev17rocblas_diagonal_iiT6_lPT7_lllS6_lllPT8_llli
		.amdhsa_group_segment_fixed_size 32768
		.amdhsa_private_segment_fixed_size 0
		.amdhsa_kernarg_size 400
		.amdhsa_user_sgpr_count 13
		.amdhsa_user_sgpr_dispatch_ptr 0
		.amdhsa_user_sgpr_queue_ptr 0
		.amdhsa_user_sgpr_kernarg_segment_ptr 1
		.amdhsa_user_sgpr_dispatch_id 0
		.amdhsa_user_sgpr_private_segment_size 0
		.amdhsa_wavefront_size32 1
		.amdhsa_uses_dynamic_stack 0
		.amdhsa_enable_private_segment 0
		.amdhsa_system_sgpr_workgroup_id_x 1
		.amdhsa_system_sgpr_workgroup_id_y 1
		.amdhsa_system_sgpr_workgroup_id_z 1
		.amdhsa_system_sgpr_workgroup_info 0
		.amdhsa_system_vgpr_workitem_id 1
		.amdhsa_next_free_vgpr 81
		.amdhsa_next_free_sgpr 48
		.amdhsa_reserve_vcc 1
		.amdhsa_float_round_mode_32 0
		.amdhsa_float_round_mode_16_64 0
		.amdhsa_float_denorm_mode_32 3
		.amdhsa_float_denorm_mode_16_64 3
		.amdhsa_dx10_clamp 1
		.amdhsa_ieee_mode 1
		.amdhsa_fp16_overflow 0
		.amdhsa_workgroup_processor_mode 1
		.amdhsa_memory_ordered 1
		.amdhsa_forward_progress 0
		.amdhsa_shared_vgpr_count 0
		.amdhsa_exception_fp_ieee_invalid_op 0
		.amdhsa_exception_fp_denorm_src 0
		.amdhsa_exception_fp_ieee_div_zero 0
		.amdhsa_exception_fp_ieee_overflow 0
		.amdhsa_exception_fp_ieee_underflow 0
		.amdhsa_exception_fp_ieee_inexact 0
		.amdhsa_exception_int_div_zero 0
	.end_amdhsa_kernel
	.section	.text._ZL30rocblas_trmm_outofplace_kernelI19rocblas_complex_numIdELi32ELi2ELb1ELb1ELb1ELb1ES1_KS1_S1_Ev17rocblas_diagonal_iiT6_lPT7_lllS6_lllPT8_llli,"axG",@progbits,_ZL30rocblas_trmm_outofplace_kernelI19rocblas_complex_numIdELi32ELi2ELb1ELb1ELb1ELb1ES1_KS1_S1_Ev17rocblas_diagonal_iiT6_lPT7_lllS6_lllPT8_llli,comdat
.Lfunc_end119:
	.size	_ZL30rocblas_trmm_outofplace_kernelI19rocblas_complex_numIdELi32ELi2ELb1ELb1ELb1ELb1ES1_KS1_S1_Ev17rocblas_diagonal_iiT6_lPT7_lllS6_lllPT8_llli, .Lfunc_end119-_ZL30rocblas_trmm_outofplace_kernelI19rocblas_complex_numIdELi32ELi2ELb1ELb1ELb1ELb1ES1_KS1_S1_Ev17rocblas_diagonal_iiT6_lPT7_lllS6_lllPT8_llli
                                        ; -- End function
	.section	.AMDGPU.csdata,"",@progbits
; Kernel info:
; codeLenInByte = 11504
; NumSgprs: 50
; NumVgprs: 81
; ScratchSize: 0
; MemoryBound: 0
; FloatMode: 240
; IeeeMode: 1
; LDSByteSize: 32768 bytes/workgroup (compile time only)
; SGPRBlocks: 6
; VGPRBlocks: 10
; NumSGPRsForWavesPerEU: 50
; NumVGPRsForWavesPerEU: 81
; Occupancy: 16
; WaveLimiterHint : 0
; COMPUTE_PGM_RSRC2:SCRATCH_EN: 0
; COMPUTE_PGM_RSRC2:USER_SGPR: 13
; COMPUTE_PGM_RSRC2:TRAP_HANDLER: 0
; COMPUTE_PGM_RSRC2:TGID_X_EN: 1
; COMPUTE_PGM_RSRC2:TGID_Y_EN: 1
; COMPUTE_PGM_RSRC2:TGID_Z_EN: 1
; COMPUTE_PGM_RSRC2:TIDIG_COMP_CNT: 1
	.section	.text._ZL30rocblas_trmm_outofplace_kernelI19rocblas_complex_numIdELi32ELi2ELb0ELb0ELb0ELb0EPKS1_S2_S1_Ev17rocblas_diagonal_iiT6_lPT7_lllS7_lllPT8_llli,"axG",@progbits,_ZL30rocblas_trmm_outofplace_kernelI19rocblas_complex_numIdELi32ELi2ELb0ELb0ELb0ELb0EPKS1_S2_S1_Ev17rocblas_diagonal_iiT6_lPT7_lllS7_lllPT8_llli,comdat
	.globl	_ZL30rocblas_trmm_outofplace_kernelI19rocblas_complex_numIdELi32ELi2ELb0ELb0ELb0ELb0EPKS1_S2_S1_Ev17rocblas_diagonal_iiT6_lPT7_lllS7_lllPT8_llli ; -- Begin function _ZL30rocblas_trmm_outofplace_kernelI19rocblas_complex_numIdELi32ELi2ELb0ELb0ELb0ELb0EPKS1_S2_S1_Ev17rocblas_diagonal_iiT6_lPT7_lllS7_lllPT8_llli
	.p2align	8
	.type	_ZL30rocblas_trmm_outofplace_kernelI19rocblas_complex_numIdELi32ELi2ELb0ELb0ELb0ELb0EPKS1_S2_S1_Ev17rocblas_diagonal_iiT6_lPT7_lllS7_lllPT8_llli,@function
_ZL30rocblas_trmm_outofplace_kernelI19rocblas_complex_numIdELi32ELi2ELb0ELb0ELb0ELb0EPKS1_S2_S1_Ev17rocblas_diagonal_iiT6_lPT7_lllS7_lllPT8_llli: ; @_ZL30rocblas_trmm_outofplace_kernelI19rocblas_complex_numIdELi32ELi2ELb0ELb0ELb0ELb0EPKS1_S2_S1_Ev17rocblas_diagonal_iiT6_lPT7_lllS7_lllPT8_llli
; %bb.0:
	s_load_b512 s[16:31], s[0:1], 0x10
	s_waitcnt lgkmcnt(0)
	s_mul_i32 s3, s15, s19
	s_mul_hi_u32 s4, s15, s18
	s_mul_i32 s2, s15, s18
	s_add_i32 s3, s4, s3
	s_delay_alu instid0(SALU_CYCLE_1) | instskip(NEXT) | instid1(SALU_CYCLE_1)
	s_lshl_b64 s[2:3], s[2:3], 4
	s_add_u32 s2, s16, s2
	s_addc_u32 s3, s17, s3
	s_load_b128 s[16:19], s[2:3], 0x0
	s_waitcnt lgkmcnt(0)
	v_cmp_eq_f64_e64 s2, s[16:17], 0
	v_cmp_eq_f64_e64 s3, s[18:19], 0
	s_delay_alu instid0(VALU_DEP_1) | instskip(NEXT) | instid1(SALU_CYCLE_1)
	s_and_b32 s2, s2, s3
	s_and_b32 vcc_lo, exec_lo, s2
	s_cbranch_vccnz .LBB120_63
; %bb.1:
	s_load_b128 s[8:11], s[0:1], 0x0
	s_waitcnt lgkmcnt(0)
	s_add_i32 s2, s10, -1
	s_delay_alu instid0(SALU_CYCLE_1) | instskip(NEXT) | instid1(SALU_CYCLE_1)
	s_ashr_i32 s3, s2, 31
	s_lshr_b32 s3, s3, 27
	s_delay_alu instid0(SALU_CYCLE_1) | instskip(NEXT) | instid1(SALU_CYCLE_1)
	s_add_i32 s2, s2, s3
	s_ashr_i32 s33, s2, 5
	s_delay_alu instid0(SALU_CYCLE_1)
	s_cmp_gt_i32 s14, s33
	s_cbranch_scc1 .LBB120_63
; %bb.2:
	s_clause 0x1
	s_load_b256 s[36:43], s[0:1], 0x50
	s_load_b128 s[44:47], s[0:1], 0x70
	v_and_b32_e32 v10, 0x3ff, v0
	v_bfe_u32 v56, v0, 10, 10
	s_load_b32 s48, s[0:1], 0x8c
	s_delay_alu instid0(VALU_DEP_2) | instskip(SKIP_1) | instid1(VALU_DEP_3)
	v_lshl_add_u32 v0, s13, 5, v10
	v_lshlrev_b32_e32 v11, 4, v10
	v_lshlrev_b32_e32 v57, 9, v56
	s_delay_alu instid0(VALU_DEP_3) | instskip(SKIP_1) | instid1(VALU_DEP_2)
	v_ashrrev_i32_e32 v1, 31, v0
	v_add_nc_u32_e32 v8, 16, v0
	v_lshlrev_b64 v[4:5], 4, v[0:1]
	s_delay_alu instid0(VALU_DEP_2)
	v_ashrrev_i32_e32 v9, 31, v8
	s_waitcnt lgkmcnt(0)
	s_mul_i32 s1, s15, s39
	s_mul_hi_u32 s2, s15, s38
	s_mul_i32 s0, s15, s38
	s_add_i32 s1, s2, s1
	s_mul_i32 s3, s15, s47
	s_lshl_b64 s[0:1], s[0:1], 4
	s_mul_hi_u32 s4, s15, s46
	s_add_u32 s5, s28, s0
	s_addc_u32 s6, s29, s1
	s_lshl_b64 s[0:1], s[30:31], 4
	s_mul_i32 s2, s15, s46
	s_add_u32 s5, s5, s0
	s_addc_u32 s6, s6, s1
	s_add_i32 s3, s4, s3
	v_add_co_u32 v6, vcc_lo, s5, v4
	s_lshl_b64 s[0:1], s[2:3], 4
	v_add_co_ci_u32_e32 v7, vcc_lo, s6, v5, vcc_lo
	s_add_u32 s2, s40, s0
	s_addc_u32 s3, s41, s1
	s_lshl_b64 s[0:1], s[42:43], 4
	v_sub_co_u32 v2, vcc_lo, s9, v0
	s_add_u32 s38, s2, s0
	s_addc_u32 s39, s3, s1
	s_cmpk_eq_i32 s8, 0x84
	v_cmp_gt_i32_e64 s1, s9, v0
	v_mov_b32_e32 v0, 0
	v_or_b32_e32 v59, 0x4000, v11
	s_cselect_b32 s40, -1, 0
	s_ashr_i32 s11, s10, 31
	s_ashr_i32 s0, s9, 31
	s_lshl_b64 s[12:13], s[36:37], 9
	s_mul_i32 s4, s27, s15
	s_mul_hi_u32 s5, s26, s15
	s_add_u32 s28, s10, -16
	v_sub_co_ci_u32_e32 v3, vcc_lo, s0, v1, vcc_lo
	s_addc_u32 s29, s11, -1
	s_add_i32 s5, s5, s4
	s_mul_i32 s4, s26, s15
	v_dual_mov_b32 v1, 0x3ff00000 :: v_dual_add_nc_u32 v58, v57, v11
	v_add_nc_u32_e32 v61, v59, v57
	s_lshl_b32 s3, s14, 5
	s_lshl_b64 s[4:5], s[4:5], 4
	s_lshl_b64 s[6:7], s[22:23], 4
	s_lshl_b32 s41, s48, 5
	s_lshl_b64 s[22:23], s[36:37], 4
	v_add_nc_u32_e32 v10, s3, v10
	v_add_nc_u32_e32 v12, s3, v56
	s_add_u32 s3, s4, s6
	v_cmp_gt_i64_e32 vcc_lo, 1, v[2:3]
	v_cmp_gt_i64_e64 s0, 17, v[2:3]
	s_addc_u32 s4, s5, s7
	v_add_nc_u32_e32 v60, 0x100, v58
	v_add_nc_u32_e32 v62, 0x2000, v58
	;; [unrolled: 1-line block ×6, first 2 shown]
	v_cmp_gt_i32_e64 s2, s9, v8
	v_add_nc_u32_e32 v67, 0x4100, v11
	s_add_u32 s20, s20, s3
	s_addc_u32 s21, s21, s4
	s_add_u32 s26, s20, 0x100
	s_addc_u32 s27, s21, 0
	s_lshl_b64 s[30:31], s[24:25], 4
	s_branch .LBB120_4
.LBB120_3:                              ;   in Loop: Header=BB120_4 Depth=1
	s_or_b32 exec_lo, exec_lo, s4
	v_add_nc_u32_e32 v10, s41, v10
	v_add_nc_u32_e32 v12, s41, v12
	s_add_i32 s14, s48, s14
	s_delay_alu instid0(SALU_CYCLE_1)
	s_cmp_le_i32 s14, s33
	s_cbranch_scc0 .LBB120_63
.LBB120_4:                              ; =>This Loop Header: Depth=1
                                        ;     Child Loop BB120_7 Depth 2
	s_lshl_b32 s3, s14, 5
	v_mov_b32_e32 v44, 0
	v_dual_mov_b32 v45, 0 :: v_dual_add_nc_u32 v14, s3, v56
	v_ashrrev_i32_e32 v11, 31, v10
	v_ashrrev_i32_e32 v13, 31, v12
	s_delay_alu instid0(VALU_DEP_3)
	v_dual_mov_b32 v40, v44 :: v_dual_mov_b32 v41, v45
	v_dual_mov_b32 v47, v45 :: v_dual_mov_b32 v46, v44
	v_ashrrev_i32_e32 v15, 31, v14
	v_dual_mov_b32 v42, v44 :: v_dual_mov_b32 v43, v45
	v_dual_mov_b32 v36, v44 :: v_dual_mov_b32 v37, v45
	;; [unrolled: 1-line block ×5, first 2 shown]
	s_sub_i32 s15, s10, s3
	s_delay_alu instid0(SALU_CYCLE_1)
	s_cmp_lt_i32 s15, 1
	s_cbranch_scc1 .LBB120_55
; %bb.5:                                ;   in Loop: Header=BB120_4 Depth=1
	v_lshlrev_b64 v[2:3], 4, v[12:13]
	v_mad_u64_u32 v[16:17], null, s22, v12, 0x100
	v_mul_lo_u32 v20, s22, v13
	v_mul_lo_u32 v21, s23, v12
	v_sub_co_u32 v18, s3, v12, v10
	s_delay_alu instid0(VALU_DEP_1) | instskip(SKIP_1) | instid1(VALU_DEP_1)
	v_sub_co_ci_u32_e64 v19, s3, v13, v11, s3
	v_add_co_u32 v2, s3, 0x100, v2
	v_add_co_ci_u32_e64 v3, s3, 0, v3, s3
	v_add3_u32 v17, v21, v17, v20
	v_mad_u64_u32 v[20:21], null, s30, v12, s[26:27]
	v_mul_lo_u32 v30, s30, v13
	v_mul_lo_u32 v31, s31, v12
	;; [unrolled: 1-line block ×4, first 2 shown]
	v_mad_u64_u32 v[22:23], null, s24, v2, s[20:21]
	v_mul_lo_u32 v3, s36, v3
	v_mul_lo_u32 v34, s37, v2
	v_mad_u64_u32 v[24:25], null, s36, v2, 0x100
	v_add_co_u32 v28, s3, v14, 16
	s_delay_alu instid0(VALU_DEP_1)
	v_add_co_ci_u32_e64 v29, s3, 0, v15, s3
	v_mov_b32_e32 v48, 0
	v_add3_u32 v21, v31, v21, v30
	v_add_co_u32 v30, s5, v18, 16
	v_mov_b32_e32 v49, 0
	v_add_co_ci_u32_e64 v31, s5, 0, v19, s5
	v_add3_u32 v23, v33, v23, v32
	v_add_co_u32 v32, s5, v18, -16
	v_lshlrev_b64 v[26:27], 4, v[10:11]
	v_add3_u32 v25, v34, v25, v3
	v_cmp_le_i64_e64 s4, s[10:11], v[28:29]
	v_dual_mov_b32 v35, v7 :: v_dual_mov_b32 v34, v6
	v_cmp_le_i32_e64 s3, s10, v14
	v_add_co_ci_u32_e64 v33, s5, -1, v19, s5
	v_dual_mov_b32 v51, v49 :: v_dual_mov_b32 v50, v48
	v_dual_mov_b32 v38, v48 :: v_dual_mov_b32 v39, v49
	;; [unrolled: 1-line block ×7, first 2 shown]
	s_mov_b64 s[34:35], 0
	s_branch .LBB120_7
.LBB120_6:                              ;   in Loop: Header=BB120_7 Depth=2
	s_or_b32 exec_lo, exec_lo, s5
	s_waitcnt lgkmcnt(0)
	s_waitcnt_vscnt null, 0x0
	s_barrier
	buffer_gl0_inv
	ds_load_b128 v[52:55], v57
	ds_load_b128 v[68:71], v57 offset:16
	ds_load_b128 v[72:75], v57 offset:32
	;; [unrolled: 1-line block ×3, first 2 shown]
	ds_load_b128 v[80:83], v59
	v_add_co_u32 v34, s5, v34, s12
	s_delay_alu instid0(VALU_DEP_1) | instskip(SKIP_1) | instid1(VALU_DEP_1)
	v_add_co_ci_u32_e64 v35, s5, s13, v35, s5
	v_add_co_u32 v20, s5, 0x200, v20
	v_add_co_ci_u32_e64 v21, s5, 0, v21, s5
	v_add_co_u32 v22, s5, 0x200, v22
	s_delay_alu instid0(VALU_DEP_1)
	v_add_co_ci_u32_e64 v23, s5, 0, v23, s5
	s_add_u32 s34, s34, 32
	s_addc_u32 s35, s35, 0
	s_cmp_ge_i32 s34, s15
	s_waitcnt lgkmcnt(0)
	v_mul_f64 v[2:3], v[54:55], v[82:83]
	v_mul_f64 v[84:85], v[52:53], v[82:83]
	s_delay_alu instid0(VALU_DEP_2) | instskip(NEXT) | instid1(VALU_DEP_2)
	v_fma_f64 v[2:3], v[52:53], v[80:81], -v[2:3]
	v_fma_f64 v[84:85], v[54:55], v[80:81], v[84:85]
	s_delay_alu instid0(VALU_DEP_2) | instskip(NEXT) | instid1(VALU_DEP_2)
	v_add_f64 v[2:3], v[44:45], v[2:3]
	v_add_f64 v[84:85], v[46:47], v[84:85]
	ds_load_b128 v[44:47], v67
	s_waitcnt lgkmcnt(0)
	v_mul_f64 v[86:87], v[54:55], v[46:47]
	s_delay_alu instid0(VALU_DEP_1) | instskip(SKIP_1) | instid1(VALU_DEP_1)
	v_fma_f64 v[86:87], v[52:53], v[44:45], -v[86:87]
	v_mul_f64 v[52:53], v[52:53], v[46:47]
	v_fma_f64 v[52:53], v[54:55], v[44:45], v[52:53]
	s_delay_alu instid0(VALU_DEP_3) | instskip(NEXT) | instid1(VALU_DEP_2)
	v_add_f64 v[54:55], v[40:41], v[86:87]
	v_add_f64 v[52:53], v[42:43], v[52:53]
	ds_load_b128 v[40:43], v57 offset:8192
	s_waitcnt lgkmcnt(0)
	v_mul_f64 v[86:87], v[42:43], v[82:83]
	v_mul_f64 v[82:83], v[40:41], v[82:83]
	s_delay_alu instid0(VALU_DEP_2) | instskip(NEXT) | instid1(VALU_DEP_2)
	v_fma_f64 v[86:87], v[40:41], v[80:81], -v[86:87]
	v_fma_f64 v[80:81], v[42:43], v[80:81], v[82:83]
	s_delay_alu instid0(VALU_DEP_2) | instskip(NEXT) | instid1(VALU_DEP_2)
	v_add_f64 v[82:83], v[36:37], v[86:87]
	v_add_f64 v[80:81], v[38:39], v[80:81]
	v_mul_f64 v[36:37], v[42:43], v[46:47]
	v_mul_f64 v[38:39], v[40:41], v[46:47]
	s_delay_alu instid0(VALU_DEP_2) | instskip(NEXT) | instid1(VALU_DEP_2)
	v_fma_f64 v[36:37], v[40:41], v[44:45], -v[36:37]
	v_fma_f64 v[38:39], v[42:43], v[44:45], v[38:39]
	s_delay_alu instid0(VALU_DEP_2) | instskip(NEXT) | instid1(VALU_DEP_2)
	v_add_f64 v[50:51], v[50:51], v[36:37]
	v_add_f64 v[48:49], v[48:49], v[38:39]
	ds_load_b128 v[36:39], v59 offset:512
	s_waitcnt lgkmcnt(0)
	v_mul_f64 v[40:41], v[70:71], v[38:39]
	v_mul_f64 v[42:43], v[68:69], v[38:39]
	s_delay_alu instid0(VALU_DEP_2) | instskip(NEXT) | instid1(VALU_DEP_2)
	v_fma_f64 v[40:41], v[68:69], v[36:37], -v[40:41]
	v_fma_f64 v[42:43], v[70:71], v[36:37], v[42:43]
	s_delay_alu instid0(VALU_DEP_2) | instskip(NEXT) | instid1(VALU_DEP_2)
	v_add_f64 v[2:3], v[2:3], v[40:41]
	v_add_f64 v[84:85], v[84:85], v[42:43]
	ds_load_b128 v[40:43], v67 offset:512
	s_waitcnt lgkmcnt(0)
	;; [unrolled: 10-line block ×3, first 2 shown]
	v_mul_f64 v[68:69], v[46:47], v[38:39]
	v_mul_f64 v[38:39], v[44:45], v[38:39]
	s_delay_alu instid0(VALU_DEP_2) | instskip(NEXT) | instid1(VALU_DEP_2)
	v_fma_f64 v[68:69], v[44:45], v[36:37], -v[68:69]
	v_fma_f64 v[36:37], v[46:47], v[36:37], v[38:39]
	v_mul_f64 v[38:39], v[44:45], v[42:43]
	s_delay_alu instid0(VALU_DEP_3) | instskip(NEXT) | instid1(VALU_DEP_3)
	v_add_f64 v[68:69], v[82:83], v[68:69]
	v_add_f64 v[70:71], v[80:81], v[36:37]
	v_mul_f64 v[36:37], v[46:47], v[42:43]
	s_delay_alu instid0(VALU_DEP_4) | instskip(NEXT) | instid1(VALU_DEP_2)
	v_fma_f64 v[38:39], v[46:47], v[40:41], v[38:39]
	v_fma_f64 v[36:37], v[44:45], v[40:41], -v[36:37]
	s_delay_alu instid0(VALU_DEP_2) | instskip(NEXT) | instid1(VALU_DEP_2)
	v_add_f64 v[48:49], v[48:49], v[38:39]
	v_add_f64 v[50:51], v[50:51], v[36:37]
	ds_load_b128 v[36:39], v59 offset:1024
	s_waitcnt lgkmcnt(0)
	v_mul_f64 v[40:41], v[74:75], v[38:39]
	v_mul_f64 v[42:43], v[72:73], v[38:39]
	s_delay_alu instid0(VALU_DEP_2) | instskip(NEXT) | instid1(VALU_DEP_2)
	v_fma_f64 v[40:41], v[72:73], v[36:37], -v[40:41]
	v_fma_f64 v[42:43], v[74:75], v[36:37], v[42:43]
	s_delay_alu instid0(VALU_DEP_2) | instskip(NEXT) | instid1(VALU_DEP_2)
	v_add_f64 v[2:3], v[2:3], v[40:41]
	v_add_f64 v[80:81], v[84:85], v[42:43]
	ds_load_b128 v[40:43], v67 offset:1024
	s_waitcnt lgkmcnt(0)
	v_mul_f64 v[44:45], v[74:75], v[42:43]
	v_mul_f64 v[46:47], v[72:73], v[42:43]
	s_delay_alu instid0(VALU_DEP_2) | instskip(NEXT) | instid1(VALU_DEP_2)
	v_fma_f64 v[44:45], v[72:73], v[40:41], -v[44:45]
	v_fma_f64 v[46:47], v[74:75], v[40:41], v[46:47]
	;; [unrolled: 10-line block ×3, first 2 shown]
	v_mul_f64 v[38:39], v[44:45], v[42:43]
	s_delay_alu instid0(VALU_DEP_3) | instskip(NEXT) | instid1(VALU_DEP_3)
	v_add_f64 v[68:69], v[68:69], v[72:73]
	v_add_f64 v[70:71], v[70:71], v[36:37]
	v_mul_f64 v[36:37], v[46:47], v[42:43]
	s_delay_alu instid0(VALU_DEP_4) | instskip(NEXT) | instid1(VALU_DEP_2)
	v_fma_f64 v[38:39], v[46:47], v[40:41], v[38:39]
	v_fma_f64 v[36:37], v[44:45], v[40:41], -v[36:37]
	s_delay_alu instid0(VALU_DEP_2) | instskip(NEXT) | instid1(VALU_DEP_2)
	v_add_f64 v[48:49], v[48:49], v[38:39]
	v_add_f64 v[50:51], v[50:51], v[36:37]
	ds_load_b128 v[36:39], v59 offset:1536
	s_waitcnt lgkmcnt(0)
	v_mul_f64 v[40:41], v[78:79], v[38:39]
	v_mul_f64 v[42:43], v[76:77], v[38:39]
	s_delay_alu instid0(VALU_DEP_2) | instskip(NEXT) | instid1(VALU_DEP_2)
	v_fma_f64 v[40:41], v[76:77], v[36:37], -v[40:41]
	v_fma_f64 v[42:43], v[78:79], v[36:37], v[42:43]
	s_delay_alu instid0(VALU_DEP_2) | instskip(NEXT) | instid1(VALU_DEP_2)
	v_add_f64 v[2:3], v[2:3], v[40:41]
	v_add_f64 v[72:73], v[80:81], v[42:43]
	ds_load_b128 v[40:43], v67 offset:1536
	s_waitcnt lgkmcnt(0)
	v_mul_f64 v[44:45], v[78:79], v[42:43]
	v_mul_f64 v[46:47], v[76:77], v[42:43]
	s_delay_alu instid0(VALU_DEP_2) | instskip(NEXT) | instid1(VALU_DEP_2)
	v_fma_f64 v[44:45], v[76:77], v[40:41], -v[44:45]
	v_fma_f64 v[46:47], v[78:79], v[40:41], v[46:47]
	;; [unrolled: 10-line block ×3, first 2 shown]
	v_mul_f64 v[38:39], v[44:45], v[42:43]
	s_delay_alu instid0(VALU_DEP_3) | instskip(NEXT) | instid1(VALU_DEP_3)
	v_add_f64 v[68:69], v[68:69], v[74:75]
	v_add_f64 v[70:71], v[70:71], v[36:37]
	v_mul_f64 v[36:37], v[46:47], v[42:43]
	s_delay_alu instid0(VALU_DEP_4) | instskip(NEXT) | instid1(VALU_DEP_2)
	v_fma_f64 v[38:39], v[46:47], v[40:41], v[38:39]
	v_fma_f64 v[36:37], v[44:45], v[40:41], -v[36:37]
	s_delay_alu instid0(VALU_DEP_2) | instskip(NEXT) | instid1(VALU_DEP_2)
	v_add_f64 v[48:49], v[48:49], v[38:39]
	v_add_f64 v[50:51], v[50:51], v[36:37]
	ds_load_b128 v[36:39], v57 offset:64
	ds_load_b128 v[40:43], v59 offset:2048
	s_waitcnt lgkmcnt(0)
	v_mul_f64 v[44:45], v[38:39], v[42:43]
	v_mul_f64 v[46:47], v[36:37], v[42:43]
	s_delay_alu instid0(VALU_DEP_2) | instskip(NEXT) | instid1(VALU_DEP_2)
	v_fma_f64 v[44:45], v[36:37], v[40:41], -v[44:45]
	v_fma_f64 v[46:47], v[38:39], v[40:41], v[46:47]
	s_delay_alu instid0(VALU_DEP_2) | instskip(NEXT) | instid1(VALU_DEP_2)
	v_add_f64 v[2:3], v[2:3], v[44:45]
	v_add_f64 v[72:73], v[72:73], v[46:47]
	ds_load_b128 v[44:47], v67 offset:2048
	s_waitcnt lgkmcnt(0)
	v_mul_f64 v[74:75], v[38:39], v[46:47]
	s_delay_alu instid0(VALU_DEP_1) | instskip(SKIP_1) | instid1(VALU_DEP_2)
	v_fma_f64 v[74:75], v[36:37], v[44:45], -v[74:75]
	v_mul_f64 v[36:37], v[36:37], v[46:47]
	v_add_f64 v[54:55], v[54:55], v[74:75]
	s_delay_alu instid0(VALU_DEP_2) | instskip(NEXT) | instid1(VALU_DEP_1)
	v_fma_f64 v[36:37], v[38:39], v[44:45], v[36:37]
	v_add_f64 v[52:53], v[52:53], v[36:37]
	ds_load_b128 v[36:39], v57 offset:8256
	s_waitcnt lgkmcnt(0)
	v_mul_f64 v[74:75], v[38:39], v[42:43]
	v_mul_f64 v[42:43], v[36:37], v[42:43]
	s_delay_alu instid0(VALU_DEP_2) | instskip(NEXT) | instid1(VALU_DEP_2)
	v_fma_f64 v[74:75], v[36:37], v[40:41], -v[74:75]
	v_fma_f64 v[40:41], v[38:39], v[40:41], v[42:43]
	s_delay_alu instid0(VALU_DEP_2) | instskip(NEXT) | instid1(VALU_DEP_2)
	v_add_f64 v[68:69], v[68:69], v[74:75]
	v_add_f64 v[70:71], v[70:71], v[40:41]
	v_mul_f64 v[40:41], v[38:39], v[46:47]
	s_delay_alu instid0(VALU_DEP_1) | instskip(SKIP_1) | instid1(VALU_DEP_2)
	v_fma_f64 v[40:41], v[36:37], v[44:45], -v[40:41]
	v_mul_f64 v[36:37], v[36:37], v[46:47]
	v_add_f64 v[50:51], v[50:51], v[40:41]
	s_delay_alu instid0(VALU_DEP_2) | instskip(NEXT) | instid1(VALU_DEP_1)
	v_fma_f64 v[36:37], v[38:39], v[44:45], v[36:37]
	v_add_f64 v[48:49], v[48:49], v[36:37]
	ds_load_b128 v[36:39], v57 offset:80
	ds_load_b128 v[40:43], v59 offset:2560
	s_waitcnt lgkmcnt(0)
	v_mul_f64 v[44:45], v[38:39], v[42:43]
	v_mul_f64 v[46:47], v[36:37], v[42:43]
	s_delay_alu instid0(VALU_DEP_2) | instskip(NEXT) | instid1(VALU_DEP_2)
	v_fma_f64 v[44:45], v[36:37], v[40:41], -v[44:45]
	v_fma_f64 v[46:47], v[38:39], v[40:41], v[46:47]
	s_delay_alu instid0(VALU_DEP_2) | instskip(NEXT) | instid1(VALU_DEP_2)
	v_add_f64 v[2:3], v[2:3], v[44:45]
	v_add_f64 v[72:73], v[72:73], v[46:47]
	ds_load_b128 v[44:47], v67 offset:2560
	s_waitcnt lgkmcnt(0)
	v_mul_f64 v[74:75], v[38:39], v[46:47]
	s_delay_alu instid0(VALU_DEP_1) | instskip(SKIP_1) | instid1(VALU_DEP_2)
	v_fma_f64 v[74:75], v[36:37], v[44:45], -v[74:75]
	v_mul_f64 v[36:37], v[36:37], v[46:47]
	v_add_f64 v[54:55], v[54:55], v[74:75]
	s_delay_alu instid0(VALU_DEP_2) | instskip(NEXT) | instid1(VALU_DEP_1)
	v_fma_f64 v[36:37], v[38:39], v[44:45], v[36:37]
	v_add_f64 v[52:53], v[52:53], v[36:37]
	ds_load_b128 v[36:39], v57 offset:8272
	s_waitcnt lgkmcnt(0)
	v_mul_f64 v[74:75], v[38:39], v[42:43]
	v_mul_f64 v[42:43], v[36:37], v[42:43]
	s_delay_alu instid0(VALU_DEP_2) | instskip(NEXT) | instid1(VALU_DEP_2)
	v_fma_f64 v[74:75], v[36:37], v[40:41], -v[74:75]
	v_fma_f64 v[40:41], v[38:39], v[40:41], v[42:43]
	s_delay_alu instid0(VALU_DEP_2) | instskip(NEXT) | instid1(VALU_DEP_2)
	v_add_f64 v[68:69], v[68:69], v[74:75]
	v_add_f64 v[70:71], v[70:71], v[40:41]
	v_mul_f64 v[40:41], v[38:39], v[46:47]
	s_delay_alu instid0(VALU_DEP_1) | instskip(SKIP_1) | instid1(VALU_DEP_2)
	v_fma_f64 v[40:41], v[36:37], v[44:45], -v[40:41]
	v_mul_f64 v[36:37], v[36:37], v[46:47]
	v_add_f64 v[50:51], v[50:51], v[40:41]
	s_delay_alu instid0(VALU_DEP_2) | instskip(NEXT) | instid1(VALU_DEP_1)
	v_fma_f64 v[36:37], v[38:39], v[44:45], v[36:37]
	;; [unrolled: 39-line block ×26, first 2 shown]
	v_add_f64 v[48:49], v[48:49], v[36:37]
	ds_load_b128 v[36:39], v57 offset:480
	ds_load_b128 v[40:43], v59 offset:15360
	s_waitcnt lgkmcnt(0)
	v_mul_f64 v[44:45], v[38:39], v[42:43]
	v_mul_f64 v[46:47], v[36:37], v[42:43]
	s_delay_alu instid0(VALU_DEP_2) | instskip(NEXT) | instid1(VALU_DEP_2)
	v_fma_f64 v[44:45], v[36:37], v[40:41], -v[44:45]
	v_fma_f64 v[46:47], v[38:39], v[40:41], v[46:47]
	s_delay_alu instid0(VALU_DEP_2) | instskip(NEXT) | instid1(VALU_DEP_2)
	v_add_f64 v[74:75], v[2:3], v[44:45]
	v_add_f64 v[72:73], v[72:73], v[46:47]
	ds_load_b128 v[44:47], v67 offset:15360
	s_waitcnt lgkmcnt(0)
	v_mul_f64 v[2:3], v[38:39], v[46:47]
	s_delay_alu instid0(VALU_DEP_1) | instskip(SKIP_1) | instid1(VALU_DEP_2)
	v_fma_f64 v[2:3], v[36:37], v[44:45], -v[2:3]
	v_mul_f64 v[36:37], v[36:37], v[46:47]
	v_add_f64 v[54:55], v[54:55], v[2:3]
	s_delay_alu instid0(VALU_DEP_2) | instskip(NEXT) | instid1(VALU_DEP_1)
	v_fma_f64 v[36:37], v[38:39], v[44:45], v[36:37]
	v_add_f64 v[76:77], v[52:53], v[36:37]
	ds_load_b128 v[36:39], v57 offset:8672
	s_waitcnt lgkmcnt(0)
	v_mul_f64 v[2:3], v[38:39], v[42:43]
	v_mul_f64 v[42:43], v[36:37], v[42:43]
	s_delay_alu instid0(VALU_DEP_2) | instskip(NEXT) | instid1(VALU_DEP_2)
	v_fma_f64 v[2:3], v[36:37], v[40:41], -v[2:3]
	v_fma_f64 v[40:41], v[38:39], v[40:41], v[42:43]
	s_delay_alu instid0(VALU_DEP_2) | instskip(SKIP_1) | instid1(VALU_DEP_3)
	v_add_f64 v[78:79], v[68:69], v[2:3]
	v_mul_f64 v[2:3], v[38:39], v[46:47]
	v_add_f64 v[80:81], v[70:71], v[40:41]
	s_delay_alu instid0(VALU_DEP_2) | instskip(SKIP_1) | instid1(VALU_DEP_2)
	v_fma_f64 v[2:3], v[36:37], v[44:45], -v[2:3]
	v_mul_f64 v[36:37], v[36:37], v[46:47]
	v_add_f64 v[2:3], v[50:51], v[2:3]
	s_delay_alu instid0(VALU_DEP_2) | instskip(NEXT) | instid1(VALU_DEP_1)
	v_fma_f64 v[36:37], v[38:39], v[44:45], v[36:37]
	v_add_f64 v[48:49], v[48:49], v[36:37]
	ds_load_b128 v[36:39], v57 offset:496
	ds_load_b128 v[50:53], v59 offset:15872
	;; [unrolled: 1-line block ×3, first 2 shown]
	s_waitcnt lgkmcnt(1)
	v_mul_f64 v[40:41], v[38:39], v[52:53]
	v_mul_f64 v[42:43], v[36:37], v[52:53]
	s_delay_alu instid0(VALU_DEP_2) | instskip(NEXT) | instid1(VALU_DEP_2)
	v_fma_f64 v[40:41], v[36:37], v[50:51], -v[40:41]
	v_fma_f64 v[42:43], v[38:39], v[50:51], v[42:43]
	s_delay_alu instid0(VALU_DEP_2) | instskip(NEXT) | instid1(VALU_DEP_2)
	v_add_f64 v[44:45], v[74:75], v[40:41]
	v_add_f64 v[46:47], v[72:73], v[42:43]
	ds_load_b128 v[72:75], v57 offset:8688
	s_waitcnt lgkmcnt(1)
	v_mul_f64 v[40:41], v[38:39], v[70:71]
	s_waitcnt lgkmcnt(0)
	s_barrier
	buffer_gl0_inv
	v_fma_f64 v[40:41], v[36:37], v[68:69], -v[40:41]
	v_mul_f64 v[36:37], v[36:37], v[70:71]
	s_delay_alu instid0(VALU_DEP_2) | instskip(NEXT) | instid1(VALU_DEP_2)
	v_add_f64 v[40:41], v[54:55], v[40:41]
	v_fma_f64 v[36:37], v[38:39], v[68:69], v[36:37]
	v_mul_f64 v[38:39], v[72:73], v[52:53]
	s_delay_alu instid0(VALU_DEP_2) | instskip(SKIP_1) | instid1(VALU_DEP_3)
	v_add_f64 v[42:43], v[76:77], v[36:37]
	v_mul_f64 v[36:37], v[74:75], v[52:53]
	v_fma_f64 v[38:39], v[74:75], v[50:51], v[38:39]
	v_mul_f64 v[52:53], v[72:73], v[70:71]
	s_delay_alu instid0(VALU_DEP_3) | instskip(SKIP_1) | instid1(VALU_DEP_3)
	v_fma_f64 v[36:37], v[72:73], v[50:51], -v[36:37]
	v_mul_f64 v[50:51], v[74:75], v[70:71]
	v_fma_f64 v[52:53], v[74:75], v[68:69], v[52:53]
	v_add_f64 v[38:39], v[80:81], v[38:39]
	s_delay_alu instid0(VALU_DEP_4) | instskip(NEXT) | instid1(VALU_DEP_4)
	v_add_f64 v[36:37], v[78:79], v[36:37]
	v_fma_f64 v[50:51], v[72:73], v[68:69], -v[50:51]
	s_delay_alu instid0(VALU_DEP_4) | instskip(NEXT) | instid1(VALU_DEP_2)
	v_add_f64 v[48:49], v[48:49], v[52:53]
	v_add_f64 v[50:51], v[2:3], v[50:51]
	s_cbranch_scc1 .LBB120_55
.LBB120_7:                              ;   Parent Loop BB120_4 Depth=1
                                        ; =>  This Inner Loop Header: Depth=2
	v_add_co_u32 v52, s5, v10, s34
	s_delay_alu instid0(VALU_DEP_1) | instskip(SKIP_1) | instid1(VALU_DEP_2)
	v_add_co_ci_u32_e64 v53, s5, s35, v11, s5
	v_cmp_eq_u64_e64 s7, s[34:35], v[18:19]
	v_cmp_lt_i64_e64 s5, v[52:53], v[14:15]
	v_cmp_le_i64_e64 s6, s[10:11], v[52:53]
	s_delay_alu instid0(VALU_DEP_3) | instskip(SKIP_1) | instid1(VALU_DEP_3)
	s_and_b32 s43, s40, s7
	v_add_co_u32 v54, s7, v20, v26
	s_or_b32 s8, s3, s5
	v_add_co_ci_u32_e64 v55, s7, v21, v27, s7
	s_delay_alu instid0(VALU_DEP_3) | instskip(NEXT) | instid1(SALU_CYCLE_1)
	s_or_b32 s8, s6, s8
	s_or_b32 s7, s8, s43
	s_delay_alu instid0(SALU_CYCLE_1) | instskip(NEXT) | instid1(SALU_CYCLE_1)
	s_xor_b32 s7, s7, -1
	s_and_saveexec_b32 s8, s7
	s_delay_alu instid0(SALU_CYCLE_1)
	s_xor_b32 s7, exec_lo, s8
	s_cbranch_execz .LBB120_9
; %bb.8:                                ;   in Loop: Header=BB120_7 Depth=2
	global_load_b128 v[68:71], v[54:55], off offset:-256
	s_waitcnt vmcnt(0)
	ds_store_2addr_b64 v58, v[68:69], v[70:71] offset1:1
.LBB120_9:                              ;   in Loop: Header=BB120_7 Depth=2
	s_or_saveexec_b32 s7, s7
	s_xor_b32 s42, s43, -1
	s_xor_b32 exec_lo, exec_lo, s7
	s_cbranch_execz .LBB120_15
; %bb.10:                               ;   in Loop: Header=BB120_7 Depth=2
	s_and_saveexec_b32 s8, s42
	s_delay_alu instid0(SALU_CYCLE_1)
	s_xor_b32 s8, exec_lo, s8
	s_cbranch_execz .LBB120_12
; %bb.11:                               ;   in Loop: Header=BB120_7 Depth=2
	v_mov_b32_e32 v68, v0
	v_mov_b32_e32 v69, v0
	v_mov_b32_e32 v70, v0
	v_mov_b32_e32 v71, v0
	ds_store_b128 v58, v[68:71]
.LBB120_12:                             ;   in Loop: Header=BB120_7 Depth=2
	s_and_not1_saveexec_b32 s8, s8
	s_cbranch_execz .LBB120_14
; %bb.13:                               ;   in Loop: Header=BB120_7 Depth=2
	v_mov_b32_e32 v2, v0
	v_mov_b32_e32 v3, v0
	ds_store_b128 v58, v[0:3]
.LBB120_14:                             ;   in Loop: Header=BB120_7 Depth=2
	s_or_b32 exec_lo, exec_lo, s8
.LBB120_15:                             ;   in Loop: Header=BB120_7 Depth=2
	s_delay_alu instid0(SALU_CYCLE_1) | instskip(SKIP_1) | instid1(VALU_DEP_1)
	s_or_b32 exec_lo, exec_lo, s7
	v_add_co_u32 v2, s7, v52, 16
	v_add_co_ci_u32_e64 v3, s7, 0, v53, s7
	v_cmp_eq_u64_e64 s9, s[34:35], v[32:33]
	s_delay_alu instid0(VALU_DEP_2) | instskip(SKIP_1) | instid1(VALU_DEP_3)
	v_cmp_lt_i64_e64 s8, v[2:3], v[14:15]
	v_cmp_le_i64_e64 s7, s[10:11], v[2:3]
	s_and_b32 s9, s40, s9
	s_delay_alu instid0(VALU_DEP_2)
	s_or_b32 s8, s3, s8
	s_delay_alu instid0(VALU_DEP_1) | instid1(SALU_CYCLE_1)
	s_or_b32 s8, s7, s8
	s_delay_alu instid0(SALU_CYCLE_1) | instskip(NEXT) | instid1(SALU_CYCLE_1)
	s_or_b32 s8, s8, s9
	s_xor_b32 s8, s8, -1
	s_delay_alu instid0(SALU_CYCLE_1) | instskip(NEXT) | instid1(SALU_CYCLE_1)
	s_and_saveexec_b32 s46, s8
	s_xor_b32 s8, exec_lo, s46
	s_cbranch_execz .LBB120_17
; %bb.16:                               ;   in Loop: Header=BB120_7 Depth=2
	global_load_b128 v[68:71], v[54:55], off
	s_waitcnt vmcnt(0)
	ds_store_2addr_b64 v60, v[68:69], v[70:71] offset1:1
.LBB120_17:                             ;   in Loop: Header=BB120_7 Depth=2
	s_and_not1_saveexec_b32 s8, s8
	s_cbranch_execz .LBB120_23
; %bb.18:                               ;   in Loop: Header=BB120_7 Depth=2
	s_xor_b32 s9, s9, -1
	s_delay_alu instid0(SALU_CYCLE_1) | instskip(NEXT) | instid1(SALU_CYCLE_1)
	s_and_saveexec_b32 s46, s9
	s_xor_b32 s9, exec_lo, s46
	s_cbranch_execz .LBB120_20
; %bb.19:                               ;   in Loop: Header=BB120_7 Depth=2
	v_mov_b32_e32 v68, v0
	v_mov_b32_e32 v69, v0
	;; [unrolled: 1-line block ×4, first 2 shown]
	ds_store_b128 v60, v[68:71]
.LBB120_20:                             ;   in Loop: Header=BB120_7 Depth=2
	s_and_not1_saveexec_b32 s9, s9
	s_cbranch_execz .LBB120_22
; %bb.21:                               ;   in Loop: Header=BB120_7 Depth=2
	v_mov_b32_e32 v2, v0
	v_mov_b32_e32 v3, v0
	ds_store_b128 v60, v[0:3]
.LBB120_22:                             ;   in Loop: Header=BB120_7 Depth=2
	s_or_b32 exec_lo, exec_lo, s9
.LBB120_23:                             ;   in Loop: Header=BB120_7 Depth=2
	s_delay_alu instid0(SALU_CYCLE_1) | instskip(SKIP_2) | instid1(VALU_DEP_2)
	s_or_b32 exec_lo, exec_lo, s8
	v_cmp_eq_u64_e64 s8, s[34:35], v[30:31]
	v_cmp_lt_i64_e64 s9, v[52:53], v[28:29]
	s_and_b32 s8, s40, s8
	s_delay_alu instid0(VALU_DEP_1) | instskip(NEXT) | instid1(SALU_CYCLE_1)
	s_or_b32 s9, s4, s9
	s_or_b32 s9, s9, s8
	s_delay_alu instid0(SALU_CYCLE_1) | instskip(NEXT) | instid1(SALU_CYCLE_1)
	s_or_b32 s6, s6, s9
	s_xor_b32 s6, s6, -1
	s_delay_alu instid0(SALU_CYCLE_1) | instskip(NEXT) | instid1(SALU_CYCLE_1)
	s_and_saveexec_b32 s9, s6
	s_xor_b32 s9, exec_lo, s9
	s_cbranch_execz .LBB120_25
; %bb.24:                               ;   in Loop: Header=BB120_7 Depth=2
	v_add_co_u32 v2, s6, v22, v26
	s_delay_alu instid0(VALU_DEP_1)
	v_add_co_ci_u32_e64 v3, s6, v23, v27, s6
	global_load_b128 v[52:55], v[2:3], off
	s_waitcnt vmcnt(0)
	ds_store_2addr_b64 v62, v[52:53], v[54:55] offset1:1
.LBB120_25:                             ;   in Loop: Header=BB120_7 Depth=2
	s_and_not1_saveexec_b32 s6, s9
	s_cbranch_execz .LBB120_31
; %bb.26:                               ;   in Loop: Header=BB120_7 Depth=2
	s_xor_b32 s8, s8, -1
	s_delay_alu instid0(SALU_CYCLE_1) | instskip(NEXT) | instid1(SALU_CYCLE_1)
	s_and_saveexec_b32 s9, s8
	s_xor_b32 s8, exec_lo, s9
	s_cbranch_execz .LBB120_28
; %bb.27:                               ;   in Loop: Header=BB120_7 Depth=2
	v_mov_b32_e32 v52, v0
	v_mov_b32_e32 v53, v0
	;; [unrolled: 1-line block ×4, first 2 shown]
	ds_store_b128 v62, v[52:55]
.LBB120_28:                             ;   in Loop: Header=BB120_7 Depth=2
	s_and_not1_saveexec_b32 s8, s8
	s_cbranch_execz .LBB120_30
; %bb.29:                               ;   in Loop: Header=BB120_7 Depth=2
	v_mov_b32_e32 v2, v0
	v_mov_b32_e32 v3, v0
	ds_store_b128 v62, v[0:3]
.LBB120_30:                             ;   in Loop: Header=BB120_7 Depth=2
	s_or_b32 exec_lo, exec_lo, s8
.LBB120_31:                             ;   in Loop: Header=BB120_7 Depth=2
	s_delay_alu instid0(SALU_CYCLE_1) | instskip(SKIP_1) | instid1(SALU_CYCLE_1)
	s_or_b32 exec_lo, exec_lo, s6
	s_or_b32 s5, s4, s5
	s_or_b32 s5, s7, s5
	s_delay_alu instid0(SALU_CYCLE_1) | instskip(NEXT) | instid1(SALU_CYCLE_1)
	s_or_b32 s5, s5, s43
	s_xor_b32 s5, s5, -1
	s_delay_alu instid0(SALU_CYCLE_1) | instskip(NEXT) | instid1(SALU_CYCLE_1)
	s_and_saveexec_b32 s6, s5
	s_xor_b32 s6, exec_lo, s6
	s_cbranch_execz .LBB120_33
; %bb.32:                               ;   in Loop: Header=BB120_7 Depth=2
	v_add_co_u32 v2, s5, v22, v26
	s_delay_alu instid0(VALU_DEP_1)
	v_add_co_ci_u32_e64 v3, s5, v23, v27, s5
	global_load_b128 v[52:55], v[2:3], off offset:256
	s_waitcnt vmcnt(0)
	ds_store_2addr_b64 v63, v[52:53], v[54:55] offset1:1
.LBB120_33:                             ;   in Loop: Header=BB120_7 Depth=2
	s_and_not1_saveexec_b32 s5, s6
	s_cbranch_execz .LBB120_39
; %bb.34:                               ;   in Loop: Header=BB120_7 Depth=2
	s_and_saveexec_b32 s6, s42
	s_delay_alu instid0(SALU_CYCLE_1)
	s_xor_b32 s6, exec_lo, s6
	s_cbranch_execz .LBB120_36
; %bb.35:                               ;   in Loop: Header=BB120_7 Depth=2
	v_mov_b32_e32 v52, v0
	v_mov_b32_e32 v53, v0
	;; [unrolled: 1-line block ×4, first 2 shown]
	ds_store_b128 v63, v[52:55]
.LBB120_36:                             ;   in Loop: Header=BB120_7 Depth=2
	s_and_not1_saveexec_b32 s6, s6
	s_cbranch_execz .LBB120_38
; %bb.37:                               ;   in Loop: Header=BB120_7 Depth=2
	v_mov_b32_e32 v2, v0
	v_mov_b32_e32 v3, v0
	ds_store_b128 v63, v[0:3]
.LBB120_38:                             ;   in Loop: Header=BB120_7 Depth=2
	s_or_b32 exec_lo, exec_lo, s6
.LBB120_39:                             ;   in Loop: Header=BB120_7 Depth=2
	s_delay_alu instid0(SALU_CYCLE_1) | instskip(SKIP_1) | instid1(VALU_DEP_1)
	s_or_b32 exec_lo, exec_lo, s5
	v_add_co_u32 v2, s5, v12, s34
	v_add_co_ci_u32_e64 v3, s5, s35, v13, s5
	v_add_co_u32 v52, s6, v34, v16
	s_delay_alu instid0(VALU_DEP_1) | instskip(NEXT) | instid1(VALU_DEP_3)
	v_add_co_ci_u32_e64 v53, s6, v35, v17, s6
	v_cmp_le_i64_e64 s5, s[10:11], v[2:3]
	s_delay_alu instid0(VALU_DEP_1) | instskip(NEXT) | instid1(SALU_CYCLE_1)
	s_or_b32 s6, s5, vcc_lo
	s_xor_b32 s6, s6, -1
	s_delay_alu instid0(SALU_CYCLE_1) | instskip(NEXT) | instid1(SALU_CYCLE_1)
	s_and_saveexec_b32 s7, s6
	s_xor_b32 s6, exec_lo, s7
	s_cbranch_execz .LBB120_41
; %bb.40:                               ;   in Loop: Header=BB120_7 Depth=2
	global_load_b128 v[68:71], v[52:53], off offset:-256
	s_waitcnt vmcnt(0)
	ds_store_2addr_b64 v61, v[68:69], v[70:71] offset1:1
.LBB120_41:                             ;   in Loop: Header=BB120_7 Depth=2
	s_and_not1_saveexec_b32 s6, s6
	s_cbranch_execz .LBB120_43
; %bb.42:                               ;   in Loop: Header=BB120_7 Depth=2
	v_mov_b32_e32 v68, v0
	v_mov_b32_e32 v69, v0
	;; [unrolled: 1-line block ×4, first 2 shown]
	ds_store_b128 v61, v[68:71]
.LBB120_43:                             ;   in Loop: Header=BB120_7 Depth=2
	s_or_b32 exec_lo, exec_lo, s6
	s_or_b32 s5, s5, s0
	s_delay_alu instid0(SALU_CYCLE_1) | instskip(NEXT) | instid1(SALU_CYCLE_1)
	s_xor_b32 s5, s5, -1
	s_and_saveexec_b32 s6, s5
	s_delay_alu instid0(SALU_CYCLE_1)
	s_xor_b32 s5, exec_lo, s6
	s_cbranch_execz .LBB120_45
; %bb.44:                               ;   in Loop: Header=BB120_7 Depth=2
	global_load_b128 v[52:55], v[52:53], off
	s_waitcnt vmcnt(0)
	ds_store_2addr_b64 v64, v[52:53], v[54:55] offset1:1
.LBB120_45:                             ;   in Loop: Header=BB120_7 Depth=2
	s_and_not1_saveexec_b32 s5, s5
	s_cbranch_execz .LBB120_47
; %bb.46:                               ;   in Loop: Header=BB120_7 Depth=2
	v_mov_b32_e32 v52, v0
	v_mov_b32_e32 v53, v0
	;; [unrolled: 1-line block ×4, first 2 shown]
	ds_store_b128 v64, v[52:55]
.LBB120_47:                             ;   in Loop: Header=BB120_7 Depth=2
	s_or_b32 exec_lo, exec_lo, s5
	v_cmp_le_i64_e64 s5, s[28:29], v[2:3]
	s_delay_alu instid0(VALU_DEP_1) | instskip(NEXT) | instid1(SALU_CYCLE_1)
	s_or_b32 s6, s5, vcc_lo
	s_xor_b32 s6, s6, -1
	s_delay_alu instid0(SALU_CYCLE_1) | instskip(NEXT) | instid1(SALU_CYCLE_1)
	s_and_saveexec_b32 s7, s6
	s_xor_b32 s7, exec_lo, s7
	s_cbranch_execz .LBB120_49
; %bb.48:                               ;   in Loop: Header=BB120_7 Depth=2
	v_add_co_u32 v2, s6, v34, v24
	s_delay_alu instid0(VALU_DEP_1)
	v_add_co_ci_u32_e64 v3, s6, v35, v25, s6
	global_load_b128 v[52:55], v[2:3], off offset:-256
	s_waitcnt vmcnt(0)
	ds_store_2addr_b64 v65, v[52:53], v[54:55] offset1:1
.LBB120_49:                             ;   in Loop: Header=BB120_7 Depth=2
	s_and_not1_saveexec_b32 s6, s7
	s_cbranch_execz .LBB120_51
; %bb.50:                               ;   in Loop: Header=BB120_7 Depth=2
	v_mov_b32_e32 v52, v0
	v_mov_b32_e32 v53, v0
	;; [unrolled: 1-line block ×4, first 2 shown]
	ds_store_b128 v65, v[52:55]
.LBB120_51:                             ;   in Loop: Header=BB120_7 Depth=2
	s_or_b32 exec_lo, exec_lo, s6
	s_or_b32 s5, s5, s0
	s_delay_alu instid0(SALU_CYCLE_1) | instskip(NEXT) | instid1(SALU_CYCLE_1)
	s_xor_b32 s5, s5, -1
	s_and_saveexec_b32 s6, s5
	s_delay_alu instid0(SALU_CYCLE_1)
	s_xor_b32 s6, exec_lo, s6
	s_cbranch_execz .LBB120_53
; %bb.52:                               ;   in Loop: Header=BB120_7 Depth=2
	v_add_co_u32 v2, s5, v34, v24
	s_delay_alu instid0(VALU_DEP_1)
	v_add_co_ci_u32_e64 v3, s5, v35, v25, s5
	global_load_b128 v[52:55], v[2:3], off
	s_waitcnt vmcnt(0)
	ds_store_2addr_b64 v66, v[52:53], v[54:55] offset1:1
.LBB120_53:                             ;   in Loop: Header=BB120_7 Depth=2
	s_and_not1_saveexec_b32 s5, s6
	s_cbranch_execz .LBB120_6
; %bb.54:                               ;   in Loop: Header=BB120_7 Depth=2
	v_mov_b32_e32 v52, v0
	v_mov_b32_e32 v53, v0
	;; [unrolled: 1-line block ×4, first 2 shown]
	ds_store_b128 v66, v[52:55]
	s_branch .LBB120_6
.LBB120_55:                             ;   in Loop: Header=BB120_4 Depth=1
	v_mul_lo_u32 v11, v15, s44
	v_mul_lo_u32 v13, v14, s45
	v_mad_u64_u32 v[2:3], null, v14, s44, 0
	v_cmp_gt_i32_e64 s3, s10, v14
	s_delay_alu instid0(VALU_DEP_2) | instskip(NEXT) | instid1(VALU_DEP_1)
	v_add3_u32 v3, v3, v13, v11
	v_lshlrev_b64 v[2:3], 4, v[2:3]
	s_delay_alu instid0(VALU_DEP_1) | instskip(NEXT) | instid1(VALU_DEP_1)
	v_add_co_u32 v2, s4, s38, v2
	v_add_co_ci_u32_e64 v3, s4, s39, v3, s4
	s_and_b32 s4, s1, s3
	s_delay_alu instid0(SALU_CYCLE_1)
	s_and_saveexec_b32 s5, s4
	s_cbranch_execz .LBB120_57
; %bb.56:                               ;   in Loop: Header=BB120_4 Depth=1
	v_add_co_u32 v19, s4, v2, v4
	s_delay_alu instid0(VALU_DEP_1)
	v_add_co_ci_u32_e64 v20, s4, v3, v5, s4
	v_mul_f64 v[21:22], s[18:19], v[46:47]
	v_mul_f64 v[23:24], s[16:17], v[46:47]
	global_load_b128 v[15:18], v[19:20], off
	v_fma_f64 v[21:22], s[16:17], v[44:45], -v[21:22]
	v_fma_f64 v[23:24], s[18:19], v[44:45], v[23:24]
	s_waitcnt vmcnt(0)
	s_delay_alu instid0(VALU_DEP_2) | instskip(NEXT) | instid1(VALU_DEP_2)
	v_add_f64 v[15:16], v[15:16], v[21:22]
	v_add_f64 v[17:18], v[17:18], v[23:24]
	global_store_b128 v[19:20], v[15:18], off
.LBB120_57:                             ;   in Loop: Header=BB120_4 Depth=1
	s_or_b32 exec_lo, exec_lo, s5
	s_and_b32 s3, s2, s3
	s_delay_alu instid0(SALU_CYCLE_1)
	s_and_saveexec_b32 s4, s3
	s_cbranch_execz .LBB120_59
; %bb.58:                               ;   in Loop: Header=BB120_4 Depth=1
	v_lshlrev_b64 v[15:16], 4, v[8:9]
	v_mul_f64 v[19:20], s[18:19], v[42:43]
	v_mul_f64 v[21:22], s[16:17], v[42:43]
	s_delay_alu instid0(VALU_DEP_3) | instskip(NEXT) | instid1(VALU_DEP_1)
	v_add_co_u32 v2, s3, v2, v15
	v_add_co_ci_u32_e64 v3, s3, v3, v16, s3
	global_load_b128 v[15:18], v[2:3], off
	v_fma_f64 v[19:20], s[16:17], v[40:41], -v[19:20]
	v_fma_f64 v[21:22], s[18:19], v[40:41], v[21:22]
	s_waitcnt vmcnt(0)
	s_delay_alu instid0(VALU_DEP_2) | instskip(NEXT) | instid1(VALU_DEP_2)
	v_add_f64 v[15:16], v[15:16], v[19:20]
	v_add_f64 v[17:18], v[17:18], v[21:22]
	global_store_b128 v[2:3], v[15:18], off
.LBB120_59:                             ;   in Loop: Header=BB120_4 Depth=1
	s_or_b32 exec_lo, exec_lo, s4
	v_add_nc_u32_e32 v11, 16, v14
	s_delay_alu instid0(VALU_DEP_1) | instskip(SKIP_3) | instid1(VALU_DEP_4)
	v_ashrrev_i32_e32 v13, 31, v11
	v_mul_lo_u32 v14, v11, s45
	v_mad_u64_u32 v[2:3], null, v11, s44, 0
	v_cmp_gt_i32_e64 s3, s10, v11
	v_mul_lo_u32 v13, v13, s44
	s_delay_alu instid0(VALU_DEP_1) | instskip(NEXT) | instid1(VALU_DEP_1)
	v_add3_u32 v3, v3, v14, v13
	v_lshlrev_b64 v[2:3], 4, v[2:3]
	s_delay_alu instid0(VALU_DEP_1) | instskip(NEXT) | instid1(VALU_DEP_1)
	v_add_co_u32 v2, s4, s38, v2
	v_add_co_ci_u32_e64 v3, s4, s39, v3, s4
	s_and_b32 s4, s1, s3
	s_delay_alu instid0(SALU_CYCLE_1)
	s_and_saveexec_b32 s5, s4
	s_cbranch_execz .LBB120_61
; %bb.60:                               ;   in Loop: Header=BB120_4 Depth=1
	v_add_co_u32 v17, s4, v2, v4
	s_delay_alu instid0(VALU_DEP_1)
	v_add_co_ci_u32_e64 v18, s4, v3, v5, s4
	v_mul_f64 v[19:20], s[18:19], v[38:39]
	v_mul_f64 v[21:22], s[16:17], v[38:39]
	global_load_b128 v[13:16], v[17:18], off
	v_fma_f64 v[19:20], s[16:17], v[36:37], -v[19:20]
	v_fma_f64 v[21:22], s[18:19], v[36:37], v[21:22]
	s_waitcnt vmcnt(0)
	s_delay_alu instid0(VALU_DEP_2) | instskip(NEXT) | instid1(VALU_DEP_2)
	v_add_f64 v[13:14], v[13:14], v[19:20]
	v_add_f64 v[15:16], v[15:16], v[21:22]
	global_store_b128 v[17:18], v[13:16], off
.LBB120_61:                             ;   in Loop: Header=BB120_4 Depth=1
	s_or_b32 exec_lo, exec_lo, s5
	s_and_b32 s3, s2, s3
	s_delay_alu instid0(SALU_CYCLE_1)
	s_and_saveexec_b32 s4, s3
	s_cbranch_execz .LBB120_3
; %bb.62:                               ;   in Loop: Header=BB120_4 Depth=1
	v_lshlrev_b64 v[13:14], 4, v[8:9]
	v_mul_f64 v[17:18], s[18:19], v[48:49]
	v_mul_f64 v[19:20], s[16:17], v[48:49]
	s_delay_alu instid0(VALU_DEP_3) | instskip(NEXT) | instid1(VALU_DEP_1)
	v_add_co_u32 v2, s3, v2, v13
	v_add_co_ci_u32_e64 v3, s3, v3, v14, s3
	global_load_b128 v[13:16], v[2:3], off
	v_fma_f64 v[17:18], s[16:17], v[50:51], -v[17:18]
	v_fma_f64 v[19:20], s[18:19], v[50:51], v[19:20]
	s_waitcnt vmcnt(0)
	s_delay_alu instid0(VALU_DEP_2) | instskip(NEXT) | instid1(VALU_DEP_2)
	v_add_f64 v[13:14], v[13:14], v[17:18]
	v_add_f64 v[15:16], v[15:16], v[19:20]
	global_store_b128 v[2:3], v[13:16], off
	s_branch .LBB120_3
.LBB120_63:
	s_nop 0
	s_sendmsg sendmsg(MSG_DEALLOC_VGPRS)
	s_endpgm
	.section	.rodata,"a",@progbits
	.p2align	6, 0x0
	.amdhsa_kernel _ZL30rocblas_trmm_outofplace_kernelI19rocblas_complex_numIdELi32ELi2ELb0ELb0ELb0ELb0EPKS1_S2_S1_Ev17rocblas_diagonal_iiT6_lPT7_lllS7_lllPT8_llli
		.amdhsa_group_segment_fixed_size 32768
		.amdhsa_private_segment_fixed_size 0
		.amdhsa_kernarg_size 392
		.amdhsa_user_sgpr_count 13
		.amdhsa_user_sgpr_dispatch_ptr 0
		.amdhsa_user_sgpr_queue_ptr 0
		.amdhsa_user_sgpr_kernarg_segment_ptr 1
		.amdhsa_user_sgpr_dispatch_id 0
		.amdhsa_user_sgpr_private_segment_size 0
		.amdhsa_wavefront_size32 1
		.amdhsa_uses_dynamic_stack 0
		.amdhsa_enable_private_segment 0
		.amdhsa_system_sgpr_workgroup_id_x 1
		.amdhsa_system_sgpr_workgroup_id_y 1
		.amdhsa_system_sgpr_workgroup_id_z 1
		.amdhsa_system_sgpr_workgroup_info 0
		.amdhsa_system_vgpr_workitem_id 1
		.amdhsa_next_free_vgpr 88
		.amdhsa_next_free_sgpr 49
		.amdhsa_reserve_vcc 1
		.amdhsa_float_round_mode_32 0
		.amdhsa_float_round_mode_16_64 0
		.amdhsa_float_denorm_mode_32 3
		.amdhsa_float_denorm_mode_16_64 3
		.amdhsa_dx10_clamp 1
		.amdhsa_ieee_mode 1
		.amdhsa_fp16_overflow 0
		.amdhsa_workgroup_processor_mode 1
		.amdhsa_memory_ordered 1
		.amdhsa_forward_progress 0
		.amdhsa_shared_vgpr_count 0
		.amdhsa_exception_fp_ieee_invalid_op 0
		.amdhsa_exception_fp_denorm_src 0
		.amdhsa_exception_fp_ieee_div_zero 0
		.amdhsa_exception_fp_ieee_overflow 0
		.amdhsa_exception_fp_ieee_underflow 0
		.amdhsa_exception_fp_ieee_inexact 0
		.amdhsa_exception_int_div_zero 0
	.end_amdhsa_kernel
	.section	.text._ZL30rocblas_trmm_outofplace_kernelI19rocblas_complex_numIdELi32ELi2ELb0ELb0ELb0ELb0EPKS1_S2_S1_Ev17rocblas_diagonal_iiT6_lPT7_lllS7_lllPT8_llli,"axG",@progbits,_ZL30rocblas_trmm_outofplace_kernelI19rocblas_complex_numIdELi32ELi2ELb0ELb0ELb0ELb0EPKS1_S2_S1_Ev17rocblas_diagonal_iiT6_lPT7_lllS7_lllPT8_llli,comdat
.Lfunc_end120:
	.size	_ZL30rocblas_trmm_outofplace_kernelI19rocblas_complex_numIdELi32ELi2ELb0ELb0ELb0ELb0EPKS1_S2_S1_Ev17rocblas_diagonal_iiT6_lPT7_lllS7_lllPT8_llli, .Lfunc_end120-_ZL30rocblas_trmm_outofplace_kernelI19rocblas_complex_numIdELi32ELi2ELb0ELb0ELb0ELb0EPKS1_S2_S1_Ev17rocblas_diagonal_iiT6_lPT7_lllS7_lllPT8_llli
                                        ; -- End function
	.section	.AMDGPU.csdata,"",@progbits
; Kernel info:
; codeLenInByte = 11548
; NumSgprs: 51
; NumVgprs: 88
; ScratchSize: 0
; MemoryBound: 0
; FloatMode: 240
; IeeeMode: 1
; LDSByteSize: 32768 bytes/workgroup (compile time only)
; SGPRBlocks: 6
; VGPRBlocks: 10
; NumSGPRsForWavesPerEU: 51
; NumVGPRsForWavesPerEU: 88
; Occupancy: 16
; WaveLimiterHint : 0
; COMPUTE_PGM_RSRC2:SCRATCH_EN: 0
; COMPUTE_PGM_RSRC2:USER_SGPR: 13
; COMPUTE_PGM_RSRC2:TRAP_HANDLER: 0
; COMPUTE_PGM_RSRC2:TGID_X_EN: 1
; COMPUTE_PGM_RSRC2:TGID_Y_EN: 1
; COMPUTE_PGM_RSRC2:TGID_Z_EN: 1
; COMPUTE_PGM_RSRC2:TIDIG_COMP_CNT: 1
	.section	.text._ZL30rocblas_trmm_outofplace_kernelI19rocblas_complex_numIdELi32ELi2ELb0ELb0ELb0ELb0ES1_KS1_S1_Ev17rocblas_diagonal_iiT6_lPT7_lllS6_lllPT8_llli,"axG",@progbits,_ZL30rocblas_trmm_outofplace_kernelI19rocblas_complex_numIdELi32ELi2ELb0ELb0ELb0ELb0ES1_KS1_S1_Ev17rocblas_diagonal_iiT6_lPT7_lllS6_lllPT8_llli,comdat
	.globl	_ZL30rocblas_trmm_outofplace_kernelI19rocblas_complex_numIdELi32ELi2ELb0ELb0ELb0ELb0ES1_KS1_S1_Ev17rocblas_diagonal_iiT6_lPT7_lllS6_lllPT8_llli ; -- Begin function _ZL30rocblas_trmm_outofplace_kernelI19rocblas_complex_numIdELi32ELi2ELb0ELb0ELb0ELb0ES1_KS1_S1_Ev17rocblas_diagonal_iiT6_lPT7_lllS6_lllPT8_llli
	.p2align	8
	.type	_ZL30rocblas_trmm_outofplace_kernelI19rocblas_complex_numIdELi32ELi2ELb0ELb0ELb0ELb0ES1_KS1_S1_Ev17rocblas_diagonal_iiT6_lPT7_lllS6_lllPT8_llli,@function
_ZL30rocblas_trmm_outofplace_kernelI19rocblas_complex_numIdELi32ELi2ELb0ELb0ELb0ELb0ES1_KS1_S1_Ev17rocblas_diagonal_iiT6_lPT7_lllS6_lllPT8_llli: ; @_ZL30rocblas_trmm_outofplace_kernelI19rocblas_complex_numIdELi32ELi2ELb0ELb0ELb0ELb0ES1_KS1_S1_Ev17rocblas_diagonal_iiT6_lPT7_lllS6_lllPT8_llli
; %bb.0:
	s_load_b128 s[44:47], s[0:1], 0x10
	s_waitcnt lgkmcnt(0)
	v_cmp_eq_f64_e64 s2, s[44:45], 0
	v_cmp_eq_f64_e64 s3, s[46:47], 0
	s_delay_alu instid0(VALU_DEP_1) | instskip(NEXT) | instid1(SALU_CYCLE_1)
	s_and_b32 s2, s2, s3
	s_and_b32 vcc_lo, exec_lo, s2
	s_cbranch_vccnz .LBB121_63
; %bb.1:
	s_load_b128 s[8:11], s[0:1], 0x0
	s_waitcnt lgkmcnt(0)
	s_add_i32 s2, s10, -1
	s_delay_alu instid0(SALU_CYCLE_1) | instskip(NEXT) | instid1(SALU_CYCLE_1)
	s_ashr_i32 s3, s2, 31
	s_lshr_b32 s3, s3, 27
	s_delay_alu instid0(SALU_CYCLE_1) | instskip(NEXT) | instid1(SALU_CYCLE_1)
	s_add_i32 s2, s2, s3
	s_ashr_i32 s33, s2, 5
	s_delay_alu instid0(SALU_CYCLE_1)
	s_cmp_gt_i32 s14, s33
	s_cbranch_scc1 .LBB121_63
; %bb.2:
	s_clause 0x1
	s_load_b512 s[16:31], s[0:1], 0x28
	s_load_b256 s[36:43], s[0:1], 0x68
	v_and_b32_e32 v10, 0x3ff, v0
	v_bfe_u32 v56, v0, 10, 10
	s_delay_alu instid0(VALU_DEP_2) | instskip(SKIP_1) | instid1(VALU_DEP_3)
	v_lshl_add_u32 v0, s13, 5, v10
	v_lshlrev_b32_e32 v11, 4, v10
	v_lshlrev_b32_e32 v57, 9, v56
	s_delay_alu instid0(VALU_DEP_3) | instskip(SKIP_1) | instid1(VALU_DEP_2)
	v_ashrrev_i32_e32 v1, 31, v0
	v_add_nc_u32_e32 v8, 16, v0
	v_lshlrev_b64 v[4:5], 4, v[0:1]
	s_delay_alu instid0(VALU_DEP_2)
	v_ashrrev_i32_e32 v9, 31, v8
	s_waitcnt lgkmcnt(0)
	s_mul_i32 s3, s15, s31
	s_mul_hi_u32 s4, s15, s30
	s_mul_i32 s2, s15, s30
	s_add_i32 s3, s4, s3
	s_mul_i32 s5, s15, s43
	s_lshl_b64 s[2:3], s[2:3], 4
	s_mul_hi_u32 s6, s15, s42
	s_add_u32 s7, s24, s2
	s_addc_u32 s11, s25, s3
	s_lshl_b64 s[2:3], s[26:27], 4
	s_mul_i32 s4, s15, s42
	s_add_u32 s7, s7, s2
	s_addc_u32 s11, s11, s3
	s_add_i32 s5, s6, s5
	v_add_co_u32 v6, vcc_lo, s7, v4
	s_lshl_b64 s[2:3], s[4:5], 4
	v_add_co_ci_u32_e32 v7, vcc_lo, s11, v5, vcc_lo
	s_add_u32 s4, s36, s2
	s_addc_u32 s5, s37, s3
	s_load_b32 s37, s[0:1], 0x94
	s_lshl_b64 s[2:3], s[38:39], 4
	v_sub_co_u32 v2, vcc_lo, s9, v0
	s_add_u32 s34, s4, s2
	s_addc_u32 s35, s5, s3
	s_cmpk_eq_i32 s8, 0x84
	v_cmp_gt_i32_e64 s1, s9, v0
	v_mov_b32_e32 v0, 0
	v_or_b32_e32 v59, 0x4000, v11
	s_cselect_b32 s36, -1, 0
	s_ashr_i32 s11, s10, 31
	s_ashr_i32 s2, s9, 31
	s_lshl_b64 s[12:13], s[28:29], 9
	s_mul_i32 s4, s23, s15
	s_mul_hi_u32 s5, s22, s15
	s_add_u32 s24, s10, -16
	v_sub_co_ci_u32_e32 v3, vcc_lo, s2, v1, vcc_lo
	s_addc_u32 s25, s11, -1
	s_add_i32 s5, s5, s4
	s_mul_i32 s4, s22, s15
	v_dual_mov_b32 v1, 0x3ff00000 :: v_dual_add_nc_u32 v58, v57, v11
	v_add_nc_u32_e32 v61, v59, v57
	s_lshl_b32 s3, s14, 5
	s_lshl_b64 s[4:5], s[4:5], 4
	s_lshl_b64 s[6:7], s[18:19], 4
	s_waitcnt lgkmcnt(0)
	s_lshl_b32 s38, s37, 5
	s_lshl_b64 s[18:19], s[28:29], 4
	v_add_nc_u32_e32 v10, s3, v10
	v_add_nc_u32_e32 v12, s3, v56
	s_add_u32 s3, s4, s6
	v_cmp_gt_i64_e32 vcc_lo, 1, v[2:3]
	v_cmp_gt_i64_e64 s0, 17, v[2:3]
	s_addc_u32 s4, s5, s7
	v_add_nc_u32_e32 v60, 0x100, v58
	v_add_nc_u32_e32 v62, 0x2000, v58
	;; [unrolled: 1-line block ×6, first 2 shown]
	v_cmp_gt_i32_e64 s2, s9, v8
	v_add_nc_u32_e32 v67, 0x4100, v11
	s_add_u32 s16, s16, s3
	s_addc_u32 s17, s17, s4
	s_add_u32 s22, s16, 0x100
	s_addc_u32 s23, s17, 0
	s_lshl_b64 s[26:27], s[20:21], 4
	s_branch .LBB121_4
.LBB121_3:                              ;   in Loop: Header=BB121_4 Depth=1
	s_or_b32 exec_lo, exec_lo, s4
	v_add_nc_u32_e32 v10, s38, v10
	v_add_nc_u32_e32 v12, s38, v12
	s_add_i32 s14, s37, s14
	s_delay_alu instid0(SALU_CYCLE_1)
	s_cmp_le_i32 s14, s33
	s_cbranch_scc0 .LBB121_63
.LBB121_4:                              ; =>This Loop Header: Depth=1
                                        ;     Child Loop BB121_7 Depth 2
	s_lshl_b32 s3, s14, 5
	v_mov_b32_e32 v44, 0
	v_dual_mov_b32 v45, 0 :: v_dual_add_nc_u32 v14, s3, v56
	v_ashrrev_i32_e32 v11, 31, v10
	v_ashrrev_i32_e32 v13, 31, v12
	s_delay_alu instid0(VALU_DEP_3)
	v_dual_mov_b32 v40, v44 :: v_dual_mov_b32 v41, v45
	v_dual_mov_b32 v47, v45 :: v_dual_mov_b32 v46, v44
	v_ashrrev_i32_e32 v15, 31, v14
	v_dual_mov_b32 v42, v44 :: v_dual_mov_b32 v43, v45
	v_dual_mov_b32 v36, v44 :: v_dual_mov_b32 v37, v45
	;; [unrolled: 1-line block ×5, first 2 shown]
	s_sub_i32 s15, s10, s3
	s_delay_alu instid0(SALU_CYCLE_1)
	s_cmp_lt_i32 s15, 1
	s_cbranch_scc1 .LBB121_55
; %bb.5:                                ;   in Loop: Header=BB121_4 Depth=1
	v_lshlrev_b64 v[2:3], 4, v[12:13]
	v_mad_u64_u32 v[16:17], null, s18, v12, 0x100
	v_mul_lo_u32 v20, s18, v13
	v_mul_lo_u32 v21, s19, v12
	v_sub_co_u32 v18, s3, v12, v10
	s_delay_alu instid0(VALU_DEP_1) | instskip(SKIP_1) | instid1(VALU_DEP_1)
	v_sub_co_ci_u32_e64 v19, s3, v13, v11, s3
	v_add_co_u32 v2, s3, 0x100, v2
	v_add_co_ci_u32_e64 v3, s3, 0, v3, s3
	v_add3_u32 v17, v21, v17, v20
	v_mad_u64_u32 v[20:21], null, s26, v12, s[22:23]
	v_mul_lo_u32 v30, s26, v13
	v_mul_lo_u32 v31, s27, v12
	v_mul_lo_u32 v32, s20, v3
	v_mul_lo_u32 v33, s21, v2
	v_mad_u64_u32 v[22:23], null, s20, v2, s[16:17]
	v_mul_lo_u32 v3, s28, v3
	v_mul_lo_u32 v34, s29, v2
	v_mad_u64_u32 v[24:25], null, s28, v2, 0x100
	v_add_co_u32 v28, s3, v14, 16
	s_delay_alu instid0(VALU_DEP_1)
	v_add_co_ci_u32_e64 v29, s3, 0, v15, s3
	v_mov_b32_e32 v48, 0
	v_add3_u32 v21, v31, v21, v30
	v_add_co_u32 v30, s5, v18, 16
	v_mov_b32_e32 v49, 0
	v_add_co_ci_u32_e64 v31, s5, 0, v19, s5
	v_add3_u32 v23, v33, v23, v32
	v_add_co_u32 v32, s5, v18, -16
	v_lshlrev_b64 v[26:27], 4, v[10:11]
	v_add3_u32 v25, v34, v25, v3
	v_cmp_le_i64_e64 s4, s[10:11], v[28:29]
	v_dual_mov_b32 v35, v7 :: v_dual_mov_b32 v34, v6
	v_cmp_le_i32_e64 s3, s10, v14
	v_add_co_ci_u32_e64 v33, s5, -1, v19, s5
	v_dual_mov_b32 v51, v49 :: v_dual_mov_b32 v50, v48
	v_dual_mov_b32 v38, v48 :: v_dual_mov_b32 v39, v49
	;; [unrolled: 1-line block ×7, first 2 shown]
	s_mov_b64 s[30:31], 0
	s_branch .LBB121_7
.LBB121_6:                              ;   in Loop: Header=BB121_7 Depth=2
	s_or_b32 exec_lo, exec_lo, s5
	s_waitcnt lgkmcnt(0)
	s_waitcnt_vscnt null, 0x0
	s_barrier
	buffer_gl0_inv
	ds_load_b128 v[52:55], v57
	ds_load_b128 v[68:71], v57 offset:16
	ds_load_b128 v[72:75], v57 offset:32
	;; [unrolled: 1-line block ×3, first 2 shown]
	ds_load_b128 v[80:83], v59
	v_add_co_u32 v34, s5, v34, s12
	s_delay_alu instid0(VALU_DEP_1) | instskip(SKIP_1) | instid1(VALU_DEP_1)
	v_add_co_ci_u32_e64 v35, s5, s13, v35, s5
	v_add_co_u32 v20, s5, 0x200, v20
	v_add_co_ci_u32_e64 v21, s5, 0, v21, s5
	v_add_co_u32 v22, s5, 0x200, v22
	s_delay_alu instid0(VALU_DEP_1)
	v_add_co_ci_u32_e64 v23, s5, 0, v23, s5
	s_add_u32 s30, s30, 32
	s_addc_u32 s31, s31, 0
	s_cmp_ge_i32 s30, s15
	s_waitcnt lgkmcnt(0)
	v_mul_f64 v[2:3], v[54:55], v[82:83]
	v_mul_f64 v[84:85], v[52:53], v[82:83]
	s_delay_alu instid0(VALU_DEP_2) | instskip(NEXT) | instid1(VALU_DEP_2)
	v_fma_f64 v[2:3], v[52:53], v[80:81], -v[2:3]
	v_fma_f64 v[84:85], v[54:55], v[80:81], v[84:85]
	s_delay_alu instid0(VALU_DEP_2) | instskip(NEXT) | instid1(VALU_DEP_2)
	v_add_f64 v[2:3], v[44:45], v[2:3]
	v_add_f64 v[84:85], v[46:47], v[84:85]
	ds_load_b128 v[44:47], v67
	s_waitcnt lgkmcnt(0)
	v_mul_f64 v[86:87], v[54:55], v[46:47]
	s_delay_alu instid0(VALU_DEP_1) | instskip(SKIP_1) | instid1(VALU_DEP_1)
	v_fma_f64 v[86:87], v[52:53], v[44:45], -v[86:87]
	v_mul_f64 v[52:53], v[52:53], v[46:47]
	v_fma_f64 v[52:53], v[54:55], v[44:45], v[52:53]
	s_delay_alu instid0(VALU_DEP_3) | instskip(NEXT) | instid1(VALU_DEP_2)
	v_add_f64 v[54:55], v[40:41], v[86:87]
	v_add_f64 v[52:53], v[42:43], v[52:53]
	ds_load_b128 v[40:43], v57 offset:8192
	s_waitcnt lgkmcnt(0)
	v_mul_f64 v[86:87], v[42:43], v[82:83]
	v_mul_f64 v[82:83], v[40:41], v[82:83]
	s_delay_alu instid0(VALU_DEP_2) | instskip(NEXT) | instid1(VALU_DEP_2)
	v_fma_f64 v[86:87], v[40:41], v[80:81], -v[86:87]
	v_fma_f64 v[80:81], v[42:43], v[80:81], v[82:83]
	s_delay_alu instid0(VALU_DEP_2) | instskip(NEXT) | instid1(VALU_DEP_2)
	v_add_f64 v[82:83], v[36:37], v[86:87]
	v_add_f64 v[80:81], v[38:39], v[80:81]
	v_mul_f64 v[36:37], v[42:43], v[46:47]
	v_mul_f64 v[38:39], v[40:41], v[46:47]
	s_delay_alu instid0(VALU_DEP_2) | instskip(NEXT) | instid1(VALU_DEP_2)
	v_fma_f64 v[36:37], v[40:41], v[44:45], -v[36:37]
	v_fma_f64 v[38:39], v[42:43], v[44:45], v[38:39]
	s_delay_alu instid0(VALU_DEP_2) | instskip(NEXT) | instid1(VALU_DEP_2)
	v_add_f64 v[50:51], v[50:51], v[36:37]
	v_add_f64 v[48:49], v[48:49], v[38:39]
	ds_load_b128 v[36:39], v59 offset:512
	s_waitcnt lgkmcnt(0)
	v_mul_f64 v[40:41], v[70:71], v[38:39]
	v_mul_f64 v[42:43], v[68:69], v[38:39]
	s_delay_alu instid0(VALU_DEP_2) | instskip(NEXT) | instid1(VALU_DEP_2)
	v_fma_f64 v[40:41], v[68:69], v[36:37], -v[40:41]
	v_fma_f64 v[42:43], v[70:71], v[36:37], v[42:43]
	s_delay_alu instid0(VALU_DEP_2) | instskip(NEXT) | instid1(VALU_DEP_2)
	v_add_f64 v[2:3], v[2:3], v[40:41]
	v_add_f64 v[84:85], v[84:85], v[42:43]
	ds_load_b128 v[40:43], v67 offset:512
	s_waitcnt lgkmcnt(0)
	;; [unrolled: 10-line block ×3, first 2 shown]
	v_mul_f64 v[68:69], v[46:47], v[38:39]
	v_mul_f64 v[38:39], v[44:45], v[38:39]
	s_delay_alu instid0(VALU_DEP_2) | instskip(NEXT) | instid1(VALU_DEP_2)
	v_fma_f64 v[68:69], v[44:45], v[36:37], -v[68:69]
	v_fma_f64 v[36:37], v[46:47], v[36:37], v[38:39]
	v_mul_f64 v[38:39], v[44:45], v[42:43]
	s_delay_alu instid0(VALU_DEP_3) | instskip(NEXT) | instid1(VALU_DEP_3)
	v_add_f64 v[68:69], v[82:83], v[68:69]
	v_add_f64 v[70:71], v[80:81], v[36:37]
	v_mul_f64 v[36:37], v[46:47], v[42:43]
	s_delay_alu instid0(VALU_DEP_4) | instskip(NEXT) | instid1(VALU_DEP_2)
	v_fma_f64 v[38:39], v[46:47], v[40:41], v[38:39]
	v_fma_f64 v[36:37], v[44:45], v[40:41], -v[36:37]
	s_delay_alu instid0(VALU_DEP_2) | instskip(NEXT) | instid1(VALU_DEP_2)
	v_add_f64 v[48:49], v[48:49], v[38:39]
	v_add_f64 v[50:51], v[50:51], v[36:37]
	ds_load_b128 v[36:39], v59 offset:1024
	s_waitcnt lgkmcnt(0)
	v_mul_f64 v[40:41], v[74:75], v[38:39]
	v_mul_f64 v[42:43], v[72:73], v[38:39]
	s_delay_alu instid0(VALU_DEP_2) | instskip(NEXT) | instid1(VALU_DEP_2)
	v_fma_f64 v[40:41], v[72:73], v[36:37], -v[40:41]
	v_fma_f64 v[42:43], v[74:75], v[36:37], v[42:43]
	s_delay_alu instid0(VALU_DEP_2) | instskip(NEXT) | instid1(VALU_DEP_2)
	v_add_f64 v[2:3], v[2:3], v[40:41]
	v_add_f64 v[80:81], v[84:85], v[42:43]
	ds_load_b128 v[40:43], v67 offset:1024
	s_waitcnt lgkmcnt(0)
	v_mul_f64 v[44:45], v[74:75], v[42:43]
	v_mul_f64 v[46:47], v[72:73], v[42:43]
	s_delay_alu instid0(VALU_DEP_2) | instskip(NEXT) | instid1(VALU_DEP_2)
	v_fma_f64 v[44:45], v[72:73], v[40:41], -v[44:45]
	v_fma_f64 v[46:47], v[74:75], v[40:41], v[46:47]
	;; [unrolled: 10-line block ×3, first 2 shown]
	v_mul_f64 v[38:39], v[44:45], v[42:43]
	s_delay_alu instid0(VALU_DEP_3) | instskip(NEXT) | instid1(VALU_DEP_3)
	v_add_f64 v[68:69], v[68:69], v[72:73]
	v_add_f64 v[70:71], v[70:71], v[36:37]
	v_mul_f64 v[36:37], v[46:47], v[42:43]
	s_delay_alu instid0(VALU_DEP_4) | instskip(NEXT) | instid1(VALU_DEP_2)
	v_fma_f64 v[38:39], v[46:47], v[40:41], v[38:39]
	v_fma_f64 v[36:37], v[44:45], v[40:41], -v[36:37]
	s_delay_alu instid0(VALU_DEP_2) | instskip(NEXT) | instid1(VALU_DEP_2)
	v_add_f64 v[48:49], v[48:49], v[38:39]
	v_add_f64 v[50:51], v[50:51], v[36:37]
	ds_load_b128 v[36:39], v59 offset:1536
	s_waitcnt lgkmcnt(0)
	v_mul_f64 v[40:41], v[78:79], v[38:39]
	v_mul_f64 v[42:43], v[76:77], v[38:39]
	s_delay_alu instid0(VALU_DEP_2) | instskip(NEXT) | instid1(VALU_DEP_2)
	v_fma_f64 v[40:41], v[76:77], v[36:37], -v[40:41]
	v_fma_f64 v[42:43], v[78:79], v[36:37], v[42:43]
	s_delay_alu instid0(VALU_DEP_2) | instskip(NEXT) | instid1(VALU_DEP_2)
	v_add_f64 v[2:3], v[2:3], v[40:41]
	v_add_f64 v[72:73], v[80:81], v[42:43]
	ds_load_b128 v[40:43], v67 offset:1536
	s_waitcnt lgkmcnt(0)
	v_mul_f64 v[44:45], v[78:79], v[42:43]
	v_mul_f64 v[46:47], v[76:77], v[42:43]
	s_delay_alu instid0(VALU_DEP_2) | instskip(NEXT) | instid1(VALU_DEP_2)
	v_fma_f64 v[44:45], v[76:77], v[40:41], -v[44:45]
	v_fma_f64 v[46:47], v[78:79], v[40:41], v[46:47]
	;; [unrolled: 10-line block ×3, first 2 shown]
	v_mul_f64 v[38:39], v[44:45], v[42:43]
	s_delay_alu instid0(VALU_DEP_3) | instskip(NEXT) | instid1(VALU_DEP_3)
	v_add_f64 v[68:69], v[68:69], v[74:75]
	v_add_f64 v[70:71], v[70:71], v[36:37]
	v_mul_f64 v[36:37], v[46:47], v[42:43]
	s_delay_alu instid0(VALU_DEP_4) | instskip(NEXT) | instid1(VALU_DEP_2)
	v_fma_f64 v[38:39], v[46:47], v[40:41], v[38:39]
	v_fma_f64 v[36:37], v[44:45], v[40:41], -v[36:37]
	s_delay_alu instid0(VALU_DEP_2) | instskip(NEXT) | instid1(VALU_DEP_2)
	v_add_f64 v[48:49], v[48:49], v[38:39]
	v_add_f64 v[50:51], v[50:51], v[36:37]
	ds_load_b128 v[36:39], v57 offset:64
	ds_load_b128 v[40:43], v59 offset:2048
	s_waitcnt lgkmcnt(0)
	v_mul_f64 v[44:45], v[38:39], v[42:43]
	v_mul_f64 v[46:47], v[36:37], v[42:43]
	s_delay_alu instid0(VALU_DEP_2) | instskip(NEXT) | instid1(VALU_DEP_2)
	v_fma_f64 v[44:45], v[36:37], v[40:41], -v[44:45]
	v_fma_f64 v[46:47], v[38:39], v[40:41], v[46:47]
	s_delay_alu instid0(VALU_DEP_2) | instskip(NEXT) | instid1(VALU_DEP_2)
	v_add_f64 v[2:3], v[2:3], v[44:45]
	v_add_f64 v[72:73], v[72:73], v[46:47]
	ds_load_b128 v[44:47], v67 offset:2048
	s_waitcnt lgkmcnt(0)
	v_mul_f64 v[74:75], v[38:39], v[46:47]
	s_delay_alu instid0(VALU_DEP_1) | instskip(SKIP_1) | instid1(VALU_DEP_2)
	v_fma_f64 v[74:75], v[36:37], v[44:45], -v[74:75]
	v_mul_f64 v[36:37], v[36:37], v[46:47]
	v_add_f64 v[54:55], v[54:55], v[74:75]
	s_delay_alu instid0(VALU_DEP_2) | instskip(NEXT) | instid1(VALU_DEP_1)
	v_fma_f64 v[36:37], v[38:39], v[44:45], v[36:37]
	v_add_f64 v[52:53], v[52:53], v[36:37]
	ds_load_b128 v[36:39], v57 offset:8256
	s_waitcnt lgkmcnt(0)
	v_mul_f64 v[74:75], v[38:39], v[42:43]
	v_mul_f64 v[42:43], v[36:37], v[42:43]
	s_delay_alu instid0(VALU_DEP_2) | instskip(NEXT) | instid1(VALU_DEP_2)
	v_fma_f64 v[74:75], v[36:37], v[40:41], -v[74:75]
	v_fma_f64 v[40:41], v[38:39], v[40:41], v[42:43]
	s_delay_alu instid0(VALU_DEP_2) | instskip(NEXT) | instid1(VALU_DEP_2)
	v_add_f64 v[68:69], v[68:69], v[74:75]
	v_add_f64 v[70:71], v[70:71], v[40:41]
	v_mul_f64 v[40:41], v[38:39], v[46:47]
	s_delay_alu instid0(VALU_DEP_1) | instskip(SKIP_1) | instid1(VALU_DEP_2)
	v_fma_f64 v[40:41], v[36:37], v[44:45], -v[40:41]
	v_mul_f64 v[36:37], v[36:37], v[46:47]
	v_add_f64 v[50:51], v[50:51], v[40:41]
	s_delay_alu instid0(VALU_DEP_2) | instskip(NEXT) | instid1(VALU_DEP_1)
	v_fma_f64 v[36:37], v[38:39], v[44:45], v[36:37]
	v_add_f64 v[48:49], v[48:49], v[36:37]
	ds_load_b128 v[36:39], v57 offset:80
	ds_load_b128 v[40:43], v59 offset:2560
	s_waitcnt lgkmcnt(0)
	v_mul_f64 v[44:45], v[38:39], v[42:43]
	v_mul_f64 v[46:47], v[36:37], v[42:43]
	s_delay_alu instid0(VALU_DEP_2) | instskip(NEXT) | instid1(VALU_DEP_2)
	v_fma_f64 v[44:45], v[36:37], v[40:41], -v[44:45]
	v_fma_f64 v[46:47], v[38:39], v[40:41], v[46:47]
	s_delay_alu instid0(VALU_DEP_2) | instskip(NEXT) | instid1(VALU_DEP_2)
	v_add_f64 v[2:3], v[2:3], v[44:45]
	v_add_f64 v[72:73], v[72:73], v[46:47]
	ds_load_b128 v[44:47], v67 offset:2560
	s_waitcnt lgkmcnt(0)
	v_mul_f64 v[74:75], v[38:39], v[46:47]
	s_delay_alu instid0(VALU_DEP_1) | instskip(SKIP_1) | instid1(VALU_DEP_2)
	v_fma_f64 v[74:75], v[36:37], v[44:45], -v[74:75]
	v_mul_f64 v[36:37], v[36:37], v[46:47]
	v_add_f64 v[54:55], v[54:55], v[74:75]
	s_delay_alu instid0(VALU_DEP_2) | instskip(NEXT) | instid1(VALU_DEP_1)
	v_fma_f64 v[36:37], v[38:39], v[44:45], v[36:37]
	v_add_f64 v[52:53], v[52:53], v[36:37]
	ds_load_b128 v[36:39], v57 offset:8272
	s_waitcnt lgkmcnt(0)
	v_mul_f64 v[74:75], v[38:39], v[42:43]
	v_mul_f64 v[42:43], v[36:37], v[42:43]
	s_delay_alu instid0(VALU_DEP_2) | instskip(NEXT) | instid1(VALU_DEP_2)
	v_fma_f64 v[74:75], v[36:37], v[40:41], -v[74:75]
	v_fma_f64 v[40:41], v[38:39], v[40:41], v[42:43]
	s_delay_alu instid0(VALU_DEP_2) | instskip(NEXT) | instid1(VALU_DEP_2)
	v_add_f64 v[68:69], v[68:69], v[74:75]
	v_add_f64 v[70:71], v[70:71], v[40:41]
	v_mul_f64 v[40:41], v[38:39], v[46:47]
	s_delay_alu instid0(VALU_DEP_1) | instskip(SKIP_1) | instid1(VALU_DEP_2)
	v_fma_f64 v[40:41], v[36:37], v[44:45], -v[40:41]
	v_mul_f64 v[36:37], v[36:37], v[46:47]
	v_add_f64 v[50:51], v[50:51], v[40:41]
	s_delay_alu instid0(VALU_DEP_2) | instskip(NEXT) | instid1(VALU_DEP_1)
	v_fma_f64 v[36:37], v[38:39], v[44:45], v[36:37]
	;; [unrolled: 39-line block ×26, first 2 shown]
	v_add_f64 v[48:49], v[48:49], v[36:37]
	ds_load_b128 v[36:39], v57 offset:480
	ds_load_b128 v[40:43], v59 offset:15360
	s_waitcnt lgkmcnt(0)
	v_mul_f64 v[44:45], v[38:39], v[42:43]
	v_mul_f64 v[46:47], v[36:37], v[42:43]
	s_delay_alu instid0(VALU_DEP_2) | instskip(NEXT) | instid1(VALU_DEP_2)
	v_fma_f64 v[44:45], v[36:37], v[40:41], -v[44:45]
	v_fma_f64 v[46:47], v[38:39], v[40:41], v[46:47]
	s_delay_alu instid0(VALU_DEP_2) | instskip(NEXT) | instid1(VALU_DEP_2)
	v_add_f64 v[74:75], v[2:3], v[44:45]
	v_add_f64 v[72:73], v[72:73], v[46:47]
	ds_load_b128 v[44:47], v67 offset:15360
	s_waitcnt lgkmcnt(0)
	v_mul_f64 v[2:3], v[38:39], v[46:47]
	s_delay_alu instid0(VALU_DEP_1) | instskip(SKIP_1) | instid1(VALU_DEP_2)
	v_fma_f64 v[2:3], v[36:37], v[44:45], -v[2:3]
	v_mul_f64 v[36:37], v[36:37], v[46:47]
	v_add_f64 v[54:55], v[54:55], v[2:3]
	s_delay_alu instid0(VALU_DEP_2) | instskip(NEXT) | instid1(VALU_DEP_1)
	v_fma_f64 v[36:37], v[38:39], v[44:45], v[36:37]
	v_add_f64 v[76:77], v[52:53], v[36:37]
	ds_load_b128 v[36:39], v57 offset:8672
	s_waitcnt lgkmcnt(0)
	v_mul_f64 v[2:3], v[38:39], v[42:43]
	v_mul_f64 v[42:43], v[36:37], v[42:43]
	s_delay_alu instid0(VALU_DEP_2) | instskip(NEXT) | instid1(VALU_DEP_2)
	v_fma_f64 v[2:3], v[36:37], v[40:41], -v[2:3]
	v_fma_f64 v[40:41], v[38:39], v[40:41], v[42:43]
	s_delay_alu instid0(VALU_DEP_2) | instskip(SKIP_1) | instid1(VALU_DEP_3)
	v_add_f64 v[78:79], v[68:69], v[2:3]
	v_mul_f64 v[2:3], v[38:39], v[46:47]
	v_add_f64 v[80:81], v[70:71], v[40:41]
	s_delay_alu instid0(VALU_DEP_2) | instskip(SKIP_1) | instid1(VALU_DEP_2)
	v_fma_f64 v[2:3], v[36:37], v[44:45], -v[2:3]
	v_mul_f64 v[36:37], v[36:37], v[46:47]
	v_add_f64 v[2:3], v[50:51], v[2:3]
	s_delay_alu instid0(VALU_DEP_2) | instskip(NEXT) | instid1(VALU_DEP_1)
	v_fma_f64 v[36:37], v[38:39], v[44:45], v[36:37]
	v_add_f64 v[48:49], v[48:49], v[36:37]
	ds_load_b128 v[36:39], v57 offset:496
	ds_load_b128 v[50:53], v59 offset:15872
	;; [unrolled: 1-line block ×3, first 2 shown]
	s_waitcnt lgkmcnt(1)
	v_mul_f64 v[40:41], v[38:39], v[52:53]
	v_mul_f64 v[42:43], v[36:37], v[52:53]
	s_delay_alu instid0(VALU_DEP_2) | instskip(NEXT) | instid1(VALU_DEP_2)
	v_fma_f64 v[40:41], v[36:37], v[50:51], -v[40:41]
	v_fma_f64 v[42:43], v[38:39], v[50:51], v[42:43]
	s_delay_alu instid0(VALU_DEP_2) | instskip(NEXT) | instid1(VALU_DEP_2)
	v_add_f64 v[44:45], v[74:75], v[40:41]
	v_add_f64 v[46:47], v[72:73], v[42:43]
	ds_load_b128 v[72:75], v57 offset:8688
	s_waitcnt lgkmcnt(1)
	v_mul_f64 v[40:41], v[38:39], v[70:71]
	s_waitcnt lgkmcnt(0)
	s_barrier
	buffer_gl0_inv
	v_fma_f64 v[40:41], v[36:37], v[68:69], -v[40:41]
	v_mul_f64 v[36:37], v[36:37], v[70:71]
	s_delay_alu instid0(VALU_DEP_2) | instskip(NEXT) | instid1(VALU_DEP_2)
	v_add_f64 v[40:41], v[54:55], v[40:41]
	v_fma_f64 v[36:37], v[38:39], v[68:69], v[36:37]
	v_mul_f64 v[38:39], v[72:73], v[52:53]
	s_delay_alu instid0(VALU_DEP_2) | instskip(SKIP_1) | instid1(VALU_DEP_3)
	v_add_f64 v[42:43], v[76:77], v[36:37]
	v_mul_f64 v[36:37], v[74:75], v[52:53]
	v_fma_f64 v[38:39], v[74:75], v[50:51], v[38:39]
	v_mul_f64 v[52:53], v[72:73], v[70:71]
	s_delay_alu instid0(VALU_DEP_3) | instskip(SKIP_1) | instid1(VALU_DEP_3)
	v_fma_f64 v[36:37], v[72:73], v[50:51], -v[36:37]
	v_mul_f64 v[50:51], v[74:75], v[70:71]
	v_fma_f64 v[52:53], v[74:75], v[68:69], v[52:53]
	v_add_f64 v[38:39], v[80:81], v[38:39]
	s_delay_alu instid0(VALU_DEP_4) | instskip(NEXT) | instid1(VALU_DEP_4)
	v_add_f64 v[36:37], v[78:79], v[36:37]
	v_fma_f64 v[50:51], v[72:73], v[68:69], -v[50:51]
	s_delay_alu instid0(VALU_DEP_4) | instskip(NEXT) | instid1(VALU_DEP_2)
	v_add_f64 v[48:49], v[48:49], v[52:53]
	v_add_f64 v[50:51], v[2:3], v[50:51]
	s_cbranch_scc1 .LBB121_55
.LBB121_7:                              ;   Parent Loop BB121_4 Depth=1
                                        ; =>  This Inner Loop Header: Depth=2
	v_add_co_u32 v52, s5, v10, s30
	s_delay_alu instid0(VALU_DEP_1) | instskip(SKIP_1) | instid1(VALU_DEP_2)
	v_add_co_ci_u32_e64 v53, s5, s31, v11, s5
	v_cmp_eq_u64_e64 s7, s[30:31], v[18:19]
	v_cmp_lt_i64_e64 s5, v[52:53], v[14:15]
	v_cmp_le_i64_e64 s6, s[10:11], v[52:53]
	s_delay_alu instid0(VALU_DEP_3) | instskip(SKIP_1) | instid1(VALU_DEP_3)
	s_and_b32 s42, s36, s7
	v_add_co_u32 v54, s7, v20, v26
	s_or_b32 s8, s3, s5
	v_add_co_ci_u32_e64 v55, s7, v21, v27, s7
	s_delay_alu instid0(VALU_DEP_3) | instskip(NEXT) | instid1(SALU_CYCLE_1)
	s_or_b32 s8, s6, s8
	s_or_b32 s7, s8, s42
	s_delay_alu instid0(SALU_CYCLE_1) | instskip(NEXT) | instid1(SALU_CYCLE_1)
	s_xor_b32 s7, s7, -1
	s_and_saveexec_b32 s8, s7
	s_delay_alu instid0(SALU_CYCLE_1)
	s_xor_b32 s7, exec_lo, s8
	s_cbranch_execz .LBB121_9
; %bb.8:                                ;   in Loop: Header=BB121_7 Depth=2
	global_load_b128 v[68:71], v[54:55], off offset:-256
	s_waitcnt vmcnt(0)
	ds_store_2addr_b64 v58, v[68:69], v[70:71] offset1:1
.LBB121_9:                              ;   in Loop: Header=BB121_7 Depth=2
	s_or_saveexec_b32 s7, s7
	s_xor_b32 s39, s42, -1
	s_xor_b32 exec_lo, exec_lo, s7
	s_cbranch_execz .LBB121_15
; %bb.10:                               ;   in Loop: Header=BB121_7 Depth=2
	s_and_saveexec_b32 s8, s39
	s_delay_alu instid0(SALU_CYCLE_1)
	s_xor_b32 s8, exec_lo, s8
	s_cbranch_execz .LBB121_12
; %bb.11:                               ;   in Loop: Header=BB121_7 Depth=2
	v_mov_b32_e32 v68, v0
	v_mov_b32_e32 v69, v0
	;; [unrolled: 1-line block ×4, first 2 shown]
	ds_store_b128 v58, v[68:71]
.LBB121_12:                             ;   in Loop: Header=BB121_7 Depth=2
	s_and_not1_saveexec_b32 s8, s8
	s_cbranch_execz .LBB121_14
; %bb.13:                               ;   in Loop: Header=BB121_7 Depth=2
	v_mov_b32_e32 v2, v0
	v_mov_b32_e32 v3, v0
	ds_store_b128 v58, v[0:3]
.LBB121_14:                             ;   in Loop: Header=BB121_7 Depth=2
	s_or_b32 exec_lo, exec_lo, s8
.LBB121_15:                             ;   in Loop: Header=BB121_7 Depth=2
	s_delay_alu instid0(SALU_CYCLE_1) | instskip(SKIP_1) | instid1(VALU_DEP_1)
	s_or_b32 exec_lo, exec_lo, s7
	v_add_co_u32 v2, s7, v52, 16
	v_add_co_ci_u32_e64 v3, s7, 0, v53, s7
	v_cmp_eq_u64_e64 s9, s[30:31], v[32:33]
	s_delay_alu instid0(VALU_DEP_2) | instskip(SKIP_1) | instid1(VALU_DEP_3)
	v_cmp_lt_i64_e64 s8, v[2:3], v[14:15]
	v_cmp_le_i64_e64 s7, s[10:11], v[2:3]
	s_and_b32 s9, s36, s9
	s_delay_alu instid0(VALU_DEP_2)
	s_or_b32 s8, s3, s8
	s_delay_alu instid0(VALU_DEP_1) | instid1(SALU_CYCLE_1)
	s_or_b32 s8, s7, s8
	s_delay_alu instid0(SALU_CYCLE_1) | instskip(NEXT) | instid1(SALU_CYCLE_1)
	s_or_b32 s8, s8, s9
	s_xor_b32 s8, s8, -1
	s_delay_alu instid0(SALU_CYCLE_1) | instskip(NEXT) | instid1(SALU_CYCLE_1)
	s_and_saveexec_b32 s43, s8
	s_xor_b32 s8, exec_lo, s43
	s_cbranch_execz .LBB121_17
; %bb.16:                               ;   in Loop: Header=BB121_7 Depth=2
	global_load_b128 v[68:71], v[54:55], off
	s_waitcnt vmcnt(0)
	ds_store_2addr_b64 v60, v[68:69], v[70:71] offset1:1
.LBB121_17:                             ;   in Loop: Header=BB121_7 Depth=2
	s_and_not1_saveexec_b32 s8, s8
	s_cbranch_execz .LBB121_23
; %bb.18:                               ;   in Loop: Header=BB121_7 Depth=2
	s_xor_b32 s9, s9, -1
	s_delay_alu instid0(SALU_CYCLE_1) | instskip(NEXT) | instid1(SALU_CYCLE_1)
	s_and_saveexec_b32 s43, s9
	s_xor_b32 s9, exec_lo, s43
	s_cbranch_execz .LBB121_20
; %bb.19:                               ;   in Loop: Header=BB121_7 Depth=2
	v_mov_b32_e32 v68, v0
	v_mov_b32_e32 v69, v0
	;; [unrolled: 1-line block ×4, first 2 shown]
	ds_store_b128 v60, v[68:71]
.LBB121_20:                             ;   in Loop: Header=BB121_7 Depth=2
	s_and_not1_saveexec_b32 s9, s9
	s_cbranch_execz .LBB121_22
; %bb.21:                               ;   in Loop: Header=BB121_7 Depth=2
	v_mov_b32_e32 v2, v0
	v_mov_b32_e32 v3, v0
	ds_store_b128 v60, v[0:3]
.LBB121_22:                             ;   in Loop: Header=BB121_7 Depth=2
	s_or_b32 exec_lo, exec_lo, s9
.LBB121_23:                             ;   in Loop: Header=BB121_7 Depth=2
	s_delay_alu instid0(SALU_CYCLE_1) | instskip(SKIP_2) | instid1(VALU_DEP_2)
	s_or_b32 exec_lo, exec_lo, s8
	v_cmp_eq_u64_e64 s8, s[30:31], v[30:31]
	v_cmp_lt_i64_e64 s9, v[52:53], v[28:29]
	s_and_b32 s8, s36, s8
	s_delay_alu instid0(VALU_DEP_1) | instskip(NEXT) | instid1(SALU_CYCLE_1)
	s_or_b32 s9, s4, s9
	s_or_b32 s9, s9, s8
	s_delay_alu instid0(SALU_CYCLE_1) | instskip(NEXT) | instid1(SALU_CYCLE_1)
	s_or_b32 s6, s6, s9
	s_xor_b32 s6, s6, -1
	s_delay_alu instid0(SALU_CYCLE_1) | instskip(NEXT) | instid1(SALU_CYCLE_1)
	s_and_saveexec_b32 s9, s6
	s_xor_b32 s9, exec_lo, s9
	s_cbranch_execz .LBB121_25
; %bb.24:                               ;   in Loop: Header=BB121_7 Depth=2
	v_add_co_u32 v2, s6, v22, v26
	s_delay_alu instid0(VALU_DEP_1)
	v_add_co_ci_u32_e64 v3, s6, v23, v27, s6
	global_load_b128 v[52:55], v[2:3], off
	s_waitcnt vmcnt(0)
	ds_store_2addr_b64 v62, v[52:53], v[54:55] offset1:1
.LBB121_25:                             ;   in Loop: Header=BB121_7 Depth=2
	s_and_not1_saveexec_b32 s6, s9
	s_cbranch_execz .LBB121_31
; %bb.26:                               ;   in Loop: Header=BB121_7 Depth=2
	s_xor_b32 s8, s8, -1
	s_delay_alu instid0(SALU_CYCLE_1) | instskip(NEXT) | instid1(SALU_CYCLE_1)
	s_and_saveexec_b32 s9, s8
	s_xor_b32 s8, exec_lo, s9
	s_cbranch_execz .LBB121_28
; %bb.27:                               ;   in Loop: Header=BB121_7 Depth=2
	v_mov_b32_e32 v52, v0
	v_mov_b32_e32 v53, v0
	;; [unrolled: 1-line block ×4, first 2 shown]
	ds_store_b128 v62, v[52:55]
.LBB121_28:                             ;   in Loop: Header=BB121_7 Depth=2
	s_and_not1_saveexec_b32 s8, s8
	s_cbranch_execz .LBB121_30
; %bb.29:                               ;   in Loop: Header=BB121_7 Depth=2
	v_mov_b32_e32 v2, v0
	v_mov_b32_e32 v3, v0
	ds_store_b128 v62, v[0:3]
.LBB121_30:                             ;   in Loop: Header=BB121_7 Depth=2
	s_or_b32 exec_lo, exec_lo, s8
.LBB121_31:                             ;   in Loop: Header=BB121_7 Depth=2
	s_delay_alu instid0(SALU_CYCLE_1) | instskip(SKIP_1) | instid1(SALU_CYCLE_1)
	s_or_b32 exec_lo, exec_lo, s6
	s_or_b32 s5, s4, s5
	s_or_b32 s5, s7, s5
	s_delay_alu instid0(SALU_CYCLE_1) | instskip(NEXT) | instid1(SALU_CYCLE_1)
	s_or_b32 s5, s5, s42
	s_xor_b32 s5, s5, -1
	s_delay_alu instid0(SALU_CYCLE_1) | instskip(NEXT) | instid1(SALU_CYCLE_1)
	s_and_saveexec_b32 s6, s5
	s_xor_b32 s6, exec_lo, s6
	s_cbranch_execz .LBB121_33
; %bb.32:                               ;   in Loop: Header=BB121_7 Depth=2
	v_add_co_u32 v2, s5, v22, v26
	s_delay_alu instid0(VALU_DEP_1)
	v_add_co_ci_u32_e64 v3, s5, v23, v27, s5
	global_load_b128 v[52:55], v[2:3], off offset:256
	s_waitcnt vmcnt(0)
	ds_store_2addr_b64 v63, v[52:53], v[54:55] offset1:1
.LBB121_33:                             ;   in Loop: Header=BB121_7 Depth=2
	s_and_not1_saveexec_b32 s5, s6
	s_cbranch_execz .LBB121_39
; %bb.34:                               ;   in Loop: Header=BB121_7 Depth=2
	s_and_saveexec_b32 s6, s39
	s_delay_alu instid0(SALU_CYCLE_1)
	s_xor_b32 s6, exec_lo, s6
	s_cbranch_execz .LBB121_36
; %bb.35:                               ;   in Loop: Header=BB121_7 Depth=2
	v_mov_b32_e32 v52, v0
	v_mov_b32_e32 v53, v0
	;; [unrolled: 1-line block ×4, first 2 shown]
	ds_store_b128 v63, v[52:55]
.LBB121_36:                             ;   in Loop: Header=BB121_7 Depth=2
	s_and_not1_saveexec_b32 s6, s6
	s_cbranch_execz .LBB121_38
; %bb.37:                               ;   in Loop: Header=BB121_7 Depth=2
	v_mov_b32_e32 v2, v0
	v_mov_b32_e32 v3, v0
	ds_store_b128 v63, v[0:3]
.LBB121_38:                             ;   in Loop: Header=BB121_7 Depth=2
	s_or_b32 exec_lo, exec_lo, s6
.LBB121_39:                             ;   in Loop: Header=BB121_7 Depth=2
	s_delay_alu instid0(SALU_CYCLE_1) | instskip(SKIP_1) | instid1(VALU_DEP_1)
	s_or_b32 exec_lo, exec_lo, s5
	v_add_co_u32 v2, s5, v12, s30
	v_add_co_ci_u32_e64 v3, s5, s31, v13, s5
	v_add_co_u32 v52, s6, v34, v16
	s_delay_alu instid0(VALU_DEP_1) | instskip(NEXT) | instid1(VALU_DEP_3)
	v_add_co_ci_u32_e64 v53, s6, v35, v17, s6
	v_cmp_le_i64_e64 s5, s[10:11], v[2:3]
	s_delay_alu instid0(VALU_DEP_1) | instskip(NEXT) | instid1(SALU_CYCLE_1)
	s_or_b32 s6, s5, vcc_lo
	s_xor_b32 s6, s6, -1
	s_delay_alu instid0(SALU_CYCLE_1) | instskip(NEXT) | instid1(SALU_CYCLE_1)
	s_and_saveexec_b32 s7, s6
	s_xor_b32 s6, exec_lo, s7
	s_cbranch_execz .LBB121_41
; %bb.40:                               ;   in Loop: Header=BB121_7 Depth=2
	global_load_b128 v[68:71], v[52:53], off offset:-256
	s_waitcnt vmcnt(0)
	ds_store_2addr_b64 v61, v[68:69], v[70:71] offset1:1
.LBB121_41:                             ;   in Loop: Header=BB121_7 Depth=2
	s_and_not1_saveexec_b32 s6, s6
	s_cbranch_execz .LBB121_43
; %bb.42:                               ;   in Loop: Header=BB121_7 Depth=2
	v_mov_b32_e32 v68, v0
	v_mov_b32_e32 v69, v0
	;; [unrolled: 1-line block ×4, first 2 shown]
	ds_store_b128 v61, v[68:71]
.LBB121_43:                             ;   in Loop: Header=BB121_7 Depth=2
	s_or_b32 exec_lo, exec_lo, s6
	s_or_b32 s5, s5, s0
	s_delay_alu instid0(SALU_CYCLE_1) | instskip(NEXT) | instid1(SALU_CYCLE_1)
	s_xor_b32 s5, s5, -1
	s_and_saveexec_b32 s6, s5
	s_delay_alu instid0(SALU_CYCLE_1)
	s_xor_b32 s5, exec_lo, s6
	s_cbranch_execz .LBB121_45
; %bb.44:                               ;   in Loop: Header=BB121_7 Depth=2
	global_load_b128 v[52:55], v[52:53], off
	s_waitcnt vmcnt(0)
	ds_store_2addr_b64 v64, v[52:53], v[54:55] offset1:1
.LBB121_45:                             ;   in Loop: Header=BB121_7 Depth=2
	s_and_not1_saveexec_b32 s5, s5
	s_cbranch_execz .LBB121_47
; %bb.46:                               ;   in Loop: Header=BB121_7 Depth=2
	v_mov_b32_e32 v52, v0
	v_mov_b32_e32 v53, v0
	;; [unrolled: 1-line block ×4, first 2 shown]
	ds_store_b128 v64, v[52:55]
.LBB121_47:                             ;   in Loop: Header=BB121_7 Depth=2
	s_or_b32 exec_lo, exec_lo, s5
	v_cmp_le_i64_e64 s5, s[24:25], v[2:3]
	s_delay_alu instid0(VALU_DEP_1) | instskip(NEXT) | instid1(SALU_CYCLE_1)
	s_or_b32 s6, s5, vcc_lo
	s_xor_b32 s6, s6, -1
	s_delay_alu instid0(SALU_CYCLE_1) | instskip(NEXT) | instid1(SALU_CYCLE_1)
	s_and_saveexec_b32 s7, s6
	s_xor_b32 s7, exec_lo, s7
	s_cbranch_execz .LBB121_49
; %bb.48:                               ;   in Loop: Header=BB121_7 Depth=2
	v_add_co_u32 v2, s6, v34, v24
	s_delay_alu instid0(VALU_DEP_1)
	v_add_co_ci_u32_e64 v3, s6, v35, v25, s6
	global_load_b128 v[52:55], v[2:3], off offset:-256
	s_waitcnt vmcnt(0)
	ds_store_2addr_b64 v65, v[52:53], v[54:55] offset1:1
.LBB121_49:                             ;   in Loop: Header=BB121_7 Depth=2
	s_and_not1_saveexec_b32 s6, s7
	s_cbranch_execz .LBB121_51
; %bb.50:                               ;   in Loop: Header=BB121_7 Depth=2
	v_mov_b32_e32 v52, v0
	v_mov_b32_e32 v53, v0
	;; [unrolled: 1-line block ×4, first 2 shown]
	ds_store_b128 v65, v[52:55]
.LBB121_51:                             ;   in Loop: Header=BB121_7 Depth=2
	s_or_b32 exec_lo, exec_lo, s6
	s_or_b32 s5, s5, s0
	s_delay_alu instid0(SALU_CYCLE_1) | instskip(NEXT) | instid1(SALU_CYCLE_1)
	s_xor_b32 s5, s5, -1
	s_and_saveexec_b32 s6, s5
	s_delay_alu instid0(SALU_CYCLE_1)
	s_xor_b32 s6, exec_lo, s6
	s_cbranch_execz .LBB121_53
; %bb.52:                               ;   in Loop: Header=BB121_7 Depth=2
	v_add_co_u32 v2, s5, v34, v24
	s_delay_alu instid0(VALU_DEP_1)
	v_add_co_ci_u32_e64 v3, s5, v35, v25, s5
	global_load_b128 v[52:55], v[2:3], off
	s_waitcnt vmcnt(0)
	ds_store_2addr_b64 v66, v[52:53], v[54:55] offset1:1
.LBB121_53:                             ;   in Loop: Header=BB121_7 Depth=2
	s_and_not1_saveexec_b32 s5, s6
	s_cbranch_execz .LBB121_6
; %bb.54:                               ;   in Loop: Header=BB121_7 Depth=2
	v_mov_b32_e32 v52, v0
	v_mov_b32_e32 v53, v0
	;; [unrolled: 1-line block ×4, first 2 shown]
	ds_store_b128 v66, v[52:55]
	s_branch .LBB121_6
.LBB121_55:                             ;   in Loop: Header=BB121_4 Depth=1
	v_mul_lo_u32 v11, v15, s40
	v_mul_lo_u32 v13, v14, s41
	v_mad_u64_u32 v[2:3], null, v14, s40, 0
	v_cmp_gt_i32_e64 s3, s10, v14
	s_delay_alu instid0(VALU_DEP_2) | instskip(NEXT) | instid1(VALU_DEP_1)
	v_add3_u32 v3, v3, v13, v11
	v_lshlrev_b64 v[2:3], 4, v[2:3]
	s_delay_alu instid0(VALU_DEP_1) | instskip(NEXT) | instid1(VALU_DEP_1)
	v_add_co_u32 v2, s4, s34, v2
	v_add_co_ci_u32_e64 v3, s4, s35, v3, s4
	s_and_b32 s4, s1, s3
	s_delay_alu instid0(SALU_CYCLE_1)
	s_and_saveexec_b32 s5, s4
	s_cbranch_execz .LBB121_57
; %bb.56:                               ;   in Loop: Header=BB121_4 Depth=1
	v_add_co_u32 v19, s4, v2, v4
	s_delay_alu instid0(VALU_DEP_1)
	v_add_co_ci_u32_e64 v20, s4, v3, v5, s4
	v_mul_f64 v[21:22], s[46:47], v[46:47]
	v_mul_f64 v[23:24], s[44:45], v[46:47]
	global_load_b128 v[15:18], v[19:20], off
	v_fma_f64 v[21:22], s[44:45], v[44:45], -v[21:22]
	v_fma_f64 v[23:24], s[46:47], v[44:45], v[23:24]
	s_waitcnt vmcnt(0)
	s_delay_alu instid0(VALU_DEP_2) | instskip(NEXT) | instid1(VALU_DEP_2)
	v_add_f64 v[15:16], v[15:16], v[21:22]
	v_add_f64 v[17:18], v[17:18], v[23:24]
	global_store_b128 v[19:20], v[15:18], off
.LBB121_57:                             ;   in Loop: Header=BB121_4 Depth=1
	s_or_b32 exec_lo, exec_lo, s5
	s_and_b32 s3, s2, s3
	s_delay_alu instid0(SALU_CYCLE_1)
	s_and_saveexec_b32 s4, s3
	s_cbranch_execz .LBB121_59
; %bb.58:                               ;   in Loop: Header=BB121_4 Depth=1
	v_lshlrev_b64 v[15:16], 4, v[8:9]
	v_mul_f64 v[19:20], s[46:47], v[42:43]
	v_mul_f64 v[21:22], s[44:45], v[42:43]
	s_delay_alu instid0(VALU_DEP_3) | instskip(NEXT) | instid1(VALU_DEP_1)
	v_add_co_u32 v2, s3, v2, v15
	v_add_co_ci_u32_e64 v3, s3, v3, v16, s3
	global_load_b128 v[15:18], v[2:3], off
	v_fma_f64 v[19:20], s[44:45], v[40:41], -v[19:20]
	v_fma_f64 v[21:22], s[46:47], v[40:41], v[21:22]
	s_waitcnt vmcnt(0)
	s_delay_alu instid0(VALU_DEP_2) | instskip(NEXT) | instid1(VALU_DEP_2)
	v_add_f64 v[15:16], v[15:16], v[19:20]
	v_add_f64 v[17:18], v[17:18], v[21:22]
	global_store_b128 v[2:3], v[15:18], off
.LBB121_59:                             ;   in Loop: Header=BB121_4 Depth=1
	s_or_b32 exec_lo, exec_lo, s4
	v_add_nc_u32_e32 v11, 16, v14
	s_delay_alu instid0(VALU_DEP_1) | instskip(SKIP_3) | instid1(VALU_DEP_4)
	v_ashrrev_i32_e32 v13, 31, v11
	v_mul_lo_u32 v14, v11, s41
	v_mad_u64_u32 v[2:3], null, v11, s40, 0
	v_cmp_gt_i32_e64 s3, s10, v11
	v_mul_lo_u32 v13, v13, s40
	s_delay_alu instid0(VALU_DEP_1) | instskip(NEXT) | instid1(VALU_DEP_1)
	v_add3_u32 v3, v3, v14, v13
	v_lshlrev_b64 v[2:3], 4, v[2:3]
	s_delay_alu instid0(VALU_DEP_1) | instskip(NEXT) | instid1(VALU_DEP_1)
	v_add_co_u32 v2, s4, s34, v2
	v_add_co_ci_u32_e64 v3, s4, s35, v3, s4
	s_and_b32 s4, s1, s3
	s_delay_alu instid0(SALU_CYCLE_1)
	s_and_saveexec_b32 s5, s4
	s_cbranch_execz .LBB121_61
; %bb.60:                               ;   in Loop: Header=BB121_4 Depth=1
	v_add_co_u32 v17, s4, v2, v4
	s_delay_alu instid0(VALU_DEP_1)
	v_add_co_ci_u32_e64 v18, s4, v3, v5, s4
	v_mul_f64 v[19:20], s[46:47], v[38:39]
	v_mul_f64 v[21:22], s[44:45], v[38:39]
	global_load_b128 v[13:16], v[17:18], off
	v_fma_f64 v[19:20], s[44:45], v[36:37], -v[19:20]
	v_fma_f64 v[21:22], s[46:47], v[36:37], v[21:22]
	s_waitcnt vmcnt(0)
	s_delay_alu instid0(VALU_DEP_2) | instskip(NEXT) | instid1(VALU_DEP_2)
	v_add_f64 v[13:14], v[13:14], v[19:20]
	v_add_f64 v[15:16], v[15:16], v[21:22]
	global_store_b128 v[17:18], v[13:16], off
.LBB121_61:                             ;   in Loop: Header=BB121_4 Depth=1
	s_or_b32 exec_lo, exec_lo, s5
	s_and_b32 s3, s2, s3
	s_delay_alu instid0(SALU_CYCLE_1)
	s_and_saveexec_b32 s4, s3
	s_cbranch_execz .LBB121_3
; %bb.62:                               ;   in Loop: Header=BB121_4 Depth=1
	v_lshlrev_b64 v[13:14], 4, v[8:9]
	v_mul_f64 v[17:18], s[46:47], v[48:49]
	v_mul_f64 v[19:20], s[44:45], v[48:49]
	s_delay_alu instid0(VALU_DEP_3) | instskip(NEXT) | instid1(VALU_DEP_1)
	v_add_co_u32 v2, s3, v2, v13
	v_add_co_ci_u32_e64 v3, s3, v3, v14, s3
	global_load_b128 v[13:16], v[2:3], off
	v_fma_f64 v[17:18], s[44:45], v[50:51], -v[17:18]
	v_fma_f64 v[19:20], s[46:47], v[50:51], v[19:20]
	s_waitcnt vmcnt(0)
	s_delay_alu instid0(VALU_DEP_2) | instskip(NEXT) | instid1(VALU_DEP_2)
	v_add_f64 v[13:14], v[13:14], v[17:18]
	v_add_f64 v[15:16], v[15:16], v[19:20]
	global_store_b128 v[2:3], v[13:16], off
	s_branch .LBB121_3
.LBB121_63:
	s_nop 0
	s_sendmsg sendmsg(MSG_DEALLOC_VGPRS)
	s_endpgm
	.section	.rodata,"a",@progbits
	.p2align	6, 0x0
	.amdhsa_kernel _ZL30rocblas_trmm_outofplace_kernelI19rocblas_complex_numIdELi32ELi2ELb0ELb0ELb0ELb0ES1_KS1_S1_Ev17rocblas_diagonal_iiT6_lPT7_lllS6_lllPT8_llli
		.amdhsa_group_segment_fixed_size 32768
		.amdhsa_private_segment_fixed_size 0
		.amdhsa_kernarg_size 400
		.amdhsa_user_sgpr_count 13
		.amdhsa_user_sgpr_dispatch_ptr 0
		.amdhsa_user_sgpr_queue_ptr 0
		.amdhsa_user_sgpr_kernarg_segment_ptr 1
		.amdhsa_user_sgpr_dispatch_id 0
		.amdhsa_user_sgpr_private_segment_size 0
		.amdhsa_wavefront_size32 1
		.amdhsa_uses_dynamic_stack 0
		.amdhsa_enable_private_segment 0
		.amdhsa_system_sgpr_workgroup_id_x 1
		.amdhsa_system_sgpr_workgroup_id_y 1
		.amdhsa_system_sgpr_workgroup_id_z 1
		.amdhsa_system_sgpr_workgroup_info 0
		.amdhsa_system_vgpr_workitem_id 1
		.amdhsa_next_free_vgpr 88
		.amdhsa_next_free_sgpr 48
		.amdhsa_reserve_vcc 1
		.amdhsa_float_round_mode_32 0
		.amdhsa_float_round_mode_16_64 0
		.amdhsa_float_denorm_mode_32 3
		.amdhsa_float_denorm_mode_16_64 3
		.amdhsa_dx10_clamp 1
		.amdhsa_ieee_mode 1
		.amdhsa_fp16_overflow 0
		.amdhsa_workgroup_processor_mode 1
		.amdhsa_memory_ordered 1
		.amdhsa_forward_progress 0
		.amdhsa_shared_vgpr_count 0
		.amdhsa_exception_fp_ieee_invalid_op 0
		.amdhsa_exception_fp_denorm_src 0
		.amdhsa_exception_fp_ieee_div_zero 0
		.amdhsa_exception_fp_ieee_overflow 0
		.amdhsa_exception_fp_ieee_underflow 0
		.amdhsa_exception_fp_ieee_inexact 0
		.amdhsa_exception_int_div_zero 0
	.end_amdhsa_kernel
	.section	.text._ZL30rocblas_trmm_outofplace_kernelI19rocblas_complex_numIdELi32ELi2ELb0ELb0ELb0ELb0ES1_KS1_S1_Ev17rocblas_diagonal_iiT6_lPT7_lllS6_lllPT8_llli,"axG",@progbits,_ZL30rocblas_trmm_outofplace_kernelI19rocblas_complex_numIdELi32ELi2ELb0ELb0ELb0ELb0ES1_KS1_S1_Ev17rocblas_diagonal_iiT6_lPT7_lllS6_lllPT8_llli,comdat
.Lfunc_end121:
	.size	_ZL30rocblas_trmm_outofplace_kernelI19rocblas_complex_numIdELi32ELi2ELb0ELb0ELb0ELb0ES1_KS1_S1_Ev17rocblas_diagonal_iiT6_lPT7_lllS6_lllPT8_llli, .Lfunc_end121-_ZL30rocblas_trmm_outofplace_kernelI19rocblas_complex_numIdELi32ELi2ELb0ELb0ELb0ELb0ES1_KS1_S1_Ev17rocblas_diagonal_iiT6_lPT7_lllS6_lllPT8_llli
                                        ; -- End function
	.section	.AMDGPU.csdata,"",@progbits
; Kernel info:
; codeLenInByte = 11508
; NumSgprs: 50
; NumVgprs: 88
; ScratchSize: 0
; MemoryBound: 0
; FloatMode: 240
; IeeeMode: 1
; LDSByteSize: 32768 bytes/workgroup (compile time only)
; SGPRBlocks: 6
; VGPRBlocks: 10
; NumSGPRsForWavesPerEU: 50
; NumVGPRsForWavesPerEU: 88
; Occupancy: 16
; WaveLimiterHint : 0
; COMPUTE_PGM_RSRC2:SCRATCH_EN: 0
; COMPUTE_PGM_RSRC2:USER_SGPR: 13
; COMPUTE_PGM_RSRC2:TRAP_HANDLER: 0
; COMPUTE_PGM_RSRC2:TGID_X_EN: 1
; COMPUTE_PGM_RSRC2:TGID_Y_EN: 1
; COMPUTE_PGM_RSRC2:TGID_Z_EN: 1
; COMPUTE_PGM_RSRC2:TIDIG_COMP_CNT: 1
	.section	.text._ZL30rocblas_trmm_outofplace_kernelI19rocblas_complex_numIdELi32ELi2ELb0ELb1ELb0ELb0EPKS1_S2_S1_Ev17rocblas_diagonal_iiT6_lPT7_lllS7_lllPT8_llli,"axG",@progbits,_ZL30rocblas_trmm_outofplace_kernelI19rocblas_complex_numIdELi32ELi2ELb0ELb1ELb0ELb0EPKS1_S2_S1_Ev17rocblas_diagonal_iiT6_lPT7_lllS7_lllPT8_llli,comdat
	.globl	_ZL30rocblas_trmm_outofplace_kernelI19rocblas_complex_numIdELi32ELi2ELb0ELb1ELb0ELb0EPKS1_S2_S1_Ev17rocblas_diagonal_iiT6_lPT7_lllS7_lllPT8_llli ; -- Begin function _ZL30rocblas_trmm_outofplace_kernelI19rocblas_complex_numIdELi32ELi2ELb0ELb1ELb0ELb0EPKS1_S2_S1_Ev17rocblas_diagonal_iiT6_lPT7_lllS7_lllPT8_llli
	.p2align	8
	.type	_ZL30rocblas_trmm_outofplace_kernelI19rocblas_complex_numIdELi32ELi2ELb0ELb1ELb0ELb0EPKS1_S2_S1_Ev17rocblas_diagonal_iiT6_lPT7_lllS7_lllPT8_llli,@function
_ZL30rocblas_trmm_outofplace_kernelI19rocblas_complex_numIdELi32ELi2ELb0ELb1ELb0ELb0EPKS1_S2_S1_Ev17rocblas_diagonal_iiT6_lPT7_lllS7_lllPT8_llli: ; @_ZL30rocblas_trmm_outofplace_kernelI19rocblas_complex_numIdELi32ELi2ELb0ELb1ELb0ELb0EPKS1_S2_S1_Ev17rocblas_diagonal_iiT6_lPT7_lllS7_lllPT8_llli
; %bb.0:
	s_load_b512 s[16:31], s[0:1], 0x10
	s_waitcnt lgkmcnt(0)
	s_mul_i32 s3, s15, s19
	s_mul_hi_u32 s4, s15, s18
	s_mul_i32 s2, s15, s18
	s_add_i32 s3, s4, s3
	s_delay_alu instid0(SALU_CYCLE_1) | instskip(NEXT) | instid1(SALU_CYCLE_1)
	s_lshl_b64 s[2:3], s[2:3], 4
	s_add_u32 s2, s16, s2
	s_addc_u32 s3, s17, s3
	s_load_b128 s[16:19], s[2:3], 0x0
	s_waitcnt lgkmcnt(0)
	v_cmp_eq_f64_e64 s2, s[16:17], 0
	v_cmp_eq_f64_e64 s3, s[18:19], 0
	s_delay_alu instid0(VALU_DEP_1) | instskip(NEXT) | instid1(SALU_CYCLE_1)
	s_and_b32 s2, s2, s3
	s_and_b32 vcc_lo, exec_lo, s2
	s_cbranch_vccnz .LBB122_63
; %bb.1:
	s_load_b128 s[36:39], s[0:1], 0x0
	s_waitcnt lgkmcnt(0)
	s_add_i32 s2, s38, -1
	s_delay_alu instid0(SALU_CYCLE_1) | instskip(NEXT) | instid1(SALU_CYCLE_1)
	s_ashr_i32 s3, s2, 31
	s_lshr_b32 s3, s3, 27
	s_delay_alu instid0(SALU_CYCLE_1) | instskip(NEXT) | instid1(SALU_CYCLE_1)
	s_add_i32 s2, s2, s3
	s_ashr_i32 s33, s2, 5
	s_delay_alu instid0(SALU_CYCLE_1)
	s_cmp_gt_i32 s14, s33
	s_cbranch_scc1 .LBB122_63
; %bb.2:
	s_clause 0x2
	s_load_b128 s[40:43], s[0:1], 0x70
	s_load_b32 s34, s[0:1], 0x8c
	s_load_b256 s[4:11], s[0:1], 0x50
	v_bfe_u32 v53, v0, 10, 10
	s_delay_alu instid0(VALU_DEP_1)
	v_lshl_add_u32 v14, v53, 4, 0x100
	v_lshlrev_b32_e32 v55, 9, v53
	v_lshl_add_u32 v6, s14, 5, v53
	s_waitcnt lgkmcnt(0)
	s_mul_i32 s1, s15, s43
	s_mul_hi_u32 s2, s15, s42
	v_mad_u64_u32 v[7:8], null, s4, v53, 0
	v_and_b32_e32 v52, 0x3ff, v0
	s_mul_i32 s0, s15, s42
	s_add_i32 s1, s2, s1
	v_mad_u64_u32 v[10:11], null, s4, v14, 0
	s_lshl_b64 s[0:1], s[0:1], 4
	v_lshl_add_u32 v1, s13, 5, v52
	s_add_u32 s2, s8, s0
	s_addc_u32 s3, s9, s1
	s_lshl_b64 s[0:1], s[10:11], 4
	v_mov_b32_e32 v0, 0
	s_add_u32 s35, s2, s0
	v_ashrrev_i32_e32 v2, 31, v1
	s_addc_u32 s42, s3, s1
	s_cmpk_eq_i32 s36, 0x84
	v_sub_co_u32 v3, vcc_lo, s37, v1
	s_cselect_b32 s36, -1, 0
	s_ashr_i32 s0, s37, 31
	s_ashr_i32 s39, s38, 31
	v_sub_co_ci_u32_e32 v4, vcc_lo, s0, v2, vcc_lo
	s_lshl_b64 s[10:11], s[4:5], 9
	s_add_u32 s12, s38, -16
	s_addc_u32 s13, s39, -1
	s_delay_alu instid0(VALU_DEP_1) | instskip(SKIP_3) | instid1(VALU_DEP_1)
	v_cmp_gt_i64_e32 vcc_lo, 1, v[3:4]
	v_cmp_gt_i64_e64 s0, 17, v[3:4]
	v_dual_mov_b32 v3, v8 :: v_dual_add_nc_u32 v4, 16, v1
	v_sub_co_u32 v66, s3, 0, v52
	v_sub_co_ci_u32_e64 v67, null, 0, 0, s3
	s_mul_i32 s3, s7, s15
	s_mul_hi_u32 s7, s6, s15
	v_mad_u64_u32 v[8:9], null, s5, v53, v[3:4]
	s_add_i32 s7, s7, s3
	s_mul_i32 s6, s6, s15
	s_lshl_b64 s[8:9], s[30:31], 4
	s_lshl_b64 s[6:7], s[6:7], 4
	v_lshlrev_b64 v[12:13], 4, v[1:2]
	v_lshlrev_b32_e32 v54, 4, v52
	v_cmp_gt_i32_e64 s1, s37, v1
	v_mov_b32_e32 v1, v11
	v_cmp_gt_i32_e64 s2, s37, v4
	s_lshl_b32 s37, s34, 5
	s_add_u32 s3, s6, s8
	s_addc_u32 s6, s7, s9
	s_add_u32 s3, s28, s3
	v_or_b32_e32 v57, 0x4000, v54
	v_lshlrev_b64 v[8:9], 4, v[7:8]
	s_addc_u32 s8, s29, s6
	v_add_co_u32 v7, s3, s3, v12
	s_mul_i32 s4, s27, s15
	s_mul_hi_u32 s7, s26, s15
	v_add_co_ci_u32_e64 v11, s3, s8, v13, s3
	v_mad_u64_u32 v[2:3], null, s5, v14, v[1:2]
	s_add_i32 s7, s7, s4
	s_mul_i32 s6, s26, s15
	v_add_nc_u32_e32 v56, v55, v54
	v_dual_mov_b32 v1, 0x3ff00000 :: v_dual_add_nc_u32 v60, v57, v55
	v_add_co_u32 v14, s3, 0x100, v7
	s_lshl_b64 s[6:7], s[6:7], 4
	s_lshl_b64 s[8:9], s[22:23], 4
	v_add_co_ci_u32_e64 v15, s3, 0, v11, s3
	s_add_u32 s3, s6, s8
	s_addc_u32 s4, s7, s9
	v_add_nc_u32_e32 v62, 0x100, v60
	v_add_nc_u32_e32 v63, 0x2000, v60
	;; [unrolled: 1-line block ×3, first 2 shown]
	v_ashrrev_i32_e32 v5, 31, v4
	v_add_nc_u32_e32 v65, 0x4100, v54
	s_add_u32 s20, s20, s3
	v_dual_mov_b32 v11, v2 :: v_dual_add_nc_u32 v58, 0x100, v56
	v_add_nc_u32_e32 v59, 0x2000, v56
	v_add_nc_u32_e32 v61, 0x2100, v56
	s_addc_u32 s21, s21, s4
	s_add_u32 s22, s20, 0x100
	s_addc_u32 s23, s21, 0
	s_lshl_b64 s[26:27], s[24:25], 4
	s_branch .LBB122_4
.LBB122_3:                              ;   in Loop: Header=BB122_4 Depth=1
	s_or_b32 exec_lo, exec_lo, s4
	v_add_nc_u32_e32 v6, s37, v6
	s_add_i32 s14, s34, s14
	s_delay_alu instid0(SALU_CYCLE_1)
	s_cmp_le_i32 s14, s33
	s_cbranch_scc0 .LBB122_63
.LBB122_4:                              ; =>This Loop Header: Depth=1
                                        ;     Child Loop BB122_7 Depth 2
	s_lshl_b32 s15, s14, 5
	v_mov_b32_e32 v40, 0
	v_dual_mov_b32 v41, 0 :: v_dual_add_nc_u32 v16, s15, v53
	s_delay_alu instid0(VALU_DEP_2) | instskip(SKIP_1) | instid1(VALU_DEP_3)
	v_mov_b32_e32 v36, v40
	v_mov_b32_e32 v38, v40
	v_dual_mov_b32 v32, v40 :: v_dual_mov_b32 v33, v41
	v_dual_mov_b32 v43, v41 :: v_dual_mov_b32 v42, v40
	v_mov_b32_e32 v37, v41
	v_mov_b32_e32 v39, v41
	v_ashrrev_i32_e32 v17, 31, v16
	v_dual_mov_b32 v34, v40 :: v_dual_mov_b32 v35, v41
	v_dual_mov_b32 v47, v41 :: v_dual_mov_b32 v46, v40
	;; [unrolled: 1-line block ×3, first 2 shown]
	s_cmp_lt_i32 s14, 0
	s_cbranch_scc1 .LBB122_55
; %bb.5:                                ;   in Loop: Header=BB122_4 Depth=1
	v_ashrrev_i32_e32 v7, 31, v6
	v_mad_u64_u32 v[18:19], null, s26, v6, s[22:23]
	v_mul_lo_u32 v26, s27, v6
	v_add_co_u32 v22, s4, v16, 16
	s_delay_alu instid0(VALU_DEP_4) | instskip(SKIP_3) | instid1(VALU_DEP_4)
	v_lshlrev_b64 v[2:3], 4, v[6:7]
	v_mul_lo_u32 v27, s26, v7
	v_add_co_ci_u32_e64 v23, s4, 0, v17, s4
	v_add_co_u32 v24, s4, v66, v6
	v_add_co_u32 v2, s3, 0x100, v2
	s_delay_alu instid0(VALU_DEP_1) | instskip(SKIP_1) | instid1(VALU_DEP_3)
	v_add_co_ci_u32_e64 v3, s3, 0, v3, s3
	v_add_co_ci_u32_e64 v25, s4, v67, v7, s4
	v_mul_lo_u32 v28, s25, v2
	s_delay_alu instid0(VALU_DEP_3)
	v_mul_lo_u32 v3, s24, v3
	v_mad_u64_u32 v[20:21], null, s24, v2, s[20:21]
	v_dual_mov_b32 v44, 0 :: v_dual_mov_b32 v31, v15
	v_add3_u32 v19, v26, v19, v27
	v_add_co_u32 v26, s5, v24, 16
	v_dual_mov_b32 v45, 0 :: v_dual_mov_b32 v30, v14
	v_add_co_ci_u32_e64 v27, s5, 0, v25, s5
	v_add3_u32 v21, v28, v21, v3
	v_add_co_u32 v28, s5, v24, -16
	v_cmp_le_i64_e64 s4, s[38:39], v[22:23]
	v_cmp_le_i32_e64 s3, s38, v16
	v_add_co_ci_u32_e64 v29, s5, -1, v25, s5
	v_dual_mov_b32 v47, v45 :: v_dual_mov_b32 v46, v44
	v_dual_mov_b32 v34, v44 :: v_dual_mov_b32 v35, v45
	;; [unrolled: 1-line block ×7, first 2 shown]
	s_mov_b64 s[28:29], 0
	s_branch .LBB122_7
.LBB122_6:                              ;   in Loop: Header=BB122_7 Depth=2
	s_or_b32 exec_lo, exec_lo, s5
	s_waitcnt lgkmcnt(0)
	s_waitcnt_vscnt null, 0x0
	s_barrier
	buffer_gl0_inv
	ds_load_b128 v[48:51], v55
	ds_load_b128 v[68:71], v55 offset:16
	ds_load_b128 v[72:75], v55 offset:32
	;; [unrolled: 1-line block ×3, first 2 shown]
	ds_load_b128 v[80:83], v57
	v_add_co_u32 v30, s5, v30, s10
	s_delay_alu instid0(VALU_DEP_1) | instskip(SKIP_1) | instid1(VALU_DEP_1)
	v_add_co_ci_u32_e64 v31, s5, s11, v31, s5
	v_add_co_u32 v18, s5, 0x200, v18
	v_add_co_ci_u32_e64 v19, s5, 0, v19, s5
	v_add_co_u32 v20, s5, 0x200, v20
	s_add_u32 s28, s28, 32
	v_add_co_ci_u32_e64 v21, s5, 0, v21, s5
	s_addc_u32 s29, s29, 0
	s_sub_i32 s6, s28, 32
	s_delay_alu instid0(SALU_CYCLE_1) | instskip(SKIP_3) | instid1(VALU_DEP_2)
	s_cmp_ge_i32 s6, s15
	s_waitcnt lgkmcnt(0)
	v_mul_f64 v[2:3], v[50:51], v[82:83]
	v_mul_f64 v[84:85], v[48:49], v[82:83]
	v_fma_f64 v[2:3], v[48:49], v[80:81], -v[2:3]
	s_delay_alu instid0(VALU_DEP_2) | instskip(NEXT) | instid1(VALU_DEP_2)
	v_fma_f64 v[84:85], v[50:51], v[80:81], v[84:85]
	v_add_f64 v[2:3], v[40:41], v[2:3]
	s_delay_alu instid0(VALU_DEP_2) | instskip(SKIP_3) | instid1(VALU_DEP_1)
	v_add_f64 v[84:85], v[42:43], v[84:85]
	ds_load_b128 v[40:43], v65
	s_waitcnt lgkmcnt(0)
	v_mul_f64 v[86:87], v[50:51], v[42:43]
	v_fma_f64 v[86:87], v[48:49], v[40:41], -v[86:87]
	v_mul_f64 v[48:49], v[48:49], v[42:43]
	s_delay_alu instid0(VALU_DEP_1) | instskip(NEXT) | instid1(VALU_DEP_3)
	v_fma_f64 v[48:49], v[50:51], v[40:41], v[48:49]
	v_add_f64 v[50:51], v[36:37], v[86:87]
	s_delay_alu instid0(VALU_DEP_2) | instskip(SKIP_4) | instid1(VALU_DEP_2)
	v_add_f64 v[48:49], v[38:39], v[48:49]
	ds_load_b128 v[36:39], v55 offset:8192
	s_waitcnt lgkmcnt(0)
	v_mul_f64 v[86:87], v[38:39], v[82:83]
	v_mul_f64 v[82:83], v[36:37], v[82:83]
	v_fma_f64 v[86:87], v[36:37], v[80:81], -v[86:87]
	s_delay_alu instid0(VALU_DEP_2) | instskip(NEXT) | instid1(VALU_DEP_2)
	v_fma_f64 v[80:81], v[38:39], v[80:81], v[82:83]
	v_add_f64 v[82:83], v[32:33], v[86:87]
	s_delay_alu instid0(VALU_DEP_2) | instskip(SKIP_2) | instid1(VALU_DEP_2)
	v_add_f64 v[80:81], v[34:35], v[80:81]
	v_mul_f64 v[32:33], v[38:39], v[42:43]
	v_mul_f64 v[34:35], v[36:37], v[42:43]
	v_fma_f64 v[32:33], v[36:37], v[40:41], -v[32:33]
	s_delay_alu instid0(VALU_DEP_2) | instskip(NEXT) | instid1(VALU_DEP_2)
	v_fma_f64 v[34:35], v[38:39], v[40:41], v[34:35]
	v_add_f64 v[46:47], v[46:47], v[32:33]
	s_delay_alu instid0(VALU_DEP_2) | instskip(SKIP_4) | instid1(VALU_DEP_2)
	v_add_f64 v[44:45], v[44:45], v[34:35]
	ds_load_b128 v[32:35], v57 offset:512
	s_waitcnt lgkmcnt(0)
	v_mul_f64 v[36:37], v[70:71], v[34:35]
	v_mul_f64 v[38:39], v[68:69], v[34:35]
	v_fma_f64 v[36:37], v[68:69], v[32:33], -v[36:37]
	s_delay_alu instid0(VALU_DEP_2) | instskip(NEXT) | instid1(VALU_DEP_2)
	v_fma_f64 v[38:39], v[70:71], v[32:33], v[38:39]
	v_add_f64 v[2:3], v[2:3], v[36:37]
	s_delay_alu instid0(VALU_DEP_2) | instskip(SKIP_4) | instid1(VALU_DEP_2)
	v_add_f64 v[84:85], v[84:85], v[38:39]
	ds_load_b128 v[36:39], v65 offset:512
	s_waitcnt lgkmcnt(0)
	;; [unrolled: 10-line block ×3, first 2 shown]
	v_mul_f64 v[68:69], v[42:43], v[34:35]
	v_mul_f64 v[34:35], v[40:41], v[34:35]
	v_fma_f64 v[68:69], v[40:41], v[32:33], -v[68:69]
	s_delay_alu instid0(VALU_DEP_2) | instskip(SKIP_1) | instid1(VALU_DEP_3)
	v_fma_f64 v[32:33], v[42:43], v[32:33], v[34:35]
	v_mul_f64 v[34:35], v[40:41], v[38:39]
	v_add_f64 v[68:69], v[82:83], v[68:69]
	s_delay_alu instid0(VALU_DEP_3) | instskip(SKIP_1) | instid1(VALU_DEP_4)
	v_add_f64 v[70:71], v[80:81], v[32:33]
	v_mul_f64 v[32:33], v[42:43], v[38:39]
	v_fma_f64 v[34:35], v[42:43], v[36:37], v[34:35]
	s_delay_alu instid0(VALU_DEP_2) | instskip(NEXT) | instid1(VALU_DEP_2)
	v_fma_f64 v[32:33], v[40:41], v[36:37], -v[32:33]
	v_add_f64 v[44:45], v[44:45], v[34:35]
	s_delay_alu instid0(VALU_DEP_2) | instskip(SKIP_4) | instid1(VALU_DEP_2)
	v_add_f64 v[46:47], v[46:47], v[32:33]
	ds_load_b128 v[32:35], v57 offset:1024
	s_waitcnt lgkmcnt(0)
	v_mul_f64 v[36:37], v[74:75], v[34:35]
	v_mul_f64 v[38:39], v[72:73], v[34:35]
	v_fma_f64 v[36:37], v[72:73], v[32:33], -v[36:37]
	s_delay_alu instid0(VALU_DEP_2) | instskip(NEXT) | instid1(VALU_DEP_2)
	v_fma_f64 v[38:39], v[74:75], v[32:33], v[38:39]
	v_add_f64 v[2:3], v[2:3], v[36:37]
	s_delay_alu instid0(VALU_DEP_2) | instskip(SKIP_4) | instid1(VALU_DEP_2)
	v_add_f64 v[80:81], v[84:85], v[38:39]
	ds_load_b128 v[36:39], v65 offset:1024
	s_waitcnt lgkmcnt(0)
	v_mul_f64 v[40:41], v[74:75], v[38:39]
	v_mul_f64 v[42:43], v[72:73], v[38:39]
	v_fma_f64 v[40:41], v[72:73], v[36:37], -v[40:41]
	s_delay_alu instid0(VALU_DEP_2) | instskip(NEXT) | instid1(VALU_DEP_2)
	v_fma_f64 v[42:43], v[74:75], v[36:37], v[42:43]
	v_add_f64 v[50:51], v[50:51], v[40:41]
	s_delay_alu instid0(VALU_DEP_2) | instskip(SKIP_4) | instid1(VALU_DEP_2)
	v_add_f64 v[48:49], v[48:49], v[42:43]
	ds_load_b128 v[40:43], v55 offset:8224
	s_waitcnt lgkmcnt(0)
	v_mul_f64 v[72:73], v[42:43], v[34:35]
	v_mul_f64 v[34:35], v[40:41], v[34:35]
	v_fma_f64 v[72:73], v[40:41], v[32:33], -v[72:73]
	s_delay_alu instid0(VALU_DEP_2) | instskip(SKIP_1) | instid1(VALU_DEP_3)
	v_fma_f64 v[32:33], v[42:43], v[32:33], v[34:35]
	v_mul_f64 v[34:35], v[40:41], v[38:39]
	v_add_f64 v[68:69], v[68:69], v[72:73]
	s_delay_alu instid0(VALU_DEP_3) | instskip(SKIP_1) | instid1(VALU_DEP_4)
	v_add_f64 v[70:71], v[70:71], v[32:33]
	v_mul_f64 v[32:33], v[42:43], v[38:39]
	v_fma_f64 v[34:35], v[42:43], v[36:37], v[34:35]
	s_delay_alu instid0(VALU_DEP_2) | instskip(NEXT) | instid1(VALU_DEP_2)
	v_fma_f64 v[32:33], v[40:41], v[36:37], -v[32:33]
	v_add_f64 v[44:45], v[44:45], v[34:35]
	s_delay_alu instid0(VALU_DEP_2) | instskip(SKIP_4) | instid1(VALU_DEP_2)
	v_add_f64 v[46:47], v[46:47], v[32:33]
	ds_load_b128 v[32:35], v57 offset:1536
	s_waitcnt lgkmcnt(0)
	v_mul_f64 v[36:37], v[78:79], v[34:35]
	v_mul_f64 v[38:39], v[76:77], v[34:35]
	v_fma_f64 v[36:37], v[76:77], v[32:33], -v[36:37]
	s_delay_alu instid0(VALU_DEP_2) | instskip(NEXT) | instid1(VALU_DEP_2)
	v_fma_f64 v[38:39], v[78:79], v[32:33], v[38:39]
	v_add_f64 v[2:3], v[2:3], v[36:37]
	s_delay_alu instid0(VALU_DEP_2) | instskip(SKIP_4) | instid1(VALU_DEP_2)
	v_add_f64 v[72:73], v[80:81], v[38:39]
	ds_load_b128 v[36:39], v65 offset:1536
	s_waitcnt lgkmcnt(0)
	v_mul_f64 v[40:41], v[78:79], v[38:39]
	v_mul_f64 v[42:43], v[76:77], v[38:39]
	v_fma_f64 v[40:41], v[76:77], v[36:37], -v[40:41]
	s_delay_alu instid0(VALU_DEP_2) | instskip(NEXT) | instid1(VALU_DEP_2)
	v_fma_f64 v[42:43], v[78:79], v[36:37], v[42:43]
	v_add_f64 v[50:51], v[50:51], v[40:41]
	s_delay_alu instid0(VALU_DEP_2) | instskip(SKIP_4) | instid1(VALU_DEP_2)
	v_add_f64 v[48:49], v[48:49], v[42:43]
	ds_load_b128 v[40:43], v55 offset:8240
	s_waitcnt lgkmcnt(0)
	v_mul_f64 v[74:75], v[42:43], v[34:35]
	v_mul_f64 v[34:35], v[40:41], v[34:35]
	v_fma_f64 v[74:75], v[40:41], v[32:33], -v[74:75]
	s_delay_alu instid0(VALU_DEP_2) | instskip(SKIP_1) | instid1(VALU_DEP_3)
	v_fma_f64 v[32:33], v[42:43], v[32:33], v[34:35]
	v_mul_f64 v[34:35], v[40:41], v[38:39]
	v_add_f64 v[68:69], v[68:69], v[74:75]
	s_delay_alu instid0(VALU_DEP_3) | instskip(SKIP_1) | instid1(VALU_DEP_4)
	v_add_f64 v[70:71], v[70:71], v[32:33]
	v_mul_f64 v[32:33], v[42:43], v[38:39]
	v_fma_f64 v[34:35], v[42:43], v[36:37], v[34:35]
	s_delay_alu instid0(VALU_DEP_2) | instskip(NEXT) | instid1(VALU_DEP_2)
	v_fma_f64 v[32:33], v[40:41], v[36:37], -v[32:33]
	v_add_f64 v[44:45], v[44:45], v[34:35]
	s_delay_alu instid0(VALU_DEP_2)
	v_add_f64 v[46:47], v[46:47], v[32:33]
	ds_load_b128 v[32:35], v55 offset:64
	ds_load_b128 v[36:39], v57 offset:2048
	s_waitcnt lgkmcnt(0)
	v_mul_f64 v[40:41], v[34:35], v[38:39]
	v_mul_f64 v[42:43], v[32:33], v[38:39]
	s_delay_alu instid0(VALU_DEP_2) | instskip(NEXT) | instid1(VALU_DEP_2)
	v_fma_f64 v[40:41], v[32:33], v[36:37], -v[40:41]
	v_fma_f64 v[42:43], v[34:35], v[36:37], v[42:43]
	s_delay_alu instid0(VALU_DEP_2) | instskip(NEXT) | instid1(VALU_DEP_2)
	v_add_f64 v[2:3], v[2:3], v[40:41]
	v_add_f64 v[72:73], v[72:73], v[42:43]
	ds_load_b128 v[40:43], v65 offset:2048
	s_waitcnt lgkmcnt(0)
	v_mul_f64 v[74:75], v[34:35], v[42:43]
	s_delay_alu instid0(VALU_DEP_1) | instskip(SKIP_1) | instid1(VALU_DEP_2)
	v_fma_f64 v[74:75], v[32:33], v[40:41], -v[74:75]
	v_mul_f64 v[32:33], v[32:33], v[42:43]
	v_add_f64 v[50:51], v[50:51], v[74:75]
	s_delay_alu instid0(VALU_DEP_2) | instskip(NEXT) | instid1(VALU_DEP_1)
	v_fma_f64 v[32:33], v[34:35], v[40:41], v[32:33]
	v_add_f64 v[48:49], v[48:49], v[32:33]
	ds_load_b128 v[32:35], v55 offset:8256
	s_waitcnt lgkmcnt(0)
	v_mul_f64 v[74:75], v[34:35], v[38:39]
	v_mul_f64 v[38:39], v[32:33], v[38:39]
	s_delay_alu instid0(VALU_DEP_2) | instskip(NEXT) | instid1(VALU_DEP_2)
	v_fma_f64 v[74:75], v[32:33], v[36:37], -v[74:75]
	v_fma_f64 v[36:37], v[34:35], v[36:37], v[38:39]
	s_delay_alu instid0(VALU_DEP_2) | instskip(NEXT) | instid1(VALU_DEP_2)
	v_add_f64 v[68:69], v[68:69], v[74:75]
	v_add_f64 v[70:71], v[70:71], v[36:37]
	v_mul_f64 v[36:37], v[34:35], v[42:43]
	s_delay_alu instid0(VALU_DEP_1) | instskip(SKIP_1) | instid1(VALU_DEP_2)
	v_fma_f64 v[36:37], v[32:33], v[40:41], -v[36:37]
	v_mul_f64 v[32:33], v[32:33], v[42:43]
	v_add_f64 v[46:47], v[46:47], v[36:37]
	s_delay_alu instid0(VALU_DEP_2) | instskip(NEXT) | instid1(VALU_DEP_1)
	v_fma_f64 v[32:33], v[34:35], v[40:41], v[32:33]
	v_add_f64 v[44:45], v[44:45], v[32:33]
	ds_load_b128 v[32:35], v55 offset:80
	ds_load_b128 v[36:39], v57 offset:2560
	s_waitcnt lgkmcnt(0)
	v_mul_f64 v[40:41], v[34:35], v[38:39]
	v_mul_f64 v[42:43], v[32:33], v[38:39]
	s_delay_alu instid0(VALU_DEP_2) | instskip(NEXT) | instid1(VALU_DEP_2)
	v_fma_f64 v[40:41], v[32:33], v[36:37], -v[40:41]
	v_fma_f64 v[42:43], v[34:35], v[36:37], v[42:43]
	s_delay_alu instid0(VALU_DEP_2) | instskip(NEXT) | instid1(VALU_DEP_2)
	v_add_f64 v[2:3], v[2:3], v[40:41]
	v_add_f64 v[72:73], v[72:73], v[42:43]
	ds_load_b128 v[40:43], v65 offset:2560
	s_waitcnt lgkmcnt(0)
	v_mul_f64 v[74:75], v[34:35], v[42:43]
	s_delay_alu instid0(VALU_DEP_1) | instskip(SKIP_1) | instid1(VALU_DEP_2)
	v_fma_f64 v[74:75], v[32:33], v[40:41], -v[74:75]
	v_mul_f64 v[32:33], v[32:33], v[42:43]
	v_add_f64 v[50:51], v[50:51], v[74:75]
	s_delay_alu instid0(VALU_DEP_2) | instskip(NEXT) | instid1(VALU_DEP_1)
	v_fma_f64 v[32:33], v[34:35], v[40:41], v[32:33]
	v_add_f64 v[48:49], v[48:49], v[32:33]
	ds_load_b128 v[32:35], v55 offset:8272
	s_waitcnt lgkmcnt(0)
	v_mul_f64 v[74:75], v[34:35], v[38:39]
	v_mul_f64 v[38:39], v[32:33], v[38:39]
	s_delay_alu instid0(VALU_DEP_2) | instskip(NEXT) | instid1(VALU_DEP_2)
	v_fma_f64 v[74:75], v[32:33], v[36:37], -v[74:75]
	v_fma_f64 v[36:37], v[34:35], v[36:37], v[38:39]
	s_delay_alu instid0(VALU_DEP_2) | instskip(NEXT) | instid1(VALU_DEP_2)
	v_add_f64 v[68:69], v[68:69], v[74:75]
	v_add_f64 v[70:71], v[70:71], v[36:37]
	v_mul_f64 v[36:37], v[34:35], v[42:43]
	s_delay_alu instid0(VALU_DEP_1) | instskip(SKIP_1) | instid1(VALU_DEP_2)
	v_fma_f64 v[36:37], v[32:33], v[40:41], -v[36:37]
	v_mul_f64 v[32:33], v[32:33], v[42:43]
	v_add_f64 v[46:47], v[46:47], v[36:37]
	s_delay_alu instid0(VALU_DEP_2) | instskip(NEXT) | instid1(VALU_DEP_1)
	v_fma_f64 v[32:33], v[34:35], v[40:41], v[32:33]
	;; [unrolled: 39-line block ×26, first 2 shown]
	v_add_f64 v[44:45], v[44:45], v[32:33]
	ds_load_b128 v[32:35], v55 offset:480
	ds_load_b128 v[36:39], v57 offset:15360
	s_waitcnt lgkmcnt(0)
	v_mul_f64 v[40:41], v[34:35], v[38:39]
	v_mul_f64 v[42:43], v[32:33], v[38:39]
	s_delay_alu instid0(VALU_DEP_2) | instskip(NEXT) | instid1(VALU_DEP_2)
	v_fma_f64 v[40:41], v[32:33], v[36:37], -v[40:41]
	v_fma_f64 v[42:43], v[34:35], v[36:37], v[42:43]
	s_delay_alu instid0(VALU_DEP_2) | instskip(NEXT) | instid1(VALU_DEP_2)
	v_add_f64 v[74:75], v[2:3], v[40:41]
	v_add_f64 v[72:73], v[72:73], v[42:43]
	ds_load_b128 v[40:43], v65 offset:15360
	s_waitcnt lgkmcnt(0)
	v_mul_f64 v[2:3], v[34:35], v[42:43]
	s_delay_alu instid0(VALU_DEP_1) | instskip(SKIP_1) | instid1(VALU_DEP_2)
	v_fma_f64 v[2:3], v[32:33], v[40:41], -v[2:3]
	v_mul_f64 v[32:33], v[32:33], v[42:43]
	v_add_f64 v[50:51], v[50:51], v[2:3]
	s_delay_alu instid0(VALU_DEP_2) | instskip(NEXT) | instid1(VALU_DEP_1)
	v_fma_f64 v[32:33], v[34:35], v[40:41], v[32:33]
	v_add_f64 v[76:77], v[48:49], v[32:33]
	ds_load_b128 v[32:35], v55 offset:8672
	s_waitcnt lgkmcnt(0)
	v_mul_f64 v[2:3], v[34:35], v[38:39]
	v_mul_f64 v[38:39], v[32:33], v[38:39]
	s_delay_alu instid0(VALU_DEP_2) | instskip(NEXT) | instid1(VALU_DEP_2)
	v_fma_f64 v[2:3], v[32:33], v[36:37], -v[2:3]
	v_fma_f64 v[36:37], v[34:35], v[36:37], v[38:39]
	s_delay_alu instid0(VALU_DEP_2) | instskip(SKIP_1) | instid1(VALU_DEP_3)
	v_add_f64 v[78:79], v[68:69], v[2:3]
	v_mul_f64 v[2:3], v[34:35], v[42:43]
	v_add_f64 v[80:81], v[70:71], v[36:37]
	s_delay_alu instid0(VALU_DEP_2) | instskip(SKIP_1) | instid1(VALU_DEP_2)
	v_fma_f64 v[2:3], v[32:33], v[40:41], -v[2:3]
	v_mul_f64 v[32:33], v[32:33], v[42:43]
	v_add_f64 v[2:3], v[46:47], v[2:3]
	s_delay_alu instid0(VALU_DEP_2) | instskip(NEXT) | instid1(VALU_DEP_1)
	v_fma_f64 v[32:33], v[34:35], v[40:41], v[32:33]
	v_add_f64 v[44:45], v[44:45], v[32:33]
	ds_load_b128 v[32:35], v55 offset:496
	ds_load_b128 v[46:49], v57 offset:15872
	;; [unrolled: 1-line block ×3, first 2 shown]
	s_waitcnt lgkmcnt(1)
	v_mul_f64 v[36:37], v[34:35], v[48:49]
	v_mul_f64 v[38:39], v[32:33], v[48:49]
	s_delay_alu instid0(VALU_DEP_2) | instskip(NEXT) | instid1(VALU_DEP_2)
	v_fma_f64 v[36:37], v[32:33], v[46:47], -v[36:37]
	v_fma_f64 v[38:39], v[34:35], v[46:47], v[38:39]
	s_delay_alu instid0(VALU_DEP_2) | instskip(NEXT) | instid1(VALU_DEP_2)
	v_add_f64 v[40:41], v[74:75], v[36:37]
	v_add_f64 v[42:43], v[72:73], v[38:39]
	ds_load_b128 v[72:75], v55 offset:8688
	s_waitcnt lgkmcnt(1)
	v_mul_f64 v[36:37], v[34:35], v[70:71]
	s_waitcnt lgkmcnt(0)
	s_barrier
	buffer_gl0_inv
	v_fma_f64 v[36:37], v[32:33], v[68:69], -v[36:37]
	v_mul_f64 v[32:33], v[32:33], v[70:71]
	s_delay_alu instid0(VALU_DEP_2) | instskip(NEXT) | instid1(VALU_DEP_2)
	v_add_f64 v[36:37], v[50:51], v[36:37]
	v_fma_f64 v[32:33], v[34:35], v[68:69], v[32:33]
	v_mul_f64 v[34:35], v[72:73], v[48:49]
	s_delay_alu instid0(VALU_DEP_2) | instskip(SKIP_1) | instid1(VALU_DEP_3)
	v_add_f64 v[38:39], v[76:77], v[32:33]
	v_mul_f64 v[32:33], v[74:75], v[48:49]
	v_fma_f64 v[34:35], v[74:75], v[46:47], v[34:35]
	v_mul_f64 v[48:49], v[72:73], v[70:71]
	s_delay_alu instid0(VALU_DEP_3) | instskip(SKIP_1) | instid1(VALU_DEP_3)
	v_fma_f64 v[32:33], v[72:73], v[46:47], -v[32:33]
	v_mul_f64 v[46:47], v[74:75], v[70:71]
	v_fma_f64 v[48:49], v[74:75], v[68:69], v[48:49]
	v_add_f64 v[34:35], v[80:81], v[34:35]
	s_delay_alu instid0(VALU_DEP_4) | instskip(NEXT) | instid1(VALU_DEP_4)
	v_add_f64 v[32:33], v[78:79], v[32:33]
	v_fma_f64 v[46:47], v[72:73], v[68:69], -v[46:47]
	s_delay_alu instid0(VALU_DEP_4) | instskip(NEXT) | instid1(VALU_DEP_2)
	v_add_f64 v[44:45], v[44:45], v[48:49]
	v_add_f64 v[46:47], v[2:3], v[46:47]
	s_cbranch_scc1 .LBB122_55
.LBB122_7:                              ;   Parent Loop BB122_4 Depth=1
                                        ; =>  This Inner Loop Header: Depth=2
	v_add_co_u32 v48, s5, v52, s28
	s_delay_alu instid0(VALU_DEP_1) | instskip(SKIP_1) | instid1(VALU_DEP_2)
	v_add_co_ci_u32_e64 v49, null, 0, s29, s5
	v_cmp_eq_u64_e64 s6, s[28:29], v[24:25]
	v_cmp_gt_i64_e64 s5, v[48:49], v[16:17]
	s_delay_alu instid0(VALU_DEP_2) | instskip(SKIP_1) | instid1(VALU_DEP_2)
	s_and_b32 s31, s36, s6
	v_cmp_le_i64_e64 s6, s[38:39], v[48:49]
	s_or_b32 s7, s3, s5
	s_delay_alu instid0(SALU_CYCLE_1) | instskip(SKIP_1) | instid1(VALU_DEP_1)
	s_or_b32 s8, s7, s31
	v_add_co_u32 v50, s7, v18, v54
	v_add_co_ci_u32_e64 v51, s7, 0, v19, s7
	s_delay_alu instid0(VALU_DEP_3) | instskip(NEXT) | instid1(SALU_CYCLE_1)
	s_or_b32 s7, s6, s8
	s_xor_b32 s7, s7, -1
	s_delay_alu instid0(SALU_CYCLE_1) | instskip(NEXT) | instid1(SALU_CYCLE_1)
	s_and_saveexec_b32 s8, s7
	s_xor_b32 s7, exec_lo, s8
	s_cbranch_execz .LBB122_9
; %bb.8:                                ;   in Loop: Header=BB122_7 Depth=2
	global_load_b128 v[68:71], v[50:51], off offset:-256
	s_waitcnt vmcnt(0)
	ds_store_2addr_b64 v56, v[68:69], v[70:71] offset1:1
.LBB122_9:                              ;   in Loop: Header=BB122_7 Depth=2
	s_or_saveexec_b32 s7, s7
	s_xor_b32 s30, s31, -1
	s_xor_b32 exec_lo, exec_lo, s7
	s_cbranch_execz .LBB122_15
; %bb.10:                               ;   in Loop: Header=BB122_7 Depth=2
	s_and_saveexec_b32 s8, s30
	s_delay_alu instid0(SALU_CYCLE_1)
	s_xor_b32 s8, exec_lo, s8
	s_cbranch_execz .LBB122_12
; %bb.11:                               ;   in Loop: Header=BB122_7 Depth=2
	v_mov_b32_e32 v68, v0
	v_mov_b32_e32 v69, v0
	;; [unrolled: 1-line block ×4, first 2 shown]
	ds_store_b128 v56, v[68:71]
.LBB122_12:                             ;   in Loop: Header=BB122_7 Depth=2
	s_and_not1_saveexec_b32 s8, s8
	s_cbranch_execz .LBB122_14
; %bb.13:                               ;   in Loop: Header=BB122_7 Depth=2
	v_mov_b32_e32 v2, v0
	v_mov_b32_e32 v3, v0
	ds_store_b128 v56, v[0:3]
.LBB122_14:                             ;   in Loop: Header=BB122_7 Depth=2
	s_or_b32 exec_lo, exec_lo, s8
.LBB122_15:                             ;   in Loop: Header=BB122_7 Depth=2
	s_delay_alu instid0(SALU_CYCLE_1) | instskip(SKIP_1) | instid1(VALU_DEP_1)
	s_or_b32 exec_lo, exec_lo, s7
	v_add_co_u32 v2, s7, v48, 16
	v_add_co_ci_u32_e64 v3, s7, 0, v49, s7
	v_cmp_eq_u64_e64 s8, s[28:29], v[28:29]
	s_delay_alu instid0(VALU_DEP_2) | instskip(SKIP_1) | instid1(VALU_DEP_3)
	v_cmp_gt_i64_e64 s9, v[2:3], v[16:17]
	v_cmp_le_i64_e64 s7, s[38:39], v[2:3]
	s_and_b32 s43, s36, s8
	s_delay_alu instid0(VALU_DEP_2) | instskip(NEXT) | instid1(SALU_CYCLE_1)
	s_or_b32 s8, s3, s9
	s_or_b32 s8, s8, s43
	s_delay_alu instid0(VALU_DEP_1) | instid1(SALU_CYCLE_1)
	s_or_b32 s8, s7, s8
	s_delay_alu instid0(SALU_CYCLE_1) | instskip(NEXT) | instid1(SALU_CYCLE_1)
	s_xor_b32 s8, s8, -1
	s_and_saveexec_b32 s9, s8
	s_delay_alu instid0(SALU_CYCLE_1)
	s_xor_b32 s8, exec_lo, s9
	s_cbranch_execz .LBB122_17
; %bb.16:                               ;   in Loop: Header=BB122_7 Depth=2
	global_load_b128 v[68:71], v[50:51], off
	s_waitcnt vmcnt(0)
	ds_store_2addr_b64 v58, v[68:69], v[70:71] offset1:1
.LBB122_17:                             ;   in Loop: Header=BB122_7 Depth=2
	s_and_not1_saveexec_b32 s8, s8
	s_cbranch_execz .LBB122_23
; %bb.18:                               ;   in Loop: Header=BB122_7 Depth=2
	s_xor_b32 s9, s43, -1
	s_delay_alu instid0(SALU_CYCLE_1) | instskip(NEXT) | instid1(SALU_CYCLE_1)
	s_and_saveexec_b32 s43, s9
	s_xor_b32 s9, exec_lo, s43
	s_cbranch_execz .LBB122_20
; %bb.19:                               ;   in Loop: Header=BB122_7 Depth=2
	v_mov_b32_e32 v68, v0
	v_mov_b32_e32 v69, v0
	v_mov_b32_e32 v70, v0
	v_mov_b32_e32 v71, v0
	ds_store_b128 v58, v[68:71]
.LBB122_20:                             ;   in Loop: Header=BB122_7 Depth=2
	s_and_not1_saveexec_b32 s9, s9
	s_cbranch_execz .LBB122_22
; %bb.21:                               ;   in Loop: Header=BB122_7 Depth=2
	v_mov_b32_e32 v2, v0
	v_mov_b32_e32 v3, v0
	ds_store_b128 v58, v[0:3]
.LBB122_22:                             ;   in Loop: Header=BB122_7 Depth=2
	s_or_b32 exec_lo, exec_lo, s9
.LBB122_23:                             ;   in Loop: Header=BB122_7 Depth=2
	s_delay_alu instid0(SALU_CYCLE_1) | instskip(SKIP_2) | instid1(VALU_DEP_2)
	s_or_b32 exec_lo, exec_lo, s8
	v_cmp_eq_u64_e64 s8, s[28:29], v[26:27]
	v_cmp_gt_i64_e64 s9, v[48:49], v[22:23]
	s_and_b32 s8, s36, s8
	s_delay_alu instid0(VALU_DEP_1) | instskip(NEXT) | instid1(SALU_CYCLE_1)
	s_or_b32 s9, s4, s9
	s_or_b32 s9, s9, s8
	s_delay_alu instid0(SALU_CYCLE_1) | instskip(NEXT) | instid1(SALU_CYCLE_1)
	s_or_b32 s6, s6, s9
	s_xor_b32 s6, s6, -1
	s_delay_alu instid0(SALU_CYCLE_1) | instskip(NEXT) | instid1(SALU_CYCLE_1)
	s_and_saveexec_b32 s9, s6
	s_xor_b32 s9, exec_lo, s9
	s_cbranch_execz .LBB122_25
; %bb.24:                               ;   in Loop: Header=BB122_7 Depth=2
	v_add_co_u32 v2, s6, v20, v54
	s_delay_alu instid0(VALU_DEP_1)
	v_add_co_ci_u32_e64 v3, s6, 0, v21, s6
	global_load_b128 v[48:51], v[2:3], off
	s_waitcnt vmcnt(0)
	ds_store_2addr_b64 v59, v[48:49], v[50:51] offset1:1
.LBB122_25:                             ;   in Loop: Header=BB122_7 Depth=2
	s_and_not1_saveexec_b32 s6, s9
	s_cbranch_execz .LBB122_31
; %bb.26:                               ;   in Loop: Header=BB122_7 Depth=2
	s_xor_b32 s8, s8, -1
	s_delay_alu instid0(SALU_CYCLE_1) | instskip(NEXT) | instid1(SALU_CYCLE_1)
	s_and_saveexec_b32 s9, s8
	s_xor_b32 s8, exec_lo, s9
	s_cbranch_execz .LBB122_28
; %bb.27:                               ;   in Loop: Header=BB122_7 Depth=2
	v_mov_b32_e32 v48, v0
	v_mov_b32_e32 v49, v0
	;; [unrolled: 1-line block ×4, first 2 shown]
	ds_store_b128 v59, v[48:51]
.LBB122_28:                             ;   in Loop: Header=BB122_7 Depth=2
	s_and_not1_saveexec_b32 s8, s8
	s_cbranch_execz .LBB122_30
; %bb.29:                               ;   in Loop: Header=BB122_7 Depth=2
	v_mov_b32_e32 v2, v0
	v_mov_b32_e32 v3, v0
	ds_store_b128 v59, v[0:3]
.LBB122_30:                             ;   in Loop: Header=BB122_7 Depth=2
	s_or_b32 exec_lo, exec_lo, s8
.LBB122_31:                             ;   in Loop: Header=BB122_7 Depth=2
	s_delay_alu instid0(SALU_CYCLE_1) | instskip(SKIP_1) | instid1(SALU_CYCLE_1)
	s_or_b32 exec_lo, exec_lo, s6
	s_or_b32 s5, s4, s5
	s_or_b32 s5, s5, s31
	s_delay_alu instid0(SALU_CYCLE_1) | instskip(NEXT) | instid1(SALU_CYCLE_1)
	s_or_b32 s5, s7, s5
	s_xor_b32 s5, s5, -1
	s_delay_alu instid0(SALU_CYCLE_1) | instskip(NEXT) | instid1(SALU_CYCLE_1)
	s_and_saveexec_b32 s6, s5
	s_xor_b32 s6, exec_lo, s6
	s_cbranch_execz .LBB122_33
; %bb.32:                               ;   in Loop: Header=BB122_7 Depth=2
	v_add_co_u32 v2, s5, v20, v54
	s_delay_alu instid0(VALU_DEP_1)
	v_add_co_ci_u32_e64 v3, s5, 0, v21, s5
	global_load_b128 v[48:51], v[2:3], off offset:256
	s_waitcnt vmcnt(0)
	ds_store_2addr_b64 v61, v[48:49], v[50:51] offset1:1
.LBB122_33:                             ;   in Loop: Header=BB122_7 Depth=2
	s_and_not1_saveexec_b32 s5, s6
	s_cbranch_execz .LBB122_39
; %bb.34:                               ;   in Loop: Header=BB122_7 Depth=2
	s_and_saveexec_b32 s6, s30
	s_delay_alu instid0(SALU_CYCLE_1)
	s_xor_b32 s6, exec_lo, s6
	s_cbranch_execz .LBB122_36
; %bb.35:                               ;   in Loop: Header=BB122_7 Depth=2
	v_mov_b32_e32 v48, v0
	v_mov_b32_e32 v49, v0
	;; [unrolled: 1-line block ×4, first 2 shown]
	ds_store_b128 v61, v[48:51]
.LBB122_36:                             ;   in Loop: Header=BB122_7 Depth=2
	s_and_not1_saveexec_b32 s6, s6
	s_cbranch_execz .LBB122_38
; %bb.37:                               ;   in Loop: Header=BB122_7 Depth=2
	v_mov_b32_e32 v2, v0
	v_mov_b32_e32 v3, v0
	ds_store_b128 v61, v[0:3]
.LBB122_38:                             ;   in Loop: Header=BB122_7 Depth=2
	s_or_b32 exec_lo, exec_lo, s6
.LBB122_39:                             ;   in Loop: Header=BB122_7 Depth=2
	s_delay_alu instid0(SALU_CYCLE_1) | instskip(SKIP_1) | instid1(VALU_DEP_1)
	s_or_b32 exec_lo, exec_lo, s5
	v_add_co_u32 v2, s5, v53, s28
	v_add_co_ci_u32_e64 v3, null, 0, s29, s5
	v_add_co_u32 v48, s6, v30, v8
	s_delay_alu instid0(VALU_DEP_1) | instskip(NEXT) | instid1(VALU_DEP_3)
	v_add_co_ci_u32_e64 v49, s6, v31, v9, s6
	v_cmp_le_i64_e64 s5, s[38:39], v[2:3]
	s_delay_alu instid0(VALU_DEP_1) | instskip(NEXT) | instid1(SALU_CYCLE_1)
	s_or_b32 s6, s5, vcc_lo
	s_xor_b32 s6, s6, -1
	s_delay_alu instid0(SALU_CYCLE_1) | instskip(NEXT) | instid1(SALU_CYCLE_1)
	s_and_saveexec_b32 s7, s6
	s_xor_b32 s6, exec_lo, s7
	s_cbranch_execz .LBB122_41
; %bb.40:                               ;   in Loop: Header=BB122_7 Depth=2
	global_load_b128 v[68:71], v[48:49], off offset:-256
	s_waitcnt vmcnt(0)
	ds_store_2addr_b64 v60, v[68:69], v[70:71] offset1:1
.LBB122_41:                             ;   in Loop: Header=BB122_7 Depth=2
	s_and_not1_saveexec_b32 s6, s6
	s_cbranch_execz .LBB122_43
; %bb.42:                               ;   in Loop: Header=BB122_7 Depth=2
	v_mov_b32_e32 v68, v0
	v_mov_b32_e32 v69, v0
	;; [unrolled: 1-line block ×4, first 2 shown]
	ds_store_b128 v60, v[68:71]
.LBB122_43:                             ;   in Loop: Header=BB122_7 Depth=2
	s_or_b32 exec_lo, exec_lo, s6
	s_or_b32 s5, s5, s0
	s_delay_alu instid0(SALU_CYCLE_1) | instskip(NEXT) | instid1(SALU_CYCLE_1)
	s_xor_b32 s5, s5, -1
	s_and_saveexec_b32 s6, s5
	s_delay_alu instid0(SALU_CYCLE_1)
	s_xor_b32 s5, exec_lo, s6
	s_cbranch_execz .LBB122_45
; %bb.44:                               ;   in Loop: Header=BB122_7 Depth=2
	global_load_b128 v[48:51], v[48:49], off
	s_waitcnt vmcnt(0)
	ds_store_2addr_b64 v62, v[48:49], v[50:51] offset1:1
.LBB122_45:                             ;   in Loop: Header=BB122_7 Depth=2
	s_and_not1_saveexec_b32 s5, s5
	s_cbranch_execz .LBB122_47
; %bb.46:                               ;   in Loop: Header=BB122_7 Depth=2
	v_mov_b32_e32 v48, v0
	v_mov_b32_e32 v49, v0
	;; [unrolled: 1-line block ×4, first 2 shown]
	ds_store_b128 v62, v[48:51]
.LBB122_47:                             ;   in Loop: Header=BB122_7 Depth=2
	s_or_b32 exec_lo, exec_lo, s5
	v_cmp_le_i64_e64 s5, s[12:13], v[2:3]
	s_delay_alu instid0(VALU_DEP_1) | instskip(NEXT) | instid1(SALU_CYCLE_1)
	s_or_b32 s6, s5, vcc_lo
	s_xor_b32 s6, s6, -1
	s_delay_alu instid0(SALU_CYCLE_1) | instskip(NEXT) | instid1(SALU_CYCLE_1)
	s_and_saveexec_b32 s7, s6
	s_xor_b32 s7, exec_lo, s7
	s_cbranch_execz .LBB122_49
; %bb.48:                               ;   in Loop: Header=BB122_7 Depth=2
	v_add_co_u32 v2, s6, v30, v10
	s_delay_alu instid0(VALU_DEP_1)
	v_add_co_ci_u32_e64 v3, s6, v31, v11, s6
	global_load_b128 v[48:51], v[2:3], off offset:-256
	s_waitcnt vmcnt(0)
	ds_store_2addr_b64 v63, v[48:49], v[50:51] offset1:1
.LBB122_49:                             ;   in Loop: Header=BB122_7 Depth=2
	s_and_not1_saveexec_b32 s6, s7
	s_cbranch_execz .LBB122_51
; %bb.50:                               ;   in Loop: Header=BB122_7 Depth=2
	v_mov_b32_e32 v48, v0
	v_mov_b32_e32 v49, v0
	;; [unrolled: 1-line block ×4, first 2 shown]
	ds_store_b128 v63, v[48:51]
.LBB122_51:                             ;   in Loop: Header=BB122_7 Depth=2
	s_or_b32 exec_lo, exec_lo, s6
	s_or_b32 s5, s5, s0
	s_delay_alu instid0(SALU_CYCLE_1) | instskip(NEXT) | instid1(SALU_CYCLE_1)
	s_xor_b32 s5, s5, -1
	s_and_saveexec_b32 s6, s5
	s_delay_alu instid0(SALU_CYCLE_1)
	s_xor_b32 s6, exec_lo, s6
	s_cbranch_execz .LBB122_53
; %bb.52:                               ;   in Loop: Header=BB122_7 Depth=2
	v_add_co_u32 v2, s5, v30, v10
	s_delay_alu instid0(VALU_DEP_1)
	v_add_co_ci_u32_e64 v3, s5, v31, v11, s5
	global_load_b128 v[48:51], v[2:3], off
	s_waitcnt vmcnt(0)
	ds_store_2addr_b64 v64, v[48:49], v[50:51] offset1:1
.LBB122_53:                             ;   in Loop: Header=BB122_7 Depth=2
	s_and_not1_saveexec_b32 s5, s6
	s_cbranch_execz .LBB122_6
; %bb.54:                               ;   in Loop: Header=BB122_7 Depth=2
	v_mov_b32_e32 v48, v0
	v_mov_b32_e32 v49, v0
	;; [unrolled: 1-line block ×4, first 2 shown]
	ds_store_b128 v64, v[48:51]
	s_branch .LBB122_6
.LBB122_55:                             ;   in Loop: Header=BB122_4 Depth=1
	v_mul_lo_u32 v7, v17, s40
	v_mul_lo_u32 v17, v16, s41
	v_mad_u64_u32 v[2:3], null, v16, s40, 0
	v_cmp_gt_i32_e64 s3, s38, v16
	s_delay_alu instid0(VALU_DEP_2) | instskip(NEXT) | instid1(VALU_DEP_1)
	v_add3_u32 v3, v3, v17, v7
	v_lshlrev_b64 v[2:3], 4, v[2:3]
	s_delay_alu instid0(VALU_DEP_1) | instskip(NEXT) | instid1(VALU_DEP_1)
	v_add_co_u32 v2, s4, s35, v2
	v_add_co_ci_u32_e64 v3, s4, s42, v3, s4
	s_and_b32 s4, s1, s3
	s_delay_alu instid0(SALU_CYCLE_1)
	s_and_saveexec_b32 s5, s4
	s_cbranch_execz .LBB122_57
; %bb.56:                               ;   in Loop: Header=BB122_4 Depth=1
	v_add_co_u32 v21, s4, v2, v12
	s_delay_alu instid0(VALU_DEP_1)
	v_add_co_ci_u32_e64 v22, s4, v3, v13, s4
	v_mul_f64 v[23:24], s[18:19], v[42:43]
	v_mul_f64 v[25:26], s[16:17], v[42:43]
	global_load_b128 v[17:20], v[21:22], off
	v_fma_f64 v[23:24], s[16:17], v[40:41], -v[23:24]
	v_fma_f64 v[25:26], s[18:19], v[40:41], v[25:26]
	s_waitcnt vmcnt(0)
	s_delay_alu instid0(VALU_DEP_2) | instskip(NEXT) | instid1(VALU_DEP_2)
	v_add_f64 v[17:18], v[17:18], v[23:24]
	v_add_f64 v[19:20], v[19:20], v[25:26]
	global_store_b128 v[21:22], v[17:20], off
.LBB122_57:                             ;   in Loop: Header=BB122_4 Depth=1
	s_or_b32 exec_lo, exec_lo, s5
	s_and_b32 s3, s2, s3
	s_delay_alu instid0(SALU_CYCLE_1)
	s_and_saveexec_b32 s4, s3
	s_cbranch_execz .LBB122_59
; %bb.58:                               ;   in Loop: Header=BB122_4 Depth=1
	v_lshlrev_b64 v[17:18], 4, v[4:5]
	v_mul_f64 v[21:22], s[18:19], v[38:39]
	v_mul_f64 v[23:24], s[16:17], v[38:39]
	s_delay_alu instid0(VALU_DEP_3) | instskip(NEXT) | instid1(VALU_DEP_1)
	v_add_co_u32 v2, s3, v2, v17
	v_add_co_ci_u32_e64 v3, s3, v3, v18, s3
	global_load_b128 v[17:20], v[2:3], off
	v_fma_f64 v[21:22], s[16:17], v[36:37], -v[21:22]
	v_fma_f64 v[23:24], s[18:19], v[36:37], v[23:24]
	s_waitcnt vmcnt(0)
	s_delay_alu instid0(VALU_DEP_2) | instskip(NEXT) | instid1(VALU_DEP_2)
	v_add_f64 v[17:18], v[17:18], v[21:22]
	v_add_f64 v[19:20], v[19:20], v[23:24]
	global_store_b128 v[2:3], v[17:20], off
.LBB122_59:                             ;   in Loop: Header=BB122_4 Depth=1
	s_or_b32 exec_lo, exec_lo, s4
	v_add_nc_u32_e32 v7, 16, v16
	s_delay_alu instid0(VALU_DEP_1) | instskip(SKIP_3) | instid1(VALU_DEP_4)
	v_ashrrev_i32_e32 v16, 31, v7
	v_mul_lo_u32 v17, v7, s41
	v_mad_u64_u32 v[2:3], null, v7, s40, 0
	v_cmp_gt_i32_e64 s3, s38, v7
	v_mul_lo_u32 v16, v16, s40
	s_delay_alu instid0(VALU_DEP_1) | instskip(NEXT) | instid1(VALU_DEP_1)
	v_add3_u32 v3, v3, v17, v16
	v_lshlrev_b64 v[2:3], 4, v[2:3]
	s_delay_alu instid0(VALU_DEP_1) | instskip(NEXT) | instid1(VALU_DEP_1)
	v_add_co_u32 v2, s4, s35, v2
	v_add_co_ci_u32_e64 v3, s4, s42, v3, s4
	s_and_b32 s4, s1, s3
	s_delay_alu instid0(SALU_CYCLE_1)
	s_and_saveexec_b32 s5, s4
	s_cbranch_execz .LBB122_61
; %bb.60:                               ;   in Loop: Header=BB122_4 Depth=1
	v_add_co_u32 v20, s4, v2, v12
	s_delay_alu instid0(VALU_DEP_1)
	v_add_co_ci_u32_e64 v21, s4, v3, v13, s4
	v_mul_f64 v[22:23], s[18:19], v[34:35]
	v_mul_f64 v[24:25], s[16:17], v[34:35]
	global_load_b128 v[16:19], v[20:21], off
	v_fma_f64 v[22:23], s[16:17], v[32:33], -v[22:23]
	v_fma_f64 v[24:25], s[18:19], v[32:33], v[24:25]
	s_waitcnt vmcnt(0)
	s_delay_alu instid0(VALU_DEP_2) | instskip(NEXT) | instid1(VALU_DEP_2)
	v_add_f64 v[16:17], v[16:17], v[22:23]
	v_add_f64 v[18:19], v[18:19], v[24:25]
	global_store_b128 v[20:21], v[16:19], off
.LBB122_61:                             ;   in Loop: Header=BB122_4 Depth=1
	s_or_b32 exec_lo, exec_lo, s5
	s_and_b32 s3, s2, s3
	s_delay_alu instid0(SALU_CYCLE_1)
	s_and_saveexec_b32 s4, s3
	s_cbranch_execz .LBB122_3
; %bb.62:                               ;   in Loop: Header=BB122_4 Depth=1
	v_lshlrev_b64 v[16:17], 4, v[4:5]
	v_mul_f64 v[20:21], s[18:19], v[44:45]
	v_mul_f64 v[22:23], s[16:17], v[44:45]
	s_delay_alu instid0(VALU_DEP_3) | instskip(NEXT) | instid1(VALU_DEP_1)
	v_add_co_u32 v2, s3, v2, v16
	v_add_co_ci_u32_e64 v3, s3, v3, v17, s3
	global_load_b128 v[16:19], v[2:3], off
	v_fma_f64 v[20:21], s[16:17], v[46:47], -v[20:21]
	v_fma_f64 v[22:23], s[18:19], v[46:47], v[22:23]
	s_waitcnt vmcnt(0)
	s_delay_alu instid0(VALU_DEP_2) | instskip(NEXT) | instid1(VALU_DEP_2)
	v_add_f64 v[16:17], v[16:17], v[20:21]
	v_add_f64 v[18:19], v[18:19], v[22:23]
	global_store_b128 v[2:3], v[16:19], off
	s_branch .LBB122_3
.LBB122_63:
	s_nop 0
	s_sendmsg sendmsg(MSG_DEALLOC_VGPRS)
	s_endpgm
	.section	.rodata,"a",@progbits
	.p2align	6, 0x0
	.amdhsa_kernel _ZL30rocblas_trmm_outofplace_kernelI19rocblas_complex_numIdELi32ELi2ELb0ELb1ELb0ELb0EPKS1_S2_S1_Ev17rocblas_diagonal_iiT6_lPT7_lllS7_lllPT8_llli
		.amdhsa_group_segment_fixed_size 32768
		.amdhsa_private_segment_fixed_size 0
		.amdhsa_kernarg_size 392
		.amdhsa_user_sgpr_count 13
		.amdhsa_user_sgpr_dispatch_ptr 0
		.amdhsa_user_sgpr_queue_ptr 0
		.amdhsa_user_sgpr_kernarg_segment_ptr 1
		.amdhsa_user_sgpr_dispatch_id 0
		.amdhsa_user_sgpr_private_segment_size 0
		.amdhsa_wavefront_size32 1
		.amdhsa_uses_dynamic_stack 0
		.amdhsa_enable_private_segment 0
		.amdhsa_system_sgpr_workgroup_id_x 1
		.amdhsa_system_sgpr_workgroup_id_y 1
		.amdhsa_system_sgpr_workgroup_id_z 1
		.amdhsa_system_sgpr_workgroup_info 0
		.amdhsa_system_vgpr_workitem_id 1
		.amdhsa_next_free_vgpr 88
		.amdhsa_next_free_sgpr 44
		.amdhsa_reserve_vcc 1
		.amdhsa_float_round_mode_32 0
		.amdhsa_float_round_mode_16_64 0
		.amdhsa_float_denorm_mode_32 3
		.amdhsa_float_denorm_mode_16_64 3
		.amdhsa_dx10_clamp 1
		.amdhsa_ieee_mode 1
		.amdhsa_fp16_overflow 0
		.amdhsa_workgroup_processor_mode 1
		.amdhsa_memory_ordered 1
		.amdhsa_forward_progress 0
		.amdhsa_shared_vgpr_count 0
		.amdhsa_exception_fp_ieee_invalid_op 0
		.amdhsa_exception_fp_denorm_src 0
		.amdhsa_exception_fp_ieee_div_zero 0
		.amdhsa_exception_fp_ieee_overflow 0
		.amdhsa_exception_fp_ieee_underflow 0
		.amdhsa_exception_fp_ieee_inexact 0
		.amdhsa_exception_int_div_zero 0
	.end_amdhsa_kernel
	.section	.text._ZL30rocblas_trmm_outofplace_kernelI19rocblas_complex_numIdELi32ELi2ELb0ELb1ELb0ELb0EPKS1_S2_S1_Ev17rocblas_diagonal_iiT6_lPT7_lllS7_lllPT8_llli,"axG",@progbits,_ZL30rocblas_trmm_outofplace_kernelI19rocblas_complex_numIdELi32ELi2ELb0ELb1ELb0ELb0EPKS1_S2_S1_Ev17rocblas_diagonal_iiT6_lPT7_lllS7_lllPT8_llli,comdat
.Lfunc_end122:
	.size	_ZL30rocblas_trmm_outofplace_kernelI19rocblas_complex_numIdELi32ELi2ELb0ELb1ELb0ELb0EPKS1_S2_S1_Ev17rocblas_diagonal_iiT6_lPT7_lllS7_lllPT8_llli, .Lfunc_end122-_ZL30rocblas_trmm_outofplace_kernelI19rocblas_complex_numIdELi32ELi2ELb0ELb1ELb0ELb0EPKS1_S2_S1_Ev17rocblas_diagonal_iiT6_lPT7_lllS7_lllPT8_llli
                                        ; -- End function
	.section	.AMDGPU.csdata,"",@progbits
; Kernel info:
; codeLenInByte = 11552
; NumSgprs: 46
; NumVgprs: 88
; ScratchSize: 0
; MemoryBound: 0
; FloatMode: 240
; IeeeMode: 1
; LDSByteSize: 32768 bytes/workgroup (compile time only)
; SGPRBlocks: 5
; VGPRBlocks: 10
; NumSGPRsForWavesPerEU: 46
; NumVGPRsForWavesPerEU: 88
; Occupancy: 16
; WaveLimiterHint : 0
; COMPUTE_PGM_RSRC2:SCRATCH_EN: 0
; COMPUTE_PGM_RSRC2:USER_SGPR: 13
; COMPUTE_PGM_RSRC2:TRAP_HANDLER: 0
; COMPUTE_PGM_RSRC2:TGID_X_EN: 1
; COMPUTE_PGM_RSRC2:TGID_Y_EN: 1
; COMPUTE_PGM_RSRC2:TGID_Z_EN: 1
; COMPUTE_PGM_RSRC2:TIDIG_COMP_CNT: 1
	.section	.text._ZL30rocblas_trmm_outofplace_kernelI19rocblas_complex_numIdELi32ELi2ELb0ELb1ELb0ELb0ES1_KS1_S1_Ev17rocblas_diagonal_iiT6_lPT7_lllS6_lllPT8_llli,"axG",@progbits,_ZL30rocblas_trmm_outofplace_kernelI19rocblas_complex_numIdELi32ELi2ELb0ELb1ELb0ELb0ES1_KS1_S1_Ev17rocblas_diagonal_iiT6_lPT7_lllS6_lllPT8_llli,comdat
	.globl	_ZL30rocblas_trmm_outofplace_kernelI19rocblas_complex_numIdELi32ELi2ELb0ELb1ELb0ELb0ES1_KS1_S1_Ev17rocblas_diagonal_iiT6_lPT7_lllS6_lllPT8_llli ; -- Begin function _ZL30rocblas_trmm_outofplace_kernelI19rocblas_complex_numIdELi32ELi2ELb0ELb1ELb0ELb0ES1_KS1_S1_Ev17rocblas_diagonal_iiT6_lPT7_lllS6_lllPT8_llli
	.p2align	8
	.type	_ZL30rocblas_trmm_outofplace_kernelI19rocblas_complex_numIdELi32ELi2ELb0ELb1ELb0ELb0ES1_KS1_S1_Ev17rocblas_diagonal_iiT6_lPT7_lllS6_lllPT8_llli,@function
_ZL30rocblas_trmm_outofplace_kernelI19rocblas_complex_numIdELi32ELi2ELb0ELb1ELb0ELb0ES1_KS1_S1_Ev17rocblas_diagonal_iiT6_lPT7_lllS6_lllPT8_llli: ; @_ZL30rocblas_trmm_outofplace_kernelI19rocblas_complex_numIdELi32ELi2ELb0ELb1ELb0ELb0ES1_KS1_S1_Ev17rocblas_diagonal_iiT6_lPT7_lllS6_lllPT8_llli
; %bb.0:
	s_load_b128 s[44:47], s[0:1], 0x10
	s_waitcnt lgkmcnt(0)
	v_cmp_eq_f64_e64 s2, s[44:45], 0
	v_cmp_eq_f64_e64 s3, s[46:47], 0
	s_delay_alu instid0(VALU_DEP_1) | instskip(NEXT) | instid1(SALU_CYCLE_1)
	s_and_b32 s2, s2, s3
	s_and_b32 vcc_lo, exec_lo, s2
	s_cbranch_vccnz .LBB123_63
; %bb.1:
	s_load_b128 s[8:11], s[0:1], 0x0
	s_waitcnt lgkmcnt(0)
	s_add_i32 s2, s10, -1
	s_delay_alu instid0(SALU_CYCLE_1) | instskip(NEXT) | instid1(SALU_CYCLE_1)
	s_ashr_i32 s3, s2, 31
	s_lshr_b32 s3, s3, 27
	s_delay_alu instid0(SALU_CYCLE_1) | instskip(NEXT) | instid1(SALU_CYCLE_1)
	s_add_i32 s2, s2, s3
	s_ashr_i32 s33, s2, 5
	s_delay_alu instid0(SALU_CYCLE_1)
	s_cmp_gt_i32 s14, s33
	s_cbranch_scc1 .LBB123_63
; %bb.2:
	s_clause 0x1
	s_load_b256 s[36:43], s[0:1], 0x68
	s_load_b512 s[16:31], s[0:1], 0x28
	v_bfe_u32 v53, v0, 10, 10
	s_load_b32 s48, s[0:1], 0x94
	s_delay_alu instid0(VALU_DEP_1)
	v_lshl_add_u32 v14, v53, 4, 0x100
	v_lshlrev_b32_e32 v55, 9, v53
	v_lshl_add_u32 v6, s14, 5, v53
	s_waitcnt lgkmcnt(0)
	s_mul_i32 s1, s15, s43
	s_mul_hi_u32 s2, s15, s42
	v_mad_u64_u32 v[7:8], null, s28, v53, 0
	v_and_b32_e32 v52, 0x3ff, v0
	s_mul_i32 s0, s15, s42
	s_add_i32 s1, s2, s1
	v_mad_u64_u32 v[10:11], null, s28, v14, 0
	s_lshl_b64 s[0:1], s[0:1], 4
	v_lshl_add_u32 v1, s13, 5, v52
	s_add_u32 s2, s36, s0
	s_addc_u32 s3, s37, s1
	s_lshl_b64 s[0:1], s[38:39], 4
	s_mul_hi_u32 s4, s30, s15
	s_add_u32 s36, s2, s0
	v_ashrrev_i32_e32 v2, 31, v1
	s_addc_u32 s37, s3, s1
	s_cmpk_eq_i32 s8, 0x84
	v_sub_co_u32 v3, vcc_lo, s9, v1
	s_cselect_b32 s38, -1, 0
	s_ashr_i32 s0, s9, 31
	s_ashr_i32 s11, s10, 31
	v_sub_co_ci_u32_e32 v4, vcc_lo, s0, v2, vcc_lo
	s_lshl_b64 s[12:13], s[28:29], 9
	s_add_u32 s34, s10, -16
	s_addc_u32 s35, s11, -1
	s_delay_alu instid0(VALU_DEP_1) | instskip(SKIP_3) | instid1(VALU_DEP_1)
	v_cmp_gt_i64_e32 vcc_lo, 1, v[3:4]
	v_cmp_gt_i64_e64 s0, 17, v[3:4]
	v_dual_mov_b32 v3, v8 :: v_dual_add_nc_u32 v4, 16, v1
	v_sub_co_u32 v66, s3, 0, v52
	v_sub_co_ci_u32_e64 v67, null, 0, 0, s3
	s_mul_i32 s3, s31, s15
	s_delay_alu instid0(VALU_DEP_3)
	v_mad_u64_u32 v[8:9], null, s29, v53, v[3:4]
	s_add_i32 s5, s4, s3
	s_mul_i32 s4, s30, s15
	s_lshl_b64 s[6:7], s[26:27], 4
	s_lshl_b64 s[4:5], s[4:5], 4
	v_lshlrev_b64 v[12:13], 4, v[1:2]
	v_lshlrev_b32_e32 v54, 4, v52
	s_lshl_b32 s30, s48, 5
	s_add_u32 s3, s4, s6
	v_cmp_gt_i32_e64 s1, s9, v1
	v_mov_b32_e32 v1, v11
	s_addc_u32 s4, s5, s7
	s_add_u32 s3, s24, s3
	v_or_b32_e32 v57, 0x4000, v54
	v_lshlrev_b64 v[8:9], 4, v[7:8]
	s_addc_u32 s7, s25, s4
	v_add_co_u32 v7, s3, s3, v12
	s_mul_i32 s5, s23, s15
	s_mul_hi_u32 s6, s22, s15
	v_add_co_ci_u32_e64 v11, s3, s7, v13, s3
	v_mad_u64_u32 v[2:3], null, s29, v14, v[1:2]
	s_add_i32 s5, s6, s5
	s_mul_i32 s4, s22, s15
	v_mov_b32_e32 v0, 0
	v_add_nc_u32_e32 v56, v55, v54
	v_dual_mov_b32 v1, 0x3ff00000 :: v_dual_add_nc_u32 v60, v57, v55
	v_add_co_u32 v14, s3, 0x100, v7
	s_lshl_b64 s[4:5], s[4:5], 4
	s_lshl_b64 s[6:7], s[18:19], 4
	v_add_co_ci_u32_e64 v15, s3, 0, v11, s3
	s_add_u32 s3, s4, s6
	s_addc_u32 s4, s5, s7
	v_add_nc_u32_e32 v62, 0x100, v60
	v_add_nc_u32_e32 v63, 0x2000, v60
	v_add_nc_u32_e32 v64, 0x2100, v60
	v_cmp_gt_i32_e64 s2, s9, v4
	v_ashrrev_i32_e32 v5, 31, v4
	v_add_nc_u32_e32 v65, 0x4100, v54
	s_add_u32 s16, s16, s3
	v_dual_mov_b32 v11, v2 :: v_dual_add_nc_u32 v58, 0x100, v56
	v_add_nc_u32_e32 v59, 0x2000, v56
	v_add_nc_u32_e32 v61, 0x2100, v56
	s_addc_u32 s17, s17, s4
	s_add_u32 s18, s16, 0x100
	s_addc_u32 s19, s17, 0
	s_lshl_b64 s[22:23], s[20:21], 4
	s_branch .LBB123_4
.LBB123_3:                              ;   in Loop: Header=BB123_4 Depth=1
	s_or_b32 exec_lo, exec_lo, s4
	v_add_nc_u32_e32 v6, s30, v6
	s_add_i32 s14, s48, s14
	s_delay_alu instid0(SALU_CYCLE_1)
	s_cmp_le_i32 s14, s33
	s_cbranch_scc0 .LBB123_63
.LBB123_4:                              ; =>This Loop Header: Depth=1
                                        ;     Child Loop BB123_7 Depth 2
	s_lshl_b32 s15, s14, 5
	v_mov_b32_e32 v40, 0
	v_dual_mov_b32 v41, 0 :: v_dual_add_nc_u32 v16, s15, v53
	s_delay_alu instid0(VALU_DEP_2) | instskip(SKIP_1) | instid1(VALU_DEP_3)
	v_mov_b32_e32 v36, v40
	v_mov_b32_e32 v38, v40
	v_dual_mov_b32 v32, v40 :: v_dual_mov_b32 v33, v41
	v_dual_mov_b32 v43, v41 :: v_dual_mov_b32 v42, v40
	v_mov_b32_e32 v37, v41
	v_mov_b32_e32 v39, v41
	v_ashrrev_i32_e32 v17, 31, v16
	v_dual_mov_b32 v34, v40 :: v_dual_mov_b32 v35, v41
	v_dual_mov_b32 v47, v41 :: v_dual_mov_b32 v46, v40
	;; [unrolled: 1-line block ×3, first 2 shown]
	s_cmp_lt_i32 s14, 0
	s_cbranch_scc1 .LBB123_55
; %bb.5:                                ;   in Loop: Header=BB123_4 Depth=1
	v_ashrrev_i32_e32 v7, 31, v6
	v_mad_u64_u32 v[18:19], null, s22, v6, s[18:19]
	v_mul_lo_u32 v26, s23, v6
	v_add_co_u32 v22, s4, v16, 16
	s_delay_alu instid0(VALU_DEP_4) | instskip(SKIP_3) | instid1(VALU_DEP_4)
	v_lshlrev_b64 v[2:3], 4, v[6:7]
	v_mul_lo_u32 v27, s22, v7
	v_add_co_ci_u32_e64 v23, s4, 0, v17, s4
	v_add_co_u32 v24, s4, v66, v6
	v_add_co_u32 v2, s3, 0x100, v2
	s_delay_alu instid0(VALU_DEP_1) | instskip(SKIP_1) | instid1(VALU_DEP_3)
	v_add_co_ci_u32_e64 v3, s3, 0, v3, s3
	v_add_co_ci_u32_e64 v25, s4, v67, v7, s4
	v_mul_lo_u32 v28, s21, v2
	s_delay_alu instid0(VALU_DEP_3)
	v_mul_lo_u32 v3, s20, v3
	v_mad_u64_u32 v[20:21], null, s20, v2, s[16:17]
	v_dual_mov_b32 v44, 0 :: v_dual_mov_b32 v31, v15
	v_add3_u32 v19, v26, v19, v27
	v_add_co_u32 v26, s5, v24, 16
	v_dual_mov_b32 v45, 0 :: v_dual_mov_b32 v30, v14
	v_add_co_ci_u32_e64 v27, s5, 0, v25, s5
	v_add3_u32 v21, v28, v21, v3
	v_add_co_u32 v28, s5, v24, -16
	v_cmp_le_i64_e64 s4, s[10:11], v[22:23]
	v_cmp_le_i32_e64 s3, s10, v16
	v_add_co_ci_u32_e64 v29, s5, -1, v25, s5
	v_dual_mov_b32 v47, v45 :: v_dual_mov_b32 v46, v44
	v_dual_mov_b32 v34, v44 :: v_dual_mov_b32 v35, v45
	;; [unrolled: 1-line block ×7, first 2 shown]
	s_mov_b64 s[24:25], 0
	s_branch .LBB123_7
.LBB123_6:                              ;   in Loop: Header=BB123_7 Depth=2
	s_or_b32 exec_lo, exec_lo, s5
	s_waitcnt lgkmcnt(0)
	s_waitcnt_vscnt null, 0x0
	s_barrier
	buffer_gl0_inv
	ds_load_b128 v[48:51], v55
	ds_load_b128 v[68:71], v55 offset:16
	ds_load_b128 v[72:75], v55 offset:32
	;; [unrolled: 1-line block ×3, first 2 shown]
	ds_load_b128 v[80:83], v57
	v_add_co_u32 v30, s5, v30, s12
	s_delay_alu instid0(VALU_DEP_1) | instskip(SKIP_1) | instid1(VALU_DEP_1)
	v_add_co_ci_u32_e64 v31, s5, s13, v31, s5
	v_add_co_u32 v18, s5, 0x200, v18
	v_add_co_ci_u32_e64 v19, s5, 0, v19, s5
	v_add_co_u32 v20, s5, 0x200, v20
	s_add_u32 s24, s24, 32
	v_add_co_ci_u32_e64 v21, s5, 0, v21, s5
	s_addc_u32 s25, s25, 0
	s_sub_i32 s6, s24, 32
	s_delay_alu instid0(SALU_CYCLE_1) | instskip(SKIP_3) | instid1(VALU_DEP_2)
	s_cmp_ge_i32 s6, s15
	s_waitcnt lgkmcnt(0)
	v_mul_f64 v[2:3], v[50:51], v[82:83]
	v_mul_f64 v[84:85], v[48:49], v[82:83]
	v_fma_f64 v[2:3], v[48:49], v[80:81], -v[2:3]
	s_delay_alu instid0(VALU_DEP_2) | instskip(NEXT) | instid1(VALU_DEP_2)
	v_fma_f64 v[84:85], v[50:51], v[80:81], v[84:85]
	v_add_f64 v[2:3], v[40:41], v[2:3]
	s_delay_alu instid0(VALU_DEP_2) | instskip(SKIP_3) | instid1(VALU_DEP_1)
	v_add_f64 v[84:85], v[42:43], v[84:85]
	ds_load_b128 v[40:43], v65
	s_waitcnt lgkmcnt(0)
	v_mul_f64 v[86:87], v[50:51], v[42:43]
	v_fma_f64 v[86:87], v[48:49], v[40:41], -v[86:87]
	v_mul_f64 v[48:49], v[48:49], v[42:43]
	s_delay_alu instid0(VALU_DEP_1) | instskip(NEXT) | instid1(VALU_DEP_3)
	v_fma_f64 v[48:49], v[50:51], v[40:41], v[48:49]
	v_add_f64 v[50:51], v[36:37], v[86:87]
	s_delay_alu instid0(VALU_DEP_2) | instskip(SKIP_4) | instid1(VALU_DEP_2)
	v_add_f64 v[48:49], v[38:39], v[48:49]
	ds_load_b128 v[36:39], v55 offset:8192
	s_waitcnt lgkmcnt(0)
	v_mul_f64 v[86:87], v[38:39], v[82:83]
	v_mul_f64 v[82:83], v[36:37], v[82:83]
	v_fma_f64 v[86:87], v[36:37], v[80:81], -v[86:87]
	s_delay_alu instid0(VALU_DEP_2) | instskip(NEXT) | instid1(VALU_DEP_2)
	v_fma_f64 v[80:81], v[38:39], v[80:81], v[82:83]
	v_add_f64 v[82:83], v[32:33], v[86:87]
	s_delay_alu instid0(VALU_DEP_2) | instskip(SKIP_2) | instid1(VALU_DEP_2)
	v_add_f64 v[80:81], v[34:35], v[80:81]
	v_mul_f64 v[32:33], v[38:39], v[42:43]
	v_mul_f64 v[34:35], v[36:37], v[42:43]
	v_fma_f64 v[32:33], v[36:37], v[40:41], -v[32:33]
	s_delay_alu instid0(VALU_DEP_2) | instskip(NEXT) | instid1(VALU_DEP_2)
	v_fma_f64 v[34:35], v[38:39], v[40:41], v[34:35]
	v_add_f64 v[46:47], v[46:47], v[32:33]
	s_delay_alu instid0(VALU_DEP_2) | instskip(SKIP_4) | instid1(VALU_DEP_2)
	v_add_f64 v[44:45], v[44:45], v[34:35]
	ds_load_b128 v[32:35], v57 offset:512
	s_waitcnt lgkmcnt(0)
	v_mul_f64 v[36:37], v[70:71], v[34:35]
	v_mul_f64 v[38:39], v[68:69], v[34:35]
	v_fma_f64 v[36:37], v[68:69], v[32:33], -v[36:37]
	s_delay_alu instid0(VALU_DEP_2) | instskip(NEXT) | instid1(VALU_DEP_2)
	v_fma_f64 v[38:39], v[70:71], v[32:33], v[38:39]
	v_add_f64 v[2:3], v[2:3], v[36:37]
	s_delay_alu instid0(VALU_DEP_2) | instskip(SKIP_4) | instid1(VALU_DEP_2)
	v_add_f64 v[84:85], v[84:85], v[38:39]
	ds_load_b128 v[36:39], v65 offset:512
	s_waitcnt lgkmcnt(0)
	;; [unrolled: 10-line block ×3, first 2 shown]
	v_mul_f64 v[68:69], v[42:43], v[34:35]
	v_mul_f64 v[34:35], v[40:41], v[34:35]
	v_fma_f64 v[68:69], v[40:41], v[32:33], -v[68:69]
	s_delay_alu instid0(VALU_DEP_2) | instskip(SKIP_1) | instid1(VALU_DEP_3)
	v_fma_f64 v[32:33], v[42:43], v[32:33], v[34:35]
	v_mul_f64 v[34:35], v[40:41], v[38:39]
	v_add_f64 v[68:69], v[82:83], v[68:69]
	s_delay_alu instid0(VALU_DEP_3) | instskip(SKIP_1) | instid1(VALU_DEP_4)
	v_add_f64 v[70:71], v[80:81], v[32:33]
	v_mul_f64 v[32:33], v[42:43], v[38:39]
	v_fma_f64 v[34:35], v[42:43], v[36:37], v[34:35]
	s_delay_alu instid0(VALU_DEP_2) | instskip(NEXT) | instid1(VALU_DEP_2)
	v_fma_f64 v[32:33], v[40:41], v[36:37], -v[32:33]
	v_add_f64 v[44:45], v[44:45], v[34:35]
	s_delay_alu instid0(VALU_DEP_2) | instskip(SKIP_4) | instid1(VALU_DEP_2)
	v_add_f64 v[46:47], v[46:47], v[32:33]
	ds_load_b128 v[32:35], v57 offset:1024
	s_waitcnt lgkmcnt(0)
	v_mul_f64 v[36:37], v[74:75], v[34:35]
	v_mul_f64 v[38:39], v[72:73], v[34:35]
	v_fma_f64 v[36:37], v[72:73], v[32:33], -v[36:37]
	s_delay_alu instid0(VALU_DEP_2) | instskip(NEXT) | instid1(VALU_DEP_2)
	v_fma_f64 v[38:39], v[74:75], v[32:33], v[38:39]
	v_add_f64 v[2:3], v[2:3], v[36:37]
	s_delay_alu instid0(VALU_DEP_2) | instskip(SKIP_4) | instid1(VALU_DEP_2)
	v_add_f64 v[80:81], v[84:85], v[38:39]
	ds_load_b128 v[36:39], v65 offset:1024
	s_waitcnt lgkmcnt(0)
	v_mul_f64 v[40:41], v[74:75], v[38:39]
	v_mul_f64 v[42:43], v[72:73], v[38:39]
	v_fma_f64 v[40:41], v[72:73], v[36:37], -v[40:41]
	s_delay_alu instid0(VALU_DEP_2) | instskip(NEXT) | instid1(VALU_DEP_2)
	v_fma_f64 v[42:43], v[74:75], v[36:37], v[42:43]
	v_add_f64 v[50:51], v[50:51], v[40:41]
	s_delay_alu instid0(VALU_DEP_2) | instskip(SKIP_4) | instid1(VALU_DEP_2)
	v_add_f64 v[48:49], v[48:49], v[42:43]
	ds_load_b128 v[40:43], v55 offset:8224
	s_waitcnt lgkmcnt(0)
	v_mul_f64 v[72:73], v[42:43], v[34:35]
	v_mul_f64 v[34:35], v[40:41], v[34:35]
	v_fma_f64 v[72:73], v[40:41], v[32:33], -v[72:73]
	s_delay_alu instid0(VALU_DEP_2) | instskip(SKIP_1) | instid1(VALU_DEP_3)
	v_fma_f64 v[32:33], v[42:43], v[32:33], v[34:35]
	v_mul_f64 v[34:35], v[40:41], v[38:39]
	v_add_f64 v[68:69], v[68:69], v[72:73]
	s_delay_alu instid0(VALU_DEP_3) | instskip(SKIP_1) | instid1(VALU_DEP_4)
	v_add_f64 v[70:71], v[70:71], v[32:33]
	v_mul_f64 v[32:33], v[42:43], v[38:39]
	v_fma_f64 v[34:35], v[42:43], v[36:37], v[34:35]
	s_delay_alu instid0(VALU_DEP_2) | instskip(NEXT) | instid1(VALU_DEP_2)
	v_fma_f64 v[32:33], v[40:41], v[36:37], -v[32:33]
	v_add_f64 v[44:45], v[44:45], v[34:35]
	s_delay_alu instid0(VALU_DEP_2) | instskip(SKIP_4) | instid1(VALU_DEP_2)
	v_add_f64 v[46:47], v[46:47], v[32:33]
	ds_load_b128 v[32:35], v57 offset:1536
	s_waitcnt lgkmcnt(0)
	v_mul_f64 v[36:37], v[78:79], v[34:35]
	v_mul_f64 v[38:39], v[76:77], v[34:35]
	v_fma_f64 v[36:37], v[76:77], v[32:33], -v[36:37]
	s_delay_alu instid0(VALU_DEP_2) | instskip(NEXT) | instid1(VALU_DEP_2)
	v_fma_f64 v[38:39], v[78:79], v[32:33], v[38:39]
	v_add_f64 v[2:3], v[2:3], v[36:37]
	s_delay_alu instid0(VALU_DEP_2) | instskip(SKIP_4) | instid1(VALU_DEP_2)
	v_add_f64 v[72:73], v[80:81], v[38:39]
	ds_load_b128 v[36:39], v65 offset:1536
	s_waitcnt lgkmcnt(0)
	v_mul_f64 v[40:41], v[78:79], v[38:39]
	v_mul_f64 v[42:43], v[76:77], v[38:39]
	v_fma_f64 v[40:41], v[76:77], v[36:37], -v[40:41]
	s_delay_alu instid0(VALU_DEP_2) | instskip(NEXT) | instid1(VALU_DEP_2)
	v_fma_f64 v[42:43], v[78:79], v[36:37], v[42:43]
	v_add_f64 v[50:51], v[50:51], v[40:41]
	s_delay_alu instid0(VALU_DEP_2) | instskip(SKIP_4) | instid1(VALU_DEP_2)
	v_add_f64 v[48:49], v[48:49], v[42:43]
	ds_load_b128 v[40:43], v55 offset:8240
	s_waitcnt lgkmcnt(0)
	v_mul_f64 v[74:75], v[42:43], v[34:35]
	v_mul_f64 v[34:35], v[40:41], v[34:35]
	v_fma_f64 v[74:75], v[40:41], v[32:33], -v[74:75]
	s_delay_alu instid0(VALU_DEP_2) | instskip(SKIP_1) | instid1(VALU_DEP_3)
	v_fma_f64 v[32:33], v[42:43], v[32:33], v[34:35]
	v_mul_f64 v[34:35], v[40:41], v[38:39]
	v_add_f64 v[68:69], v[68:69], v[74:75]
	s_delay_alu instid0(VALU_DEP_3) | instskip(SKIP_1) | instid1(VALU_DEP_4)
	v_add_f64 v[70:71], v[70:71], v[32:33]
	v_mul_f64 v[32:33], v[42:43], v[38:39]
	v_fma_f64 v[34:35], v[42:43], v[36:37], v[34:35]
	s_delay_alu instid0(VALU_DEP_2) | instskip(NEXT) | instid1(VALU_DEP_2)
	v_fma_f64 v[32:33], v[40:41], v[36:37], -v[32:33]
	v_add_f64 v[44:45], v[44:45], v[34:35]
	s_delay_alu instid0(VALU_DEP_2)
	v_add_f64 v[46:47], v[46:47], v[32:33]
	ds_load_b128 v[32:35], v55 offset:64
	ds_load_b128 v[36:39], v57 offset:2048
	s_waitcnt lgkmcnt(0)
	v_mul_f64 v[40:41], v[34:35], v[38:39]
	v_mul_f64 v[42:43], v[32:33], v[38:39]
	s_delay_alu instid0(VALU_DEP_2) | instskip(NEXT) | instid1(VALU_DEP_2)
	v_fma_f64 v[40:41], v[32:33], v[36:37], -v[40:41]
	v_fma_f64 v[42:43], v[34:35], v[36:37], v[42:43]
	s_delay_alu instid0(VALU_DEP_2) | instskip(NEXT) | instid1(VALU_DEP_2)
	v_add_f64 v[2:3], v[2:3], v[40:41]
	v_add_f64 v[72:73], v[72:73], v[42:43]
	ds_load_b128 v[40:43], v65 offset:2048
	s_waitcnt lgkmcnt(0)
	v_mul_f64 v[74:75], v[34:35], v[42:43]
	s_delay_alu instid0(VALU_DEP_1) | instskip(SKIP_1) | instid1(VALU_DEP_2)
	v_fma_f64 v[74:75], v[32:33], v[40:41], -v[74:75]
	v_mul_f64 v[32:33], v[32:33], v[42:43]
	v_add_f64 v[50:51], v[50:51], v[74:75]
	s_delay_alu instid0(VALU_DEP_2) | instskip(NEXT) | instid1(VALU_DEP_1)
	v_fma_f64 v[32:33], v[34:35], v[40:41], v[32:33]
	v_add_f64 v[48:49], v[48:49], v[32:33]
	ds_load_b128 v[32:35], v55 offset:8256
	s_waitcnt lgkmcnt(0)
	v_mul_f64 v[74:75], v[34:35], v[38:39]
	v_mul_f64 v[38:39], v[32:33], v[38:39]
	s_delay_alu instid0(VALU_DEP_2) | instskip(NEXT) | instid1(VALU_DEP_2)
	v_fma_f64 v[74:75], v[32:33], v[36:37], -v[74:75]
	v_fma_f64 v[36:37], v[34:35], v[36:37], v[38:39]
	s_delay_alu instid0(VALU_DEP_2) | instskip(NEXT) | instid1(VALU_DEP_2)
	v_add_f64 v[68:69], v[68:69], v[74:75]
	v_add_f64 v[70:71], v[70:71], v[36:37]
	v_mul_f64 v[36:37], v[34:35], v[42:43]
	s_delay_alu instid0(VALU_DEP_1) | instskip(SKIP_1) | instid1(VALU_DEP_2)
	v_fma_f64 v[36:37], v[32:33], v[40:41], -v[36:37]
	v_mul_f64 v[32:33], v[32:33], v[42:43]
	v_add_f64 v[46:47], v[46:47], v[36:37]
	s_delay_alu instid0(VALU_DEP_2) | instskip(NEXT) | instid1(VALU_DEP_1)
	v_fma_f64 v[32:33], v[34:35], v[40:41], v[32:33]
	v_add_f64 v[44:45], v[44:45], v[32:33]
	ds_load_b128 v[32:35], v55 offset:80
	ds_load_b128 v[36:39], v57 offset:2560
	s_waitcnt lgkmcnt(0)
	v_mul_f64 v[40:41], v[34:35], v[38:39]
	v_mul_f64 v[42:43], v[32:33], v[38:39]
	s_delay_alu instid0(VALU_DEP_2) | instskip(NEXT) | instid1(VALU_DEP_2)
	v_fma_f64 v[40:41], v[32:33], v[36:37], -v[40:41]
	v_fma_f64 v[42:43], v[34:35], v[36:37], v[42:43]
	s_delay_alu instid0(VALU_DEP_2) | instskip(NEXT) | instid1(VALU_DEP_2)
	v_add_f64 v[2:3], v[2:3], v[40:41]
	v_add_f64 v[72:73], v[72:73], v[42:43]
	ds_load_b128 v[40:43], v65 offset:2560
	s_waitcnt lgkmcnt(0)
	v_mul_f64 v[74:75], v[34:35], v[42:43]
	s_delay_alu instid0(VALU_DEP_1) | instskip(SKIP_1) | instid1(VALU_DEP_2)
	v_fma_f64 v[74:75], v[32:33], v[40:41], -v[74:75]
	v_mul_f64 v[32:33], v[32:33], v[42:43]
	v_add_f64 v[50:51], v[50:51], v[74:75]
	s_delay_alu instid0(VALU_DEP_2) | instskip(NEXT) | instid1(VALU_DEP_1)
	v_fma_f64 v[32:33], v[34:35], v[40:41], v[32:33]
	v_add_f64 v[48:49], v[48:49], v[32:33]
	ds_load_b128 v[32:35], v55 offset:8272
	s_waitcnt lgkmcnt(0)
	v_mul_f64 v[74:75], v[34:35], v[38:39]
	v_mul_f64 v[38:39], v[32:33], v[38:39]
	s_delay_alu instid0(VALU_DEP_2) | instskip(NEXT) | instid1(VALU_DEP_2)
	v_fma_f64 v[74:75], v[32:33], v[36:37], -v[74:75]
	v_fma_f64 v[36:37], v[34:35], v[36:37], v[38:39]
	s_delay_alu instid0(VALU_DEP_2) | instskip(NEXT) | instid1(VALU_DEP_2)
	v_add_f64 v[68:69], v[68:69], v[74:75]
	v_add_f64 v[70:71], v[70:71], v[36:37]
	v_mul_f64 v[36:37], v[34:35], v[42:43]
	s_delay_alu instid0(VALU_DEP_1) | instskip(SKIP_1) | instid1(VALU_DEP_2)
	v_fma_f64 v[36:37], v[32:33], v[40:41], -v[36:37]
	v_mul_f64 v[32:33], v[32:33], v[42:43]
	v_add_f64 v[46:47], v[46:47], v[36:37]
	s_delay_alu instid0(VALU_DEP_2) | instskip(NEXT) | instid1(VALU_DEP_1)
	v_fma_f64 v[32:33], v[34:35], v[40:41], v[32:33]
	;; [unrolled: 39-line block ×26, first 2 shown]
	v_add_f64 v[44:45], v[44:45], v[32:33]
	ds_load_b128 v[32:35], v55 offset:480
	ds_load_b128 v[36:39], v57 offset:15360
	s_waitcnt lgkmcnt(0)
	v_mul_f64 v[40:41], v[34:35], v[38:39]
	v_mul_f64 v[42:43], v[32:33], v[38:39]
	s_delay_alu instid0(VALU_DEP_2) | instskip(NEXT) | instid1(VALU_DEP_2)
	v_fma_f64 v[40:41], v[32:33], v[36:37], -v[40:41]
	v_fma_f64 v[42:43], v[34:35], v[36:37], v[42:43]
	s_delay_alu instid0(VALU_DEP_2) | instskip(NEXT) | instid1(VALU_DEP_2)
	v_add_f64 v[74:75], v[2:3], v[40:41]
	v_add_f64 v[72:73], v[72:73], v[42:43]
	ds_load_b128 v[40:43], v65 offset:15360
	s_waitcnt lgkmcnt(0)
	v_mul_f64 v[2:3], v[34:35], v[42:43]
	s_delay_alu instid0(VALU_DEP_1) | instskip(SKIP_1) | instid1(VALU_DEP_2)
	v_fma_f64 v[2:3], v[32:33], v[40:41], -v[2:3]
	v_mul_f64 v[32:33], v[32:33], v[42:43]
	v_add_f64 v[50:51], v[50:51], v[2:3]
	s_delay_alu instid0(VALU_DEP_2) | instskip(NEXT) | instid1(VALU_DEP_1)
	v_fma_f64 v[32:33], v[34:35], v[40:41], v[32:33]
	v_add_f64 v[76:77], v[48:49], v[32:33]
	ds_load_b128 v[32:35], v55 offset:8672
	s_waitcnt lgkmcnt(0)
	v_mul_f64 v[2:3], v[34:35], v[38:39]
	v_mul_f64 v[38:39], v[32:33], v[38:39]
	s_delay_alu instid0(VALU_DEP_2) | instskip(NEXT) | instid1(VALU_DEP_2)
	v_fma_f64 v[2:3], v[32:33], v[36:37], -v[2:3]
	v_fma_f64 v[36:37], v[34:35], v[36:37], v[38:39]
	s_delay_alu instid0(VALU_DEP_2) | instskip(SKIP_1) | instid1(VALU_DEP_3)
	v_add_f64 v[78:79], v[68:69], v[2:3]
	v_mul_f64 v[2:3], v[34:35], v[42:43]
	v_add_f64 v[80:81], v[70:71], v[36:37]
	s_delay_alu instid0(VALU_DEP_2) | instskip(SKIP_1) | instid1(VALU_DEP_2)
	v_fma_f64 v[2:3], v[32:33], v[40:41], -v[2:3]
	v_mul_f64 v[32:33], v[32:33], v[42:43]
	v_add_f64 v[2:3], v[46:47], v[2:3]
	s_delay_alu instid0(VALU_DEP_2) | instskip(NEXT) | instid1(VALU_DEP_1)
	v_fma_f64 v[32:33], v[34:35], v[40:41], v[32:33]
	v_add_f64 v[44:45], v[44:45], v[32:33]
	ds_load_b128 v[32:35], v55 offset:496
	ds_load_b128 v[46:49], v57 offset:15872
	;; [unrolled: 1-line block ×3, first 2 shown]
	s_waitcnt lgkmcnt(1)
	v_mul_f64 v[36:37], v[34:35], v[48:49]
	v_mul_f64 v[38:39], v[32:33], v[48:49]
	s_delay_alu instid0(VALU_DEP_2) | instskip(NEXT) | instid1(VALU_DEP_2)
	v_fma_f64 v[36:37], v[32:33], v[46:47], -v[36:37]
	v_fma_f64 v[38:39], v[34:35], v[46:47], v[38:39]
	s_delay_alu instid0(VALU_DEP_2) | instskip(NEXT) | instid1(VALU_DEP_2)
	v_add_f64 v[40:41], v[74:75], v[36:37]
	v_add_f64 v[42:43], v[72:73], v[38:39]
	ds_load_b128 v[72:75], v55 offset:8688
	s_waitcnt lgkmcnt(1)
	v_mul_f64 v[36:37], v[34:35], v[70:71]
	s_waitcnt lgkmcnt(0)
	s_barrier
	buffer_gl0_inv
	v_fma_f64 v[36:37], v[32:33], v[68:69], -v[36:37]
	v_mul_f64 v[32:33], v[32:33], v[70:71]
	s_delay_alu instid0(VALU_DEP_2) | instskip(NEXT) | instid1(VALU_DEP_2)
	v_add_f64 v[36:37], v[50:51], v[36:37]
	v_fma_f64 v[32:33], v[34:35], v[68:69], v[32:33]
	v_mul_f64 v[34:35], v[72:73], v[48:49]
	s_delay_alu instid0(VALU_DEP_2) | instskip(SKIP_1) | instid1(VALU_DEP_3)
	v_add_f64 v[38:39], v[76:77], v[32:33]
	v_mul_f64 v[32:33], v[74:75], v[48:49]
	v_fma_f64 v[34:35], v[74:75], v[46:47], v[34:35]
	v_mul_f64 v[48:49], v[72:73], v[70:71]
	s_delay_alu instid0(VALU_DEP_3) | instskip(SKIP_1) | instid1(VALU_DEP_3)
	v_fma_f64 v[32:33], v[72:73], v[46:47], -v[32:33]
	v_mul_f64 v[46:47], v[74:75], v[70:71]
	v_fma_f64 v[48:49], v[74:75], v[68:69], v[48:49]
	v_add_f64 v[34:35], v[80:81], v[34:35]
	s_delay_alu instid0(VALU_DEP_4) | instskip(NEXT) | instid1(VALU_DEP_4)
	v_add_f64 v[32:33], v[78:79], v[32:33]
	v_fma_f64 v[46:47], v[72:73], v[68:69], -v[46:47]
	s_delay_alu instid0(VALU_DEP_4) | instskip(NEXT) | instid1(VALU_DEP_2)
	v_add_f64 v[44:45], v[44:45], v[48:49]
	v_add_f64 v[46:47], v[2:3], v[46:47]
	s_cbranch_scc1 .LBB123_55
.LBB123_7:                              ;   Parent Loop BB123_4 Depth=1
                                        ; =>  This Inner Loop Header: Depth=2
	v_add_co_u32 v48, s5, v52, s24
	s_delay_alu instid0(VALU_DEP_1) | instskip(SKIP_1) | instid1(VALU_DEP_2)
	v_add_co_ci_u32_e64 v49, null, 0, s25, s5
	v_cmp_eq_u64_e64 s6, s[24:25], v[24:25]
	v_cmp_gt_i64_e64 s5, v[48:49], v[16:17]
	s_delay_alu instid0(VALU_DEP_2) | instskip(SKIP_1) | instid1(VALU_DEP_2)
	s_and_b32 s27, s38, s6
	v_cmp_le_i64_e64 s6, s[10:11], v[48:49]
	s_or_b32 s7, s3, s5
	s_delay_alu instid0(SALU_CYCLE_1) | instskip(SKIP_1) | instid1(VALU_DEP_1)
	s_or_b32 s8, s7, s27
	v_add_co_u32 v50, s7, v18, v54
	v_add_co_ci_u32_e64 v51, s7, 0, v19, s7
	s_delay_alu instid0(VALU_DEP_3) | instskip(NEXT) | instid1(SALU_CYCLE_1)
	s_or_b32 s7, s6, s8
	s_xor_b32 s7, s7, -1
	s_delay_alu instid0(SALU_CYCLE_1) | instskip(NEXT) | instid1(SALU_CYCLE_1)
	s_and_saveexec_b32 s8, s7
	s_xor_b32 s7, exec_lo, s8
	s_cbranch_execz .LBB123_9
; %bb.8:                                ;   in Loop: Header=BB123_7 Depth=2
	global_load_b128 v[68:71], v[50:51], off offset:-256
	s_waitcnt vmcnt(0)
	ds_store_2addr_b64 v56, v[68:69], v[70:71] offset1:1
.LBB123_9:                              ;   in Loop: Header=BB123_7 Depth=2
	s_or_saveexec_b32 s7, s7
	s_xor_b32 s26, s27, -1
	s_xor_b32 exec_lo, exec_lo, s7
	s_cbranch_execz .LBB123_15
; %bb.10:                               ;   in Loop: Header=BB123_7 Depth=2
	s_and_saveexec_b32 s8, s26
	s_delay_alu instid0(SALU_CYCLE_1)
	s_xor_b32 s8, exec_lo, s8
	s_cbranch_execz .LBB123_12
; %bb.11:                               ;   in Loop: Header=BB123_7 Depth=2
	v_mov_b32_e32 v68, v0
	v_mov_b32_e32 v69, v0
	;; [unrolled: 1-line block ×4, first 2 shown]
	ds_store_b128 v56, v[68:71]
.LBB123_12:                             ;   in Loop: Header=BB123_7 Depth=2
	s_and_not1_saveexec_b32 s8, s8
	s_cbranch_execz .LBB123_14
; %bb.13:                               ;   in Loop: Header=BB123_7 Depth=2
	v_mov_b32_e32 v2, v0
	v_mov_b32_e32 v3, v0
	ds_store_b128 v56, v[0:3]
.LBB123_14:                             ;   in Loop: Header=BB123_7 Depth=2
	s_or_b32 exec_lo, exec_lo, s8
.LBB123_15:                             ;   in Loop: Header=BB123_7 Depth=2
	s_delay_alu instid0(SALU_CYCLE_1) | instskip(SKIP_1) | instid1(VALU_DEP_1)
	s_or_b32 exec_lo, exec_lo, s7
	v_add_co_u32 v2, s7, v48, 16
	v_add_co_ci_u32_e64 v3, s7, 0, v49, s7
	v_cmp_eq_u64_e64 s8, s[24:25], v[28:29]
	s_delay_alu instid0(VALU_DEP_2) | instskip(SKIP_1) | instid1(VALU_DEP_3)
	v_cmp_gt_i64_e64 s9, v[2:3], v[16:17]
	v_cmp_le_i64_e64 s7, s[10:11], v[2:3]
	s_and_b32 s28, s38, s8
	s_delay_alu instid0(VALU_DEP_2) | instskip(NEXT) | instid1(SALU_CYCLE_1)
	s_or_b32 s8, s3, s9
	s_or_b32 s8, s8, s28
	s_delay_alu instid0(VALU_DEP_1) | instid1(SALU_CYCLE_1)
	s_or_b32 s8, s7, s8
	s_delay_alu instid0(SALU_CYCLE_1) | instskip(NEXT) | instid1(SALU_CYCLE_1)
	s_xor_b32 s8, s8, -1
	s_and_saveexec_b32 s9, s8
	s_delay_alu instid0(SALU_CYCLE_1)
	s_xor_b32 s8, exec_lo, s9
	s_cbranch_execz .LBB123_17
; %bb.16:                               ;   in Loop: Header=BB123_7 Depth=2
	global_load_b128 v[68:71], v[50:51], off
	s_waitcnt vmcnt(0)
	ds_store_2addr_b64 v58, v[68:69], v[70:71] offset1:1
.LBB123_17:                             ;   in Loop: Header=BB123_7 Depth=2
	s_and_not1_saveexec_b32 s8, s8
	s_cbranch_execz .LBB123_23
; %bb.18:                               ;   in Loop: Header=BB123_7 Depth=2
	s_xor_b32 s9, s28, -1
	s_delay_alu instid0(SALU_CYCLE_1) | instskip(NEXT) | instid1(SALU_CYCLE_1)
	s_and_saveexec_b32 s28, s9
	s_xor_b32 s9, exec_lo, s28
	s_cbranch_execz .LBB123_20
; %bb.19:                               ;   in Loop: Header=BB123_7 Depth=2
	v_mov_b32_e32 v68, v0
	v_mov_b32_e32 v69, v0
	;; [unrolled: 1-line block ×4, first 2 shown]
	ds_store_b128 v58, v[68:71]
.LBB123_20:                             ;   in Loop: Header=BB123_7 Depth=2
	s_and_not1_saveexec_b32 s9, s9
	s_cbranch_execz .LBB123_22
; %bb.21:                               ;   in Loop: Header=BB123_7 Depth=2
	v_mov_b32_e32 v2, v0
	v_mov_b32_e32 v3, v0
	ds_store_b128 v58, v[0:3]
.LBB123_22:                             ;   in Loop: Header=BB123_7 Depth=2
	s_or_b32 exec_lo, exec_lo, s9
.LBB123_23:                             ;   in Loop: Header=BB123_7 Depth=2
	s_delay_alu instid0(SALU_CYCLE_1) | instskip(SKIP_2) | instid1(VALU_DEP_2)
	s_or_b32 exec_lo, exec_lo, s8
	v_cmp_eq_u64_e64 s8, s[24:25], v[26:27]
	v_cmp_gt_i64_e64 s9, v[48:49], v[22:23]
	s_and_b32 s8, s38, s8
	s_delay_alu instid0(VALU_DEP_1) | instskip(NEXT) | instid1(SALU_CYCLE_1)
	s_or_b32 s9, s4, s9
	s_or_b32 s9, s9, s8
	s_delay_alu instid0(SALU_CYCLE_1) | instskip(NEXT) | instid1(SALU_CYCLE_1)
	s_or_b32 s6, s6, s9
	s_xor_b32 s6, s6, -1
	s_delay_alu instid0(SALU_CYCLE_1) | instskip(NEXT) | instid1(SALU_CYCLE_1)
	s_and_saveexec_b32 s9, s6
	s_xor_b32 s9, exec_lo, s9
	s_cbranch_execz .LBB123_25
; %bb.24:                               ;   in Loop: Header=BB123_7 Depth=2
	v_add_co_u32 v2, s6, v20, v54
	s_delay_alu instid0(VALU_DEP_1)
	v_add_co_ci_u32_e64 v3, s6, 0, v21, s6
	global_load_b128 v[48:51], v[2:3], off
	s_waitcnt vmcnt(0)
	ds_store_2addr_b64 v59, v[48:49], v[50:51] offset1:1
.LBB123_25:                             ;   in Loop: Header=BB123_7 Depth=2
	s_and_not1_saveexec_b32 s6, s9
	s_cbranch_execz .LBB123_31
; %bb.26:                               ;   in Loop: Header=BB123_7 Depth=2
	s_xor_b32 s8, s8, -1
	s_delay_alu instid0(SALU_CYCLE_1) | instskip(NEXT) | instid1(SALU_CYCLE_1)
	s_and_saveexec_b32 s9, s8
	s_xor_b32 s8, exec_lo, s9
	s_cbranch_execz .LBB123_28
; %bb.27:                               ;   in Loop: Header=BB123_7 Depth=2
	v_mov_b32_e32 v48, v0
	v_mov_b32_e32 v49, v0
	;; [unrolled: 1-line block ×4, first 2 shown]
	ds_store_b128 v59, v[48:51]
.LBB123_28:                             ;   in Loop: Header=BB123_7 Depth=2
	s_and_not1_saveexec_b32 s8, s8
	s_cbranch_execz .LBB123_30
; %bb.29:                               ;   in Loop: Header=BB123_7 Depth=2
	v_mov_b32_e32 v2, v0
	v_mov_b32_e32 v3, v0
	ds_store_b128 v59, v[0:3]
.LBB123_30:                             ;   in Loop: Header=BB123_7 Depth=2
	s_or_b32 exec_lo, exec_lo, s8
.LBB123_31:                             ;   in Loop: Header=BB123_7 Depth=2
	s_delay_alu instid0(SALU_CYCLE_1) | instskip(SKIP_1) | instid1(SALU_CYCLE_1)
	s_or_b32 exec_lo, exec_lo, s6
	s_or_b32 s5, s4, s5
	s_or_b32 s5, s5, s27
	s_delay_alu instid0(SALU_CYCLE_1) | instskip(NEXT) | instid1(SALU_CYCLE_1)
	s_or_b32 s5, s7, s5
	s_xor_b32 s5, s5, -1
	s_delay_alu instid0(SALU_CYCLE_1) | instskip(NEXT) | instid1(SALU_CYCLE_1)
	s_and_saveexec_b32 s6, s5
	s_xor_b32 s6, exec_lo, s6
	s_cbranch_execz .LBB123_33
; %bb.32:                               ;   in Loop: Header=BB123_7 Depth=2
	v_add_co_u32 v2, s5, v20, v54
	s_delay_alu instid0(VALU_DEP_1)
	v_add_co_ci_u32_e64 v3, s5, 0, v21, s5
	global_load_b128 v[48:51], v[2:3], off offset:256
	s_waitcnt vmcnt(0)
	ds_store_2addr_b64 v61, v[48:49], v[50:51] offset1:1
.LBB123_33:                             ;   in Loop: Header=BB123_7 Depth=2
	s_and_not1_saveexec_b32 s5, s6
	s_cbranch_execz .LBB123_39
; %bb.34:                               ;   in Loop: Header=BB123_7 Depth=2
	s_and_saveexec_b32 s6, s26
	s_delay_alu instid0(SALU_CYCLE_1)
	s_xor_b32 s6, exec_lo, s6
	s_cbranch_execz .LBB123_36
; %bb.35:                               ;   in Loop: Header=BB123_7 Depth=2
	v_mov_b32_e32 v48, v0
	v_mov_b32_e32 v49, v0
	;; [unrolled: 1-line block ×4, first 2 shown]
	ds_store_b128 v61, v[48:51]
.LBB123_36:                             ;   in Loop: Header=BB123_7 Depth=2
	s_and_not1_saveexec_b32 s6, s6
	s_cbranch_execz .LBB123_38
; %bb.37:                               ;   in Loop: Header=BB123_7 Depth=2
	v_mov_b32_e32 v2, v0
	v_mov_b32_e32 v3, v0
	ds_store_b128 v61, v[0:3]
.LBB123_38:                             ;   in Loop: Header=BB123_7 Depth=2
	s_or_b32 exec_lo, exec_lo, s6
.LBB123_39:                             ;   in Loop: Header=BB123_7 Depth=2
	s_delay_alu instid0(SALU_CYCLE_1) | instskip(SKIP_1) | instid1(VALU_DEP_1)
	s_or_b32 exec_lo, exec_lo, s5
	v_add_co_u32 v2, s5, v53, s24
	v_add_co_ci_u32_e64 v3, null, 0, s25, s5
	v_add_co_u32 v48, s6, v30, v8
	s_delay_alu instid0(VALU_DEP_1) | instskip(NEXT) | instid1(VALU_DEP_3)
	v_add_co_ci_u32_e64 v49, s6, v31, v9, s6
	v_cmp_le_i64_e64 s5, s[10:11], v[2:3]
	s_delay_alu instid0(VALU_DEP_1) | instskip(NEXT) | instid1(SALU_CYCLE_1)
	s_or_b32 s6, s5, vcc_lo
	s_xor_b32 s6, s6, -1
	s_delay_alu instid0(SALU_CYCLE_1) | instskip(NEXT) | instid1(SALU_CYCLE_1)
	s_and_saveexec_b32 s7, s6
	s_xor_b32 s6, exec_lo, s7
	s_cbranch_execz .LBB123_41
; %bb.40:                               ;   in Loop: Header=BB123_7 Depth=2
	global_load_b128 v[68:71], v[48:49], off offset:-256
	s_waitcnt vmcnt(0)
	ds_store_2addr_b64 v60, v[68:69], v[70:71] offset1:1
.LBB123_41:                             ;   in Loop: Header=BB123_7 Depth=2
	s_and_not1_saveexec_b32 s6, s6
	s_cbranch_execz .LBB123_43
; %bb.42:                               ;   in Loop: Header=BB123_7 Depth=2
	v_mov_b32_e32 v68, v0
	v_mov_b32_e32 v69, v0
	;; [unrolled: 1-line block ×4, first 2 shown]
	ds_store_b128 v60, v[68:71]
.LBB123_43:                             ;   in Loop: Header=BB123_7 Depth=2
	s_or_b32 exec_lo, exec_lo, s6
	s_or_b32 s5, s5, s0
	s_delay_alu instid0(SALU_CYCLE_1) | instskip(NEXT) | instid1(SALU_CYCLE_1)
	s_xor_b32 s5, s5, -1
	s_and_saveexec_b32 s6, s5
	s_delay_alu instid0(SALU_CYCLE_1)
	s_xor_b32 s5, exec_lo, s6
	s_cbranch_execz .LBB123_45
; %bb.44:                               ;   in Loop: Header=BB123_7 Depth=2
	global_load_b128 v[48:51], v[48:49], off
	s_waitcnt vmcnt(0)
	ds_store_2addr_b64 v62, v[48:49], v[50:51] offset1:1
.LBB123_45:                             ;   in Loop: Header=BB123_7 Depth=2
	s_and_not1_saveexec_b32 s5, s5
	s_cbranch_execz .LBB123_47
; %bb.46:                               ;   in Loop: Header=BB123_7 Depth=2
	v_mov_b32_e32 v48, v0
	v_mov_b32_e32 v49, v0
	;; [unrolled: 1-line block ×4, first 2 shown]
	ds_store_b128 v62, v[48:51]
.LBB123_47:                             ;   in Loop: Header=BB123_7 Depth=2
	s_or_b32 exec_lo, exec_lo, s5
	v_cmp_le_i64_e64 s5, s[34:35], v[2:3]
	s_delay_alu instid0(VALU_DEP_1) | instskip(NEXT) | instid1(SALU_CYCLE_1)
	s_or_b32 s6, s5, vcc_lo
	s_xor_b32 s6, s6, -1
	s_delay_alu instid0(SALU_CYCLE_1) | instskip(NEXT) | instid1(SALU_CYCLE_1)
	s_and_saveexec_b32 s7, s6
	s_xor_b32 s7, exec_lo, s7
	s_cbranch_execz .LBB123_49
; %bb.48:                               ;   in Loop: Header=BB123_7 Depth=2
	v_add_co_u32 v2, s6, v30, v10
	s_delay_alu instid0(VALU_DEP_1)
	v_add_co_ci_u32_e64 v3, s6, v31, v11, s6
	global_load_b128 v[48:51], v[2:3], off offset:-256
	s_waitcnt vmcnt(0)
	ds_store_2addr_b64 v63, v[48:49], v[50:51] offset1:1
.LBB123_49:                             ;   in Loop: Header=BB123_7 Depth=2
	s_and_not1_saveexec_b32 s6, s7
	s_cbranch_execz .LBB123_51
; %bb.50:                               ;   in Loop: Header=BB123_7 Depth=2
	v_mov_b32_e32 v48, v0
	v_mov_b32_e32 v49, v0
	;; [unrolled: 1-line block ×4, first 2 shown]
	ds_store_b128 v63, v[48:51]
.LBB123_51:                             ;   in Loop: Header=BB123_7 Depth=2
	s_or_b32 exec_lo, exec_lo, s6
	s_or_b32 s5, s5, s0
	s_delay_alu instid0(SALU_CYCLE_1) | instskip(NEXT) | instid1(SALU_CYCLE_1)
	s_xor_b32 s5, s5, -1
	s_and_saveexec_b32 s6, s5
	s_delay_alu instid0(SALU_CYCLE_1)
	s_xor_b32 s6, exec_lo, s6
	s_cbranch_execz .LBB123_53
; %bb.52:                               ;   in Loop: Header=BB123_7 Depth=2
	v_add_co_u32 v2, s5, v30, v10
	s_delay_alu instid0(VALU_DEP_1)
	v_add_co_ci_u32_e64 v3, s5, v31, v11, s5
	global_load_b128 v[48:51], v[2:3], off
	s_waitcnt vmcnt(0)
	ds_store_2addr_b64 v64, v[48:49], v[50:51] offset1:1
.LBB123_53:                             ;   in Loop: Header=BB123_7 Depth=2
	s_and_not1_saveexec_b32 s5, s6
	s_cbranch_execz .LBB123_6
; %bb.54:                               ;   in Loop: Header=BB123_7 Depth=2
	v_mov_b32_e32 v48, v0
	v_mov_b32_e32 v49, v0
	;; [unrolled: 1-line block ×4, first 2 shown]
	ds_store_b128 v64, v[48:51]
	s_branch .LBB123_6
.LBB123_55:                             ;   in Loop: Header=BB123_4 Depth=1
	v_mul_lo_u32 v7, v17, s40
	v_mul_lo_u32 v17, v16, s41
	v_mad_u64_u32 v[2:3], null, v16, s40, 0
	v_cmp_gt_i32_e64 s3, s10, v16
	s_delay_alu instid0(VALU_DEP_2) | instskip(NEXT) | instid1(VALU_DEP_1)
	v_add3_u32 v3, v3, v17, v7
	v_lshlrev_b64 v[2:3], 4, v[2:3]
	s_delay_alu instid0(VALU_DEP_1) | instskip(NEXT) | instid1(VALU_DEP_1)
	v_add_co_u32 v2, s4, s36, v2
	v_add_co_ci_u32_e64 v3, s4, s37, v3, s4
	s_and_b32 s4, s1, s3
	s_delay_alu instid0(SALU_CYCLE_1)
	s_and_saveexec_b32 s5, s4
	s_cbranch_execz .LBB123_57
; %bb.56:                               ;   in Loop: Header=BB123_4 Depth=1
	v_add_co_u32 v21, s4, v2, v12
	s_delay_alu instid0(VALU_DEP_1)
	v_add_co_ci_u32_e64 v22, s4, v3, v13, s4
	v_mul_f64 v[23:24], s[46:47], v[42:43]
	v_mul_f64 v[25:26], s[44:45], v[42:43]
	global_load_b128 v[17:20], v[21:22], off
	v_fma_f64 v[23:24], s[44:45], v[40:41], -v[23:24]
	v_fma_f64 v[25:26], s[46:47], v[40:41], v[25:26]
	s_waitcnt vmcnt(0)
	s_delay_alu instid0(VALU_DEP_2) | instskip(NEXT) | instid1(VALU_DEP_2)
	v_add_f64 v[17:18], v[17:18], v[23:24]
	v_add_f64 v[19:20], v[19:20], v[25:26]
	global_store_b128 v[21:22], v[17:20], off
.LBB123_57:                             ;   in Loop: Header=BB123_4 Depth=1
	s_or_b32 exec_lo, exec_lo, s5
	s_and_b32 s3, s2, s3
	s_delay_alu instid0(SALU_CYCLE_1)
	s_and_saveexec_b32 s4, s3
	s_cbranch_execz .LBB123_59
; %bb.58:                               ;   in Loop: Header=BB123_4 Depth=1
	v_lshlrev_b64 v[17:18], 4, v[4:5]
	v_mul_f64 v[21:22], s[46:47], v[38:39]
	v_mul_f64 v[23:24], s[44:45], v[38:39]
	s_delay_alu instid0(VALU_DEP_3) | instskip(NEXT) | instid1(VALU_DEP_1)
	v_add_co_u32 v2, s3, v2, v17
	v_add_co_ci_u32_e64 v3, s3, v3, v18, s3
	global_load_b128 v[17:20], v[2:3], off
	v_fma_f64 v[21:22], s[44:45], v[36:37], -v[21:22]
	v_fma_f64 v[23:24], s[46:47], v[36:37], v[23:24]
	s_waitcnt vmcnt(0)
	s_delay_alu instid0(VALU_DEP_2) | instskip(NEXT) | instid1(VALU_DEP_2)
	v_add_f64 v[17:18], v[17:18], v[21:22]
	v_add_f64 v[19:20], v[19:20], v[23:24]
	global_store_b128 v[2:3], v[17:20], off
.LBB123_59:                             ;   in Loop: Header=BB123_4 Depth=1
	s_or_b32 exec_lo, exec_lo, s4
	v_add_nc_u32_e32 v7, 16, v16
	s_delay_alu instid0(VALU_DEP_1) | instskip(SKIP_3) | instid1(VALU_DEP_4)
	v_ashrrev_i32_e32 v16, 31, v7
	v_mul_lo_u32 v17, v7, s41
	v_mad_u64_u32 v[2:3], null, v7, s40, 0
	v_cmp_gt_i32_e64 s3, s10, v7
	v_mul_lo_u32 v16, v16, s40
	s_delay_alu instid0(VALU_DEP_1) | instskip(NEXT) | instid1(VALU_DEP_1)
	v_add3_u32 v3, v3, v17, v16
	v_lshlrev_b64 v[2:3], 4, v[2:3]
	s_delay_alu instid0(VALU_DEP_1) | instskip(NEXT) | instid1(VALU_DEP_1)
	v_add_co_u32 v2, s4, s36, v2
	v_add_co_ci_u32_e64 v3, s4, s37, v3, s4
	s_and_b32 s4, s1, s3
	s_delay_alu instid0(SALU_CYCLE_1)
	s_and_saveexec_b32 s5, s4
	s_cbranch_execz .LBB123_61
; %bb.60:                               ;   in Loop: Header=BB123_4 Depth=1
	v_add_co_u32 v20, s4, v2, v12
	s_delay_alu instid0(VALU_DEP_1)
	v_add_co_ci_u32_e64 v21, s4, v3, v13, s4
	v_mul_f64 v[22:23], s[46:47], v[34:35]
	v_mul_f64 v[24:25], s[44:45], v[34:35]
	global_load_b128 v[16:19], v[20:21], off
	v_fma_f64 v[22:23], s[44:45], v[32:33], -v[22:23]
	v_fma_f64 v[24:25], s[46:47], v[32:33], v[24:25]
	s_waitcnt vmcnt(0)
	s_delay_alu instid0(VALU_DEP_2) | instskip(NEXT) | instid1(VALU_DEP_2)
	v_add_f64 v[16:17], v[16:17], v[22:23]
	v_add_f64 v[18:19], v[18:19], v[24:25]
	global_store_b128 v[20:21], v[16:19], off
.LBB123_61:                             ;   in Loop: Header=BB123_4 Depth=1
	s_or_b32 exec_lo, exec_lo, s5
	s_and_b32 s3, s2, s3
	s_delay_alu instid0(SALU_CYCLE_1)
	s_and_saveexec_b32 s4, s3
	s_cbranch_execz .LBB123_3
; %bb.62:                               ;   in Loop: Header=BB123_4 Depth=1
	v_lshlrev_b64 v[16:17], 4, v[4:5]
	v_mul_f64 v[20:21], s[46:47], v[44:45]
	v_mul_f64 v[22:23], s[44:45], v[44:45]
	s_delay_alu instid0(VALU_DEP_3) | instskip(NEXT) | instid1(VALU_DEP_1)
	v_add_co_u32 v2, s3, v2, v16
	v_add_co_ci_u32_e64 v3, s3, v3, v17, s3
	global_load_b128 v[16:19], v[2:3], off
	v_fma_f64 v[20:21], s[44:45], v[46:47], -v[20:21]
	v_fma_f64 v[22:23], s[46:47], v[46:47], v[22:23]
	s_waitcnt vmcnt(0)
	s_delay_alu instid0(VALU_DEP_2) | instskip(NEXT) | instid1(VALU_DEP_2)
	v_add_f64 v[16:17], v[16:17], v[20:21]
	v_add_f64 v[18:19], v[18:19], v[22:23]
	global_store_b128 v[2:3], v[16:19], off
	s_branch .LBB123_3
.LBB123_63:
	s_nop 0
	s_sendmsg sendmsg(MSG_DEALLOC_VGPRS)
	s_endpgm
	.section	.rodata,"a",@progbits
	.p2align	6, 0x0
	.amdhsa_kernel _ZL30rocblas_trmm_outofplace_kernelI19rocblas_complex_numIdELi32ELi2ELb0ELb1ELb0ELb0ES1_KS1_S1_Ev17rocblas_diagonal_iiT6_lPT7_lllS6_lllPT8_llli
		.amdhsa_group_segment_fixed_size 32768
		.amdhsa_private_segment_fixed_size 0
		.amdhsa_kernarg_size 400
		.amdhsa_user_sgpr_count 13
		.amdhsa_user_sgpr_dispatch_ptr 0
		.amdhsa_user_sgpr_queue_ptr 0
		.amdhsa_user_sgpr_kernarg_segment_ptr 1
		.amdhsa_user_sgpr_dispatch_id 0
		.amdhsa_user_sgpr_private_segment_size 0
		.amdhsa_wavefront_size32 1
		.amdhsa_uses_dynamic_stack 0
		.amdhsa_enable_private_segment 0
		.amdhsa_system_sgpr_workgroup_id_x 1
		.amdhsa_system_sgpr_workgroup_id_y 1
		.amdhsa_system_sgpr_workgroup_id_z 1
		.amdhsa_system_sgpr_workgroup_info 0
		.amdhsa_system_vgpr_workitem_id 1
		.amdhsa_next_free_vgpr 88
		.amdhsa_next_free_sgpr 49
		.amdhsa_reserve_vcc 1
		.amdhsa_float_round_mode_32 0
		.amdhsa_float_round_mode_16_64 0
		.amdhsa_float_denorm_mode_32 3
		.amdhsa_float_denorm_mode_16_64 3
		.amdhsa_dx10_clamp 1
		.amdhsa_ieee_mode 1
		.amdhsa_fp16_overflow 0
		.amdhsa_workgroup_processor_mode 1
		.amdhsa_memory_ordered 1
		.amdhsa_forward_progress 0
		.amdhsa_shared_vgpr_count 0
		.amdhsa_exception_fp_ieee_invalid_op 0
		.amdhsa_exception_fp_denorm_src 0
		.amdhsa_exception_fp_ieee_div_zero 0
		.amdhsa_exception_fp_ieee_overflow 0
		.amdhsa_exception_fp_ieee_underflow 0
		.amdhsa_exception_fp_ieee_inexact 0
		.amdhsa_exception_int_div_zero 0
	.end_amdhsa_kernel
	.section	.text._ZL30rocblas_trmm_outofplace_kernelI19rocblas_complex_numIdELi32ELi2ELb0ELb1ELb0ELb0ES1_KS1_S1_Ev17rocblas_diagonal_iiT6_lPT7_lllS6_lllPT8_llli,"axG",@progbits,_ZL30rocblas_trmm_outofplace_kernelI19rocblas_complex_numIdELi32ELi2ELb0ELb1ELb0ELb0ES1_KS1_S1_Ev17rocblas_diagonal_iiT6_lPT7_lllS6_lllPT8_llli,comdat
.Lfunc_end123:
	.size	_ZL30rocblas_trmm_outofplace_kernelI19rocblas_complex_numIdELi32ELi2ELb0ELb1ELb0ELb0ES1_KS1_S1_Ev17rocblas_diagonal_iiT6_lPT7_lllS6_lllPT8_llli, .Lfunc_end123-_ZL30rocblas_trmm_outofplace_kernelI19rocblas_complex_numIdELi32ELi2ELb0ELb1ELb0ELb0ES1_KS1_S1_Ev17rocblas_diagonal_iiT6_lPT7_lllS6_lllPT8_llli
                                        ; -- End function
	.section	.AMDGPU.csdata,"",@progbits
; Kernel info:
; codeLenInByte = 11512
; NumSgprs: 51
; NumVgprs: 88
; ScratchSize: 0
; MemoryBound: 0
; FloatMode: 240
; IeeeMode: 1
; LDSByteSize: 32768 bytes/workgroup (compile time only)
; SGPRBlocks: 6
; VGPRBlocks: 10
; NumSGPRsForWavesPerEU: 51
; NumVGPRsForWavesPerEU: 88
; Occupancy: 16
; WaveLimiterHint : 0
; COMPUTE_PGM_RSRC2:SCRATCH_EN: 0
; COMPUTE_PGM_RSRC2:USER_SGPR: 13
; COMPUTE_PGM_RSRC2:TRAP_HANDLER: 0
; COMPUTE_PGM_RSRC2:TGID_X_EN: 1
; COMPUTE_PGM_RSRC2:TGID_Y_EN: 1
; COMPUTE_PGM_RSRC2:TGID_Z_EN: 1
; COMPUTE_PGM_RSRC2:TIDIG_COMP_CNT: 1
	.section	.text._ZL30rocblas_trmm_outofplace_kernelI19rocblas_complex_numIdELi32ELi2ELb0ELb0ELb1ELb0EPKS1_S2_S1_Ev17rocblas_diagonal_iiT6_lPT7_lllS7_lllPT8_llli,"axG",@progbits,_ZL30rocblas_trmm_outofplace_kernelI19rocblas_complex_numIdELi32ELi2ELb0ELb0ELb1ELb0EPKS1_S2_S1_Ev17rocblas_diagonal_iiT6_lPT7_lllS7_lllPT8_llli,comdat
	.globl	_ZL30rocblas_trmm_outofplace_kernelI19rocblas_complex_numIdELi32ELi2ELb0ELb0ELb1ELb0EPKS1_S2_S1_Ev17rocblas_diagonal_iiT6_lPT7_lllS7_lllPT8_llli ; -- Begin function _ZL30rocblas_trmm_outofplace_kernelI19rocblas_complex_numIdELi32ELi2ELb0ELb0ELb1ELb0EPKS1_S2_S1_Ev17rocblas_diagonal_iiT6_lPT7_lllS7_lllPT8_llli
	.p2align	8
	.type	_ZL30rocblas_trmm_outofplace_kernelI19rocblas_complex_numIdELi32ELi2ELb0ELb0ELb1ELb0EPKS1_S2_S1_Ev17rocblas_diagonal_iiT6_lPT7_lllS7_lllPT8_llli,@function
_ZL30rocblas_trmm_outofplace_kernelI19rocblas_complex_numIdELi32ELi2ELb0ELb0ELb1ELb0EPKS1_S2_S1_Ev17rocblas_diagonal_iiT6_lPT7_lllS7_lllPT8_llli: ; @_ZL30rocblas_trmm_outofplace_kernelI19rocblas_complex_numIdELi32ELi2ELb0ELb0ELb1ELb0EPKS1_S2_S1_Ev17rocblas_diagonal_iiT6_lPT7_lllS7_lllPT8_llli
; %bb.0:
	s_load_b512 s[16:31], s[0:1], 0x10
	s_waitcnt lgkmcnt(0)
	s_mul_i32 s3, s15, s19
	s_mul_hi_u32 s4, s15, s18
	s_mul_i32 s2, s15, s18
	s_add_i32 s3, s4, s3
	s_delay_alu instid0(SALU_CYCLE_1) | instskip(NEXT) | instid1(SALU_CYCLE_1)
	s_lshl_b64 s[2:3], s[2:3], 4
	s_add_u32 s2, s16, s2
	s_addc_u32 s3, s17, s3
	s_load_b128 s[16:19], s[2:3], 0x0
	s_waitcnt lgkmcnt(0)
	v_cmp_eq_f64_e64 s2, s[16:17], 0
	v_cmp_eq_f64_e64 s3, s[18:19], 0
	s_delay_alu instid0(VALU_DEP_1) | instskip(NEXT) | instid1(SALU_CYCLE_1)
	s_and_b32 s2, s2, s3
	s_and_b32 vcc_lo, exec_lo, s2
	s_cbranch_vccnz .LBB124_63
; %bb.1:
	s_load_b128 s[36:39], s[0:1], 0x0
	s_waitcnt lgkmcnt(0)
	s_add_i32 s2, s38, -1
	s_delay_alu instid0(SALU_CYCLE_1) | instskip(NEXT) | instid1(SALU_CYCLE_1)
	s_ashr_i32 s3, s2, 31
	s_lshr_b32 s3, s3, 27
	s_delay_alu instid0(SALU_CYCLE_1) | instskip(NEXT) | instid1(SALU_CYCLE_1)
	s_add_i32 s2, s2, s3
	s_ashr_i32 s33, s2, 5
	s_delay_alu instid0(SALU_CYCLE_1)
	s_cmp_gt_i32 s14, s33
	s_cbranch_scc1 .LBB124_63
; %bb.2:
	s_load_b256 s[4:11], s[0:1], 0x50
	v_bfe_u32 v59, v0, 10, 10
	s_clause 0x1
	s_load_b128 s[40:43], s[0:1], 0x70
	s_load_b32 s44, s[0:1], 0x8c
	s_delay_alu instid0(VALU_DEP_1)
	v_lshl_add_u32 v19, v59, 4, 0x100
	s_waitcnt lgkmcnt(0)
	v_mad_u64_u32 v[14:15], null, s4, v59, 0
	v_and_b32_e32 v58, 0x3ff, v0
	s_mul_i32 s1, s15, s43
	s_mul_hi_u32 s2, s15, s42
	s_mul_i32 s0, s15, s42
	s_add_i32 s1, s2, s1
	v_mad_u64_u32 v[12:13], null, s4, v19, 0
	s_delay_alu instid0(VALU_DEP_3) | instskip(SKIP_4) | instid1(VALU_DEP_3)
	v_mov_b32_e32 v3, v15
	v_lshl_add_u32 v1, s13, 5, v58
	v_mad_u64_u32 v[16:17], null, s24, v58, 0
	s_lshl_b64 s[0:1], s[0:1], 4
	v_lshlrev_b32_e32 v60, 9, v59
	v_add_nc_u32_e32 v4, 16, v1
	s_add_u32 s2, s8, s0
	s_addc_u32 s3, s9, s1
	s_lshl_b64 s[0:1], s[10:11], 4
	v_sub_co_u32 v5, vcc_lo, s37, v1
	v_mad_u64_u32 v[7:8], null, s5, v59, v[3:4]
	v_mov_b32_e32 v3, v17
	s_add_u32 s42, s2, s0
	v_lshlrev_b32_e32 v10, 4, v58
	s_addc_u32 s43, s3, s1
	s_cmpk_eq_i32 s36, 0x84
	v_sub_co_u32 v71, s3, 0, v58
	s_delay_alu instid0(VALU_DEP_4)
	v_mov_b32_e32 v15, v7
	v_mad_u64_u32 v[7:8], null, s25, v58, v[3:4]
	s_cselect_b32 s36, -1, 0
	s_ashr_i32 s0, s37, 31
	s_ashr_i32 s39, s38, 31
	s_lshl_b64 s[10:11], s[24:25], 9
	s_lshl_b64 s[12:13], s[4:5], 9
	v_sub_co_ci_u32_e64 v72, null, 0, 0, s3
	s_mul_i32 s3, s7, s15
	s_mul_hi_u32 s7, s6, s15
	s_add_u32 s34, s38, -16
	s_addc_u32 s35, s39, -1
	s_add_i32 s7, s7, s3
	s_mul_i32 s6, s6, s15
	s_lshl_b64 s[8:9], s[30:31], 4
	s_lshl_b64 s[6:7], s[6:7], 4
	v_cmp_gt_i32_e64 s1, s37, v1
	v_mov_b32_e32 v17, v7
	v_cmp_gt_i32_e64 s2, s37, v4
	s_lshl_b32 s37, s44, 5
	s_add_u32 s3, s6, s8
	s_addc_u32 s6, s7, s9
	s_mul_i32 s7, s27, s15
	s_mul_hi_u32 s8, s26, s15
	s_add_u32 s3, s28, s3
	s_addc_u32 s27, s29, s6
	s_add_i32 s7, s8, s7
	s_mul_i32 s6, s26, s15
	s_lshl_b64 s[8:9], s[22:23], 4
	s_lshl_b64 s[6:7], s[6:7], 4
	s_add_u32 s8, s20, s8
	v_add_nc_u32_e32 v18, 0x100, v10
	s_addc_u32 s9, s21, s9
	v_ashrrev_i32_e32 v2, 31, v1
	s_add_u32 s6, s8, s6
	s_addc_u32 s7, s9, s7
	v_dual_mov_b32 v0, 0 :: v_dual_add_nc_u32 v61, v60, v10
	v_or_b32_e32 v62, 0x4000, v10
	v_add_nc_u32_e32 v70, 0x4100, v10
	v_mad_u64_u32 v[10:11], null, s24, v18, s[6:7]
	v_lshlrev_b64 v[8:9], 4, v[1:2]
	v_sub_co_ci_u32_e32 v6, vcc_lo, s0, v2, vcc_lo
	v_lshlrev_b64 v[1:2], 4, v[16:17]
	v_add_nc_u32_e32 v64, 0x2000, v61
	v_dual_mov_b32 v7, v13 :: v_dual_add_nc_u32 v66, 0x2100, v61
	v_add_co_u32 v16, s3, s3, v8
	v_mov_b32_e32 v3, v11
	v_add_co_ci_u32_e64 v17, s3, s27, v9, s3
	v_add_co_u32 v11, s3, s6, v1
	s_delay_alu instid0(VALU_DEP_1) | instskip(NEXT) | instid1(VALU_DEP_4)
	v_add_co_ci_u32_e64 v13, s3, s7, v2, s3
	v_mad_u64_u32 v[1:2], null, s25, v18, v[3:4]
	v_mad_u64_u32 v[2:3], null, s5, v19, v[7:8]
	v_add_nc_u32_e32 v65, v62, v60
	v_add_co_u32 v16, s3, 0x100, v16
	s_delay_alu instid0(VALU_DEP_1)
	v_add_co_ci_u32_e64 v17, s3, 0, v17, s3
	v_add_co_u32 v18, s3, 0x100, v11
	v_cmp_gt_i64_e32 vcc_lo, 1, v[5:6]
	v_cmp_gt_i64_e64 s0, 17, v[5:6]
	v_lshlrev_b64 v[14:15], 4, v[14:15]
	v_add_nc_u32_e32 v63, 0x100, v61
	v_add_nc_u32_e32 v67, 0x100, v65
	v_dual_mov_b32 v11, v1 :: v_dual_add_nc_u32 v68, 0x2000, v65
	v_add_nc_u32_e32 v69, 0x2100, v65
	v_ashrrev_i32_e32 v5, 31, v4
	v_lshl_add_u32 v6, s14, 5, v59
	v_add_co_ci_u32_e64 v19, s3, 0, v13, s3
	v_mov_b32_e32 v13, v2
	v_mov_b32_e32 v1, 0x3ff00000
	s_branch .LBB124_4
.LBB124_3:                              ;   in Loop: Header=BB124_4 Depth=1
	s_or_b32 exec_lo, exec_lo, s4
	v_add_nc_u32_e32 v6, s37, v6
	s_add_i32 s14, s44, s14
	s_delay_alu instid0(SALU_CYCLE_1)
	s_cmp_le_i32 s14, s33
	s_cbranch_scc0 .LBB124_63
.LBB124_4:                              ; =>This Loop Header: Depth=1
                                        ;     Child Loop BB124_7 Depth 2
	s_lshl_b32 s15, s14, 5
	v_mov_b32_e32 v46, 0
	v_dual_mov_b32 v47, 0 :: v_dual_add_nc_u32 v20, s15, v59
	s_delay_alu instid0(VALU_DEP_2) | instskip(SKIP_1) | instid1(VALU_DEP_3)
	v_mov_b32_e32 v42, v46
	v_mov_b32_e32 v44, v46
	v_dual_mov_b32 v38, v46 :: v_dual_mov_b32 v39, v47
	v_dual_mov_b32 v49, v47 :: v_dual_mov_b32 v48, v46
	v_mov_b32_e32 v43, v47
	v_mov_b32_e32 v45, v47
	v_ashrrev_i32_e32 v21, 31, v20
	v_dual_mov_b32 v40, v46 :: v_dual_mov_b32 v41, v47
	v_dual_mov_b32 v53, v47 :: v_dual_mov_b32 v52, v46
	;; [unrolled: 1-line block ×3, first 2 shown]
	s_cmp_lt_i32 s14, 0
	s_cbranch_scc1 .LBB124_55
; %bb.5:                                ;   in Loop: Header=BB124_4 Depth=1
	v_ashrrev_i32_e32 v7, 31, v6
	v_add_co_u32 v22, s3, v20, 16
	s_delay_alu instid0(VALU_DEP_1) | instskip(SKIP_1) | instid1(VALU_DEP_1)
	v_add_co_ci_u32_e64 v23, s3, 0, v21, s3
	v_add_co_u32 v24, s3, v71, v6
	v_add_co_ci_u32_e64 v25, s3, v72, v7, s3
	v_dual_mov_b32 v50, 0 :: v_dual_mov_b32 v33, v11
	s_delay_alu instid0(VALU_DEP_3) | instskip(SKIP_1) | instid1(VALU_DEP_4)
	v_add_co_u32 v28, s5, v24, 16
	v_dual_mov_b32 v51, 0 :: v_dual_mov_b32 v32, v10
	v_add_co_ci_u32_e64 v29, s5, 0, v25, s5
	v_add_co_u32 v30, s5, v24, -16
	v_lshlrev_b64 v[26:27], 4, v[6:7]
	v_cmp_le_i64_e64 s4, s[38:39], v[22:23]
	v_cmp_le_i32_e64 s3, s38, v20
	v_add_co_ci_u32_e64 v31, s5, -1, v25, s5
	v_dual_mov_b32 v35, v19 :: v_dual_mov_b32 v34, v18
	v_dual_mov_b32 v37, v17 :: v_dual_mov_b32 v36, v16
	;; [unrolled: 1-line block ×9, first 2 shown]
	s_mov_b64 s[20:21], 0
	s_branch .LBB124_7
.LBB124_6:                              ;   in Loop: Header=BB124_7 Depth=2
	s_or_b32 exec_lo, exec_lo, s5
	s_waitcnt lgkmcnt(0)
	s_waitcnt_vscnt null, 0x0
	s_barrier
	buffer_gl0_inv
	ds_load_b128 v[54:57], v60
	ds_load_b128 v[73:76], v60 offset:16
	ds_load_b128 v[77:80], v60 offset:32
	ds_load_b128 v[81:84], v60 offset:48
	ds_load_b128 v[85:88], v62
	v_add_co_u32 v36, s5, v36, s12
	s_delay_alu instid0(VALU_DEP_1) | instskip(SKIP_1) | instid1(VALU_DEP_1)
	v_add_co_ci_u32_e64 v37, s5, s13, v37, s5
	v_add_co_u32 v34, s5, v34, s10
	v_add_co_ci_u32_e64 v35, s5, s11, v35, s5
	v_add_co_u32 v32, s5, v32, s10
	s_add_u32 s20, s20, 32
	v_add_co_ci_u32_e64 v33, s5, s11, v33, s5
	s_addc_u32 s21, s21, 0
	s_sub_i32 s6, s20, 32
	s_delay_alu instid0(SALU_CYCLE_1) | instskip(SKIP_3) | instid1(VALU_DEP_2)
	s_cmp_ge_i32 s6, s15
	s_waitcnt lgkmcnt(0)
	v_mul_f64 v[2:3], v[56:57], v[87:88]
	v_mul_f64 v[89:90], v[54:55], v[87:88]
	v_fma_f64 v[2:3], v[54:55], v[85:86], -v[2:3]
	s_delay_alu instid0(VALU_DEP_2) | instskip(NEXT) | instid1(VALU_DEP_2)
	v_fma_f64 v[89:90], v[56:57], v[85:86], v[89:90]
	v_add_f64 v[2:3], v[46:47], v[2:3]
	s_delay_alu instid0(VALU_DEP_2) | instskip(SKIP_3) | instid1(VALU_DEP_1)
	v_add_f64 v[89:90], v[48:49], v[89:90]
	ds_load_b128 v[46:49], v70
	s_waitcnt lgkmcnt(0)
	v_mul_f64 v[91:92], v[56:57], v[48:49]
	v_fma_f64 v[91:92], v[54:55], v[46:47], -v[91:92]
	v_mul_f64 v[54:55], v[54:55], v[48:49]
	s_delay_alu instid0(VALU_DEP_1) | instskip(NEXT) | instid1(VALU_DEP_3)
	v_fma_f64 v[54:55], v[56:57], v[46:47], v[54:55]
	v_add_f64 v[56:57], v[42:43], v[91:92]
	s_delay_alu instid0(VALU_DEP_2) | instskip(SKIP_4) | instid1(VALU_DEP_2)
	v_add_f64 v[54:55], v[44:45], v[54:55]
	ds_load_b128 v[42:45], v60 offset:8192
	s_waitcnt lgkmcnt(0)
	v_mul_f64 v[91:92], v[44:45], v[87:88]
	v_mul_f64 v[87:88], v[42:43], v[87:88]
	v_fma_f64 v[91:92], v[42:43], v[85:86], -v[91:92]
	s_delay_alu instid0(VALU_DEP_2) | instskip(NEXT) | instid1(VALU_DEP_2)
	v_fma_f64 v[85:86], v[44:45], v[85:86], v[87:88]
	v_add_f64 v[87:88], v[38:39], v[91:92]
	s_delay_alu instid0(VALU_DEP_2) | instskip(SKIP_2) | instid1(VALU_DEP_2)
	v_add_f64 v[85:86], v[40:41], v[85:86]
	v_mul_f64 v[38:39], v[44:45], v[48:49]
	v_mul_f64 v[40:41], v[42:43], v[48:49]
	v_fma_f64 v[38:39], v[42:43], v[46:47], -v[38:39]
	s_delay_alu instid0(VALU_DEP_2) | instskip(NEXT) | instid1(VALU_DEP_2)
	v_fma_f64 v[40:41], v[44:45], v[46:47], v[40:41]
	v_add_f64 v[52:53], v[52:53], v[38:39]
	s_delay_alu instid0(VALU_DEP_2) | instskip(SKIP_4) | instid1(VALU_DEP_2)
	v_add_f64 v[50:51], v[50:51], v[40:41]
	ds_load_b128 v[38:41], v62 offset:512
	s_waitcnt lgkmcnt(0)
	v_mul_f64 v[42:43], v[75:76], v[40:41]
	v_mul_f64 v[44:45], v[73:74], v[40:41]
	v_fma_f64 v[42:43], v[73:74], v[38:39], -v[42:43]
	s_delay_alu instid0(VALU_DEP_2) | instskip(NEXT) | instid1(VALU_DEP_2)
	v_fma_f64 v[44:45], v[75:76], v[38:39], v[44:45]
	v_add_f64 v[2:3], v[2:3], v[42:43]
	s_delay_alu instid0(VALU_DEP_2) | instskip(SKIP_4) | instid1(VALU_DEP_2)
	v_add_f64 v[89:90], v[89:90], v[44:45]
	ds_load_b128 v[42:45], v70 offset:512
	s_waitcnt lgkmcnt(0)
	;; [unrolled: 10-line block ×3, first 2 shown]
	v_mul_f64 v[73:74], v[48:49], v[40:41]
	v_mul_f64 v[40:41], v[46:47], v[40:41]
	v_fma_f64 v[73:74], v[46:47], v[38:39], -v[73:74]
	s_delay_alu instid0(VALU_DEP_2) | instskip(SKIP_1) | instid1(VALU_DEP_3)
	v_fma_f64 v[38:39], v[48:49], v[38:39], v[40:41]
	v_mul_f64 v[40:41], v[46:47], v[44:45]
	v_add_f64 v[73:74], v[87:88], v[73:74]
	s_delay_alu instid0(VALU_DEP_3) | instskip(SKIP_1) | instid1(VALU_DEP_4)
	v_add_f64 v[75:76], v[85:86], v[38:39]
	v_mul_f64 v[38:39], v[48:49], v[44:45]
	v_fma_f64 v[40:41], v[48:49], v[42:43], v[40:41]
	s_delay_alu instid0(VALU_DEP_2) | instskip(NEXT) | instid1(VALU_DEP_2)
	v_fma_f64 v[38:39], v[46:47], v[42:43], -v[38:39]
	v_add_f64 v[50:51], v[50:51], v[40:41]
	s_delay_alu instid0(VALU_DEP_2) | instskip(SKIP_4) | instid1(VALU_DEP_2)
	v_add_f64 v[52:53], v[52:53], v[38:39]
	ds_load_b128 v[38:41], v62 offset:1024
	s_waitcnt lgkmcnt(0)
	v_mul_f64 v[42:43], v[79:80], v[40:41]
	v_mul_f64 v[44:45], v[77:78], v[40:41]
	v_fma_f64 v[42:43], v[77:78], v[38:39], -v[42:43]
	s_delay_alu instid0(VALU_DEP_2) | instskip(NEXT) | instid1(VALU_DEP_2)
	v_fma_f64 v[44:45], v[79:80], v[38:39], v[44:45]
	v_add_f64 v[2:3], v[2:3], v[42:43]
	s_delay_alu instid0(VALU_DEP_2) | instskip(SKIP_4) | instid1(VALU_DEP_2)
	v_add_f64 v[85:86], v[89:90], v[44:45]
	ds_load_b128 v[42:45], v70 offset:1024
	s_waitcnt lgkmcnt(0)
	v_mul_f64 v[46:47], v[79:80], v[44:45]
	v_mul_f64 v[48:49], v[77:78], v[44:45]
	v_fma_f64 v[46:47], v[77:78], v[42:43], -v[46:47]
	s_delay_alu instid0(VALU_DEP_2) | instskip(NEXT) | instid1(VALU_DEP_2)
	v_fma_f64 v[48:49], v[79:80], v[42:43], v[48:49]
	v_add_f64 v[56:57], v[56:57], v[46:47]
	s_delay_alu instid0(VALU_DEP_2) | instskip(SKIP_4) | instid1(VALU_DEP_2)
	v_add_f64 v[54:55], v[54:55], v[48:49]
	ds_load_b128 v[46:49], v60 offset:8224
	s_waitcnt lgkmcnt(0)
	v_mul_f64 v[77:78], v[48:49], v[40:41]
	v_mul_f64 v[40:41], v[46:47], v[40:41]
	v_fma_f64 v[77:78], v[46:47], v[38:39], -v[77:78]
	s_delay_alu instid0(VALU_DEP_2) | instskip(SKIP_1) | instid1(VALU_DEP_3)
	v_fma_f64 v[38:39], v[48:49], v[38:39], v[40:41]
	v_mul_f64 v[40:41], v[46:47], v[44:45]
	v_add_f64 v[73:74], v[73:74], v[77:78]
	s_delay_alu instid0(VALU_DEP_3) | instskip(SKIP_1) | instid1(VALU_DEP_4)
	v_add_f64 v[75:76], v[75:76], v[38:39]
	v_mul_f64 v[38:39], v[48:49], v[44:45]
	v_fma_f64 v[40:41], v[48:49], v[42:43], v[40:41]
	s_delay_alu instid0(VALU_DEP_2) | instskip(NEXT) | instid1(VALU_DEP_2)
	v_fma_f64 v[38:39], v[46:47], v[42:43], -v[38:39]
	v_add_f64 v[50:51], v[50:51], v[40:41]
	s_delay_alu instid0(VALU_DEP_2) | instskip(SKIP_4) | instid1(VALU_DEP_2)
	v_add_f64 v[52:53], v[52:53], v[38:39]
	ds_load_b128 v[38:41], v62 offset:1536
	s_waitcnt lgkmcnt(0)
	v_mul_f64 v[42:43], v[83:84], v[40:41]
	v_mul_f64 v[44:45], v[81:82], v[40:41]
	v_fma_f64 v[42:43], v[81:82], v[38:39], -v[42:43]
	s_delay_alu instid0(VALU_DEP_2) | instskip(NEXT) | instid1(VALU_DEP_2)
	v_fma_f64 v[44:45], v[83:84], v[38:39], v[44:45]
	v_add_f64 v[2:3], v[2:3], v[42:43]
	s_delay_alu instid0(VALU_DEP_2) | instskip(SKIP_4) | instid1(VALU_DEP_2)
	v_add_f64 v[77:78], v[85:86], v[44:45]
	ds_load_b128 v[42:45], v70 offset:1536
	s_waitcnt lgkmcnt(0)
	v_mul_f64 v[46:47], v[83:84], v[44:45]
	v_mul_f64 v[48:49], v[81:82], v[44:45]
	v_fma_f64 v[46:47], v[81:82], v[42:43], -v[46:47]
	s_delay_alu instid0(VALU_DEP_2) | instskip(NEXT) | instid1(VALU_DEP_2)
	v_fma_f64 v[48:49], v[83:84], v[42:43], v[48:49]
	v_add_f64 v[56:57], v[56:57], v[46:47]
	s_delay_alu instid0(VALU_DEP_2) | instskip(SKIP_4) | instid1(VALU_DEP_2)
	v_add_f64 v[54:55], v[54:55], v[48:49]
	ds_load_b128 v[46:49], v60 offset:8240
	s_waitcnt lgkmcnt(0)
	v_mul_f64 v[79:80], v[48:49], v[40:41]
	v_mul_f64 v[40:41], v[46:47], v[40:41]
	v_fma_f64 v[79:80], v[46:47], v[38:39], -v[79:80]
	s_delay_alu instid0(VALU_DEP_2) | instskip(SKIP_1) | instid1(VALU_DEP_3)
	v_fma_f64 v[38:39], v[48:49], v[38:39], v[40:41]
	v_mul_f64 v[40:41], v[46:47], v[44:45]
	v_add_f64 v[73:74], v[73:74], v[79:80]
	s_delay_alu instid0(VALU_DEP_3) | instskip(SKIP_1) | instid1(VALU_DEP_4)
	v_add_f64 v[75:76], v[75:76], v[38:39]
	v_mul_f64 v[38:39], v[48:49], v[44:45]
	v_fma_f64 v[40:41], v[48:49], v[42:43], v[40:41]
	s_delay_alu instid0(VALU_DEP_2) | instskip(NEXT) | instid1(VALU_DEP_2)
	v_fma_f64 v[38:39], v[46:47], v[42:43], -v[38:39]
	v_add_f64 v[50:51], v[50:51], v[40:41]
	s_delay_alu instid0(VALU_DEP_2)
	v_add_f64 v[52:53], v[52:53], v[38:39]
	ds_load_b128 v[38:41], v60 offset:64
	ds_load_b128 v[42:45], v62 offset:2048
	s_waitcnt lgkmcnt(0)
	v_mul_f64 v[46:47], v[40:41], v[44:45]
	v_mul_f64 v[48:49], v[38:39], v[44:45]
	s_delay_alu instid0(VALU_DEP_2) | instskip(NEXT) | instid1(VALU_DEP_2)
	v_fma_f64 v[46:47], v[38:39], v[42:43], -v[46:47]
	v_fma_f64 v[48:49], v[40:41], v[42:43], v[48:49]
	s_delay_alu instid0(VALU_DEP_2) | instskip(NEXT) | instid1(VALU_DEP_2)
	v_add_f64 v[2:3], v[2:3], v[46:47]
	v_add_f64 v[77:78], v[77:78], v[48:49]
	ds_load_b128 v[46:49], v70 offset:2048
	s_waitcnt lgkmcnt(0)
	v_mul_f64 v[79:80], v[40:41], v[48:49]
	s_delay_alu instid0(VALU_DEP_1) | instskip(SKIP_1) | instid1(VALU_DEP_2)
	v_fma_f64 v[79:80], v[38:39], v[46:47], -v[79:80]
	v_mul_f64 v[38:39], v[38:39], v[48:49]
	v_add_f64 v[56:57], v[56:57], v[79:80]
	s_delay_alu instid0(VALU_DEP_2) | instskip(NEXT) | instid1(VALU_DEP_1)
	v_fma_f64 v[38:39], v[40:41], v[46:47], v[38:39]
	v_add_f64 v[54:55], v[54:55], v[38:39]
	ds_load_b128 v[38:41], v60 offset:8256
	s_waitcnt lgkmcnt(0)
	v_mul_f64 v[79:80], v[40:41], v[44:45]
	v_mul_f64 v[44:45], v[38:39], v[44:45]
	s_delay_alu instid0(VALU_DEP_2) | instskip(NEXT) | instid1(VALU_DEP_2)
	v_fma_f64 v[79:80], v[38:39], v[42:43], -v[79:80]
	v_fma_f64 v[42:43], v[40:41], v[42:43], v[44:45]
	s_delay_alu instid0(VALU_DEP_2) | instskip(NEXT) | instid1(VALU_DEP_2)
	v_add_f64 v[73:74], v[73:74], v[79:80]
	v_add_f64 v[75:76], v[75:76], v[42:43]
	v_mul_f64 v[42:43], v[40:41], v[48:49]
	s_delay_alu instid0(VALU_DEP_1) | instskip(SKIP_1) | instid1(VALU_DEP_2)
	v_fma_f64 v[42:43], v[38:39], v[46:47], -v[42:43]
	v_mul_f64 v[38:39], v[38:39], v[48:49]
	v_add_f64 v[52:53], v[52:53], v[42:43]
	s_delay_alu instid0(VALU_DEP_2) | instskip(NEXT) | instid1(VALU_DEP_1)
	v_fma_f64 v[38:39], v[40:41], v[46:47], v[38:39]
	v_add_f64 v[50:51], v[50:51], v[38:39]
	ds_load_b128 v[38:41], v60 offset:80
	ds_load_b128 v[42:45], v62 offset:2560
	s_waitcnt lgkmcnt(0)
	v_mul_f64 v[46:47], v[40:41], v[44:45]
	v_mul_f64 v[48:49], v[38:39], v[44:45]
	s_delay_alu instid0(VALU_DEP_2) | instskip(NEXT) | instid1(VALU_DEP_2)
	v_fma_f64 v[46:47], v[38:39], v[42:43], -v[46:47]
	v_fma_f64 v[48:49], v[40:41], v[42:43], v[48:49]
	s_delay_alu instid0(VALU_DEP_2) | instskip(NEXT) | instid1(VALU_DEP_2)
	v_add_f64 v[2:3], v[2:3], v[46:47]
	v_add_f64 v[77:78], v[77:78], v[48:49]
	ds_load_b128 v[46:49], v70 offset:2560
	s_waitcnt lgkmcnt(0)
	v_mul_f64 v[79:80], v[40:41], v[48:49]
	s_delay_alu instid0(VALU_DEP_1) | instskip(SKIP_1) | instid1(VALU_DEP_2)
	v_fma_f64 v[79:80], v[38:39], v[46:47], -v[79:80]
	v_mul_f64 v[38:39], v[38:39], v[48:49]
	v_add_f64 v[56:57], v[56:57], v[79:80]
	s_delay_alu instid0(VALU_DEP_2) | instskip(NEXT) | instid1(VALU_DEP_1)
	v_fma_f64 v[38:39], v[40:41], v[46:47], v[38:39]
	v_add_f64 v[54:55], v[54:55], v[38:39]
	ds_load_b128 v[38:41], v60 offset:8272
	s_waitcnt lgkmcnt(0)
	v_mul_f64 v[79:80], v[40:41], v[44:45]
	v_mul_f64 v[44:45], v[38:39], v[44:45]
	s_delay_alu instid0(VALU_DEP_2) | instskip(NEXT) | instid1(VALU_DEP_2)
	v_fma_f64 v[79:80], v[38:39], v[42:43], -v[79:80]
	v_fma_f64 v[42:43], v[40:41], v[42:43], v[44:45]
	s_delay_alu instid0(VALU_DEP_2) | instskip(NEXT) | instid1(VALU_DEP_2)
	v_add_f64 v[73:74], v[73:74], v[79:80]
	v_add_f64 v[75:76], v[75:76], v[42:43]
	v_mul_f64 v[42:43], v[40:41], v[48:49]
	s_delay_alu instid0(VALU_DEP_1) | instskip(SKIP_1) | instid1(VALU_DEP_2)
	v_fma_f64 v[42:43], v[38:39], v[46:47], -v[42:43]
	v_mul_f64 v[38:39], v[38:39], v[48:49]
	v_add_f64 v[52:53], v[52:53], v[42:43]
	s_delay_alu instid0(VALU_DEP_2) | instskip(NEXT) | instid1(VALU_DEP_1)
	v_fma_f64 v[38:39], v[40:41], v[46:47], v[38:39]
	;; [unrolled: 39-line block ×26, first 2 shown]
	v_add_f64 v[50:51], v[50:51], v[38:39]
	ds_load_b128 v[38:41], v60 offset:480
	ds_load_b128 v[42:45], v62 offset:15360
	s_waitcnt lgkmcnt(0)
	v_mul_f64 v[46:47], v[40:41], v[44:45]
	v_mul_f64 v[48:49], v[38:39], v[44:45]
	s_delay_alu instid0(VALU_DEP_2) | instskip(NEXT) | instid1(VALU_DEP_2)
	v_fma_f64 v[46:47], v[38:39], v[42:43], -v[46:47]
	v_fma_f64 v[48:49], v[40:41], v[42:43], v[48:49]
	s_delay_alu instid0(VALU_DEP_2) | instskip(NEXT) | instid1(VALU_DEP_2)
	v_add_f64 v[79:80], v[2:3], v[46:47]
	v_add_f64 v[77:78], v[77:78], v[48:49]
	ds_load_b128 v[46:49], v70 offset:15360
	s_waitcnt lgkmcnt(0)
	v_mul_f64 v[2:3], v[40:41], v[48:49]
	s_delay_alu instid0(VALU_DEP_1) | instskip(SKIP_1) | instid1(VALU_DEP_2)
	v_fma_f64 v[2:3], v[38:39], v[46:47], -v[2:3]
	v_mul_f64 v[38:39], v[38:39], v[48:49]
	v_add_f64 v[56:57], v[56:57], v[2:3]
	s_delay_alu instid0(VALU_DEP_2) | instskip(NEXT) | instid1(VALU_DEP_1)
	v_fma_f64 v[38:39], v[40:41], v[46:47], v[38:39]
	v_add_f64 v[81:82], v[54:55], v[38:39]
	ds_load_b128 v[38:41], v60 offset:8672
	s_waitcnt lgkmcnt(0)
	v_mul_f64 v[2:3], v[40:41], v[44:45]
	v_mul_f64 v[44:45], v[38:39], v[44:45]
	s_delay_alu instid0(VALU_DEP_2) | instskip(NEXT) | instid1(VALU_DEP_2)
	v_fma_f64 v[2:3], v[38:39], v[42:43], -v[2:3]
	v_fma_f64 v[42:43], v[40:41], v[42:43], v[44:45]
	s_delay_alu instid0(VALU_DEP_2) | instskip(SKIP_1) | instid1(VALU_DEP_3)
	v_add_f64 v[83:84], v[73:74], v[2:3]
	v_mul_f64 v[2:3], v[40:41], v[48:49]
	v_add_f64 v[85:86], v[75:76], v[42:43]
	s_delay_alu instid0(VALU_DEP_2) | instskip(SKIP_1) | instid1(VALU_DEP_2)
	v_fma_f64 v[2:3], v[38:39], v[46:47], -v[2:3]
	v_mul_f64 v[38:39], v[38:39], v[48:49]
	v_add_f64 v[2:3], v[52:53], v[2:3]
	s_delay_alu instid0(VALU_DEP_2) | instskip(NEXT) | instid1(VALU_DEP_1)
	v_fma_f64 v[38:39], v[40:41], v[46:47], v[38:39]
	v_add_f64 v[50:51], v[50:51], v[38:39]
	ds_load_b128 v[38:41], v60 offset:496
	ds_load_b128 v[52:55], v62 offset:15872
	;; [unrolled: 1-line block ×3, first 2 shown]
	s_waitcnt lgkmcnt(1)
	v_mul_f64 v[42:43], v[40:41], v[54:55]
	v_mul_f64 v[44:45], v[38:39], v[54:55]
	s_delay_alu instid0(VALU_DEP_2) | instskip(NEXT) | instid1(VALU_DEP_2)
	v_fma_f64 v[42:43], v[38:39], v[52:53], -v[42:43]
	v_fma_f64 v[44:45], v[40:41], v[52:53], v[44:45]
	s_delay_alu instid0(VALU_DEP_2) | instskip(NEXT) | instid1(VALU_DEP_2)
	v_add_f64 v[46:47], v[79:80], v[42:43]
	v_add_f64 v[48:49], v[77:78], v[44:45]
	ds_load_b128 v[77:80], v60 offset:8688
	s_waitcnt lgkmcnt(1)
	v_mul_f64 v[42:43], v[40:41], v[75:76]
	s_waitcnt lgkmcnt(0)
	s_barrier
	buffer_gl0_inv
	v_fma_f64 v[42:43], v[38:39], v[73:74], -v[42:43]
	v_mul_f64 v[38:39], v[38:39], v[75:76]
	s_delay_alu instid0(VALU_DEP_2) | instskip(NEXT) | instid1(VALU_DEP_2)
	v_add_f64 v[42:43], v[56:57], v[42:43]
	v_fma_f64 v[38:39], v[40:41], v[73:74], v[38:39]
	v_mul_f64 v[40:41], v[77:78], v[54:55]
	s_delay_alu instid0(VALU_DEP_2) | instskip(SKIP_1) | instid1(VALU_DEP_3)
	v_add_f64 v[44:45], v[81:82], v[38:39]
	v_mul_f64 v[38:39], v[79:80], v[54:55]
	v_fma_f64 v[40:41], v[79:80], v[52:53], v[40:41]
	v_mul_f64 v[54:55], v[77:78], v[75:76]
	s_delay_alu instid0(VALU_DEP_3) | instskip(SKIP_1) | instid1(VALU_DEP_3)
	v_fma_f64 v[38:39], v[77:78], v[52:53], -v[38:39]
	v_mul_f64 v[52:53], v[79:80], v[75:76]
	v_fma_f64 v[54:55], v[79:80], v[73:74], v[54:55]
	v_add_f64 v[40:41], v[85:86], v[40:41]
	s_delay_alu instid0(VALU_DEP_4) | instskip(NEXT) | instid1(VALU_DEP_4)
	v_add_f64 v[38:39], v[83:84], v[38:39]
	v_fma_f64 v[52:53], v[77:78], v[73:74], -v[52:53]
	s_delay_alu instid0(VALU_DEP_4) | instskip(NEXT) | instid1(VALU_DEP_2)
	v_add_f64 v[50:51], v[50:51], v[54:55]
	v_add_f64 v[52:53], v[2:3], v[52:53]
	s_cbranch_scc1 .LBB124_55
.LBB124_7:                              ;   Parent Loop BB124_4 Depth=1
                                        ; =>  This Inner Loop Header: Depth=2
	v_add_co_u32 v54, s5, v58, s20
	s_delay_alu instid0(VALU_DEP_1) | instskip(SKIP_1) | instid1(VALU_DEP_2)
	v_add_co_ci_u32_e64 v55, null, 0, s21, s5
	v_cmp_eq_u64_e64 s6, s[20:21], v[24:25]
	v_cmp_gt_i64_e64 s5, v[54:55], v[20:21]
	s_delay_alu instid0(VALU_DEP_2) | instskip(SKIP_1) | instid1(VALU_DEP_2)
	s_and_b32 s23, s36, s6
	v_cmp_le_i64_e64 s6, s[38:39], v[54:55]
	s_or_b32 s7, s3, s5
	s_delay_alu instid0(SALU_CYCLE_1) | instskip(SKIP_1) | instid1(VALU_DEP_1)
	s_or_b32 s8, s7, s23
	v_add_co_u32 v56, s7, v34, v26
	v_add_co_ci_u32_e64 v57, s7, v35, v27, s7
	s_delay_alu instid0(VALU_DEP_3) | instskip(NEXT) | instid1(SALU_CYCLE_1)
	s_or_b32 s7, s6, s8
	s_xor_b32 s7, s7, -1
	s_delay_alu instid0(SALU_CYCLE_1) | instskip(NEXT) | instid1(SALU_CYCLE_1)
	s_and_saveexec_b32 s8, s7
	s_xor_b32 s7, exec_lo, s8
	s_cbranch_execz .LBB124_9
; %bb.8:                                ;   in Loop: Header=BB124_7 Depth=2
	global_load_b128 v[73:76], v[56:57], off offset:-256
	s_waitcnt vmcnt(0)
	ds_store_2addr_b64 v61, v[73:74], v[75:76] offset1:1
.LBB124_9:                              ;   in Loop: Header=BB124_7 Depth=2
	s_or_saveexec_b32 s7, s7
	s_xor_b32 s22, s23, -1
	s_xor_b32 exec_lo, exec_lo, s7
	s_cbranch_execz .LBB124_15
; %bb.10:                               ;   in Loop: Header=BB124_7 Depth=2
	s_and_saveexec_b32 s8, s22
	s_delay_alu instid0(SALU_CYCLE_1)
	s_xor_b32 s8, exec_lo, s8
	s_cbranch_execz .LBB124_12
; %bb.11:                               ;   in Loop: Header=BB124_7 Depth=2
	v_mov_b32_e32 v73, v0
	v_mov_b32_e32 v74, v0
	;; [unrolled: 1-line block ×4, first 2 shown]
	ds_store_b128 v61, v[73:76]
.LBB124_12:                             ;   in Loop: Header=BB124_7 Depth=2
	s_and_not1_saveexec_b32 s8, s8
	s_cbranch_execz .LBB124_14
; %bb.13:                               ;   in Loop: Header=BB124_7 Depth=2
	v_mov_b32_e32 v2, v0
	v_mov_b32_e32 v3, v0
	ds_store_b128 v61, v[0:3]
.LBB124_14:                             ;   in Loop: Header=BB124_7 Depth=2
	s_or_b32 exec_lo, exec_lo, s8
.LBB124_15:                             ;   in Loop: Header=BB124_7 Depth=2
	s_delay_alu instid0(SALU_CYCLE_1) | instskip(SKIP_1) | instid1(VALU_DEP_1)
	s_or_b32 exec_lo, exec_lo, s7
	v_add_co_u32 v2, s7, v54, 16
	v_add_co_ci_u32_e64 v3, s7, 0, v55, s7
	v_cmp_eq_u64_e64 s8, s[20:21], v[30:31]
	s_delay_alu instid0(VALU_DEP_2) | instskip(SKIP_1) | instid1(VALU_DEP_3)
	v_cmp_gt_i64_e64 s9, v[2:3], v[20:21]
	v_cmp_le_i64_e64 s7, s[38:39], v[2:3]
	s_and_b32 s24, s36, s8
	s_delay_alu instid0(VALU_DEP_2) | instskip(NEXT) | instid1(SALU_CYCLE_1)
	s_or_b32 s8, s3, s9
	s_or_b32 s8, s8, s24
	s_delay_alu instid0(VALU_DEP_1) | instid1(SALU_CYCLE_1)
	s_or_b32 s8, s7, s8
	s_delay_alu instid0(SALU_CYCLE_1) | instskip(NEXT) | instid1(SALU_CYCLE_1)
	s_xor_b32 s8, s8, -1
	s_and_saveexec_b32 s9, s8
	s_delay_alu instid0(SALU_CYCLE_1)
	s_xor_b32 s9, exec_lo, s9
	s_cbranch_execz .LBB124_17
; %bb.16:                               ;   in Loop: Header=BB124_7 Depth=2
	v_add_co_u32 v2, s8, v32, v26
	s_delay_alu instid0(VALU_DEP_1)
	v_add_co_ci_u32_e64 v3, s8, v33, v27, s8
	global_load_b128 v[73:76], v[2:3], off
	s_waitcnt vmcnt(0)
	ds_store_2addr_b64 v63, v[73:74], v[75:76] offset1:1
.LBB124_17:                             ;   in Loop: Header=BB124_7 Depth=2
	s_and_not1_saveexec_b32 s8, s9
	s_cbranch_execz .LBB124_23
; %bb.18:                               ;   in Loop: Header=BB124_7 Depth=2
	s_xor_b32 s9, s24, -1
	s_delay_alu instid0(SALU_CYCLE_1) | instskip(NEXT) | instid1(SALU_CYCLE_1)
	s_and_saveexec_b32 s24, s9
	s_xor_b32 s9, exec_lo, s24
	s_cbranch_execz .LBB124_20
; %bb.19:                               ;   in Loop: Header=BB124_7 Depth=2
	v_mov_b32_e32 v73, v0
	v_mov_b32_e32 v74, v0
	v_mov_b32_e32 v75, v0
	v_mov_b32_e32 v76, v0
	ds_store_b128 v63, v[73:76]
.LBB124_20:                             ;   in Loop: Header=BB124_7 Depth=2
	s_and_not1_saveexec_b32 s9, s9
	s_cbranch_execz .LBB124_22
; %bb.21:                               ;   in Loop: Header=BB124_7 Depth=2
	v_mov_b32_e32 v2, v0
	v_mov_b32_e32 v3, v0
	ds_store_b128 v63, v[0:3]
.LBB124_22:                             ;   in Loop: Header=BB124_7 Depth=2
	s_or_b32 exec_lo, exec_lo, s9
.LBB124_23:                             ;   in Loop: Header=BB124_7 Depth=2
	s_delay_alu instid0(SALU_CYCLE_1) | instskip(SKIP_2) | instid1(VALU_DEP_2)
	s_or_b32 exec_lo, exec_lo, s8
	v_cmp_eq_u64_e64 s8, s[20:21], v[28:29]
	v_cmp_gt_i64_e64 s9, v[54:55], v[22:23]
	s_and_b32 s8, s36, s8
	s_delay_alu instid0(VALU_DEP_1) | instskip(NEXT) | instid1(SALU_CYCLE_1)
	s_or_b32 s9, s4, s9
	s_or_b32 s9, s9, s8
	s_delay_alu instid0(SALU_CYCLE_1) | instskip(NEXT) | instid1(SALU_CYCLE_1)
	s_or_b32 s6, s6, s9
	s_xor_b32 s6, s6, -1
	s_delay_alu instid0(SALU_CYCLE_1) | instskip(NEXT) | instid1(SALU_CYCLE_1)
	s_and_saveexec_b32 s9, s6
	s_xor_b32 s6, exec_lo, s9
	s_cbranch_execz .LBB124_25
; %bb.24:                               ;   in Loop: Header=BB124_7 Depth=2
	global_load_b128 v[54:57], v[56:57], off
	s_waitcnt vmcnt(0)
	ds_store_2addr_b64 v64, v[54:55], v[56:57] offset1:1
.LBB124_25:                             ;   in Loop: Header=BB124_7 Depth=2
	s_and_not1_saveexec_b32 s6, s6
	s_cbranch_execz .LBB124_31
; %bb.26:                               ;   in Loop: Header=BB124_7 Depth=2
	s_xor_b32 s8, s8, -1
	s_delay_alu instid0(SALU_CYCLE_1) | instskip(NEXT) | instid1(SALU_CYCLE_1)
	s_and_saveexec_b32 s9, s8
	s_xor_b32 s8, exec_lo, s9
	s_cbranch_execz .LBB124_28
; %bb.27:                               ;   in Loop: Header=BB124_7 Depth=2
	v_mov_b32_e32 v54, v0
	v_mov_b32_e32 v55, v0
	;; [unrolled: 1-line block ×4, first 2 shown]
	ds_store_b128 v64, v[54:57]
.LBB124_28:                             ;   in Loop: Header=BB124_7 Depth=2
	s_and_not1_saveexec_b32 s8, s8
	s_cbranch_execz .LBB124_30
; %bb.29:                               ;   in Loop: Header=BB124_7 Depth=2
	v_mov_b32_e32 v2, v0
	v_mov_b32_e32 v3, v0
	ds_store_b128 v64, v[0:3]
.LBB124_30:                             ;   in Loop: Header=BB124_7 Depth=2
	s_or_b32 exec_lo, exec_lo, s8
.LBB124_31:                             ;   in Loop: Header=BB124_7 Depth=2
	s_delay_alu instid0(SALU_CYCLE_1) | instskip(SKIP_1) | instid1(SALU_CYCLE_1)
	s_or_b32 exec_lo, exec_lo, s6
	s_or_b32 s5, s4, s5
	s_or_b32 s5, s5, s23
	s_delay_alu instid0(SALU_CYCLE_1) | instskip(NEXT) | instid1(SALU_CYCLE_1)
	s_or_b32 s5, s7, s5
	s_xor_b32 s5, s5, -1
	s_delay_alu instid0(SALU_CYCLE_1) | instskip(NEXT) | instid1(SALU_CYCLE_1)
	s_and_saveexec_b32 s6, s5
	s_xor_b32 s6, exec_lo, s6
	s_cbranch_execz .LBB124_33
; %bb.32:                               ;   in Loop: Header=BB124_7 Depth=2
	v_add_co_u32 v2, s5, v32, v26
	s_delay_alu instid0(VALU_DEP_1)
	v_add_co_ci_u32_e64 v3, s5, v33, v27, s5
	global_load_b128 v[54:57], v[2:3], off offset:256
	s_waitcnt vmcnt(0)
	ds_store_2addr_b64 v66, v[54:55], v[56:57] offset1:1
.LBB124_33:                             ;   in Loop: Header=BB124_7 Depth=2
	s_and_not1_saveexec_b32 s5, s6
	s_cbranch_execz .LBB124_39
; %bb.34:                               ;   in Loop: Header=BB124_7 Depth=2
	s_and_saveexec_b32 s6, s22
	s_delay_alu instid0(SALU_CYCLE_1)
	s_xor_b32 s6, exec_lo, s6
	s_cbranch_execz .LBB124_36
; %bb.35:                               ;   in Loop: Header=BB124_7 Depth=2
	v_mov_b32_e32 v54, v0
	v_mov_b32_e32 v55, v0
	;; [unrolled: 1-line block ×4, first 2 shown]
	ds_store_b128 v66, v[54:57]
.LBB124_36:                             ;   in Loop: Header=BB124_7 Depth=2
	s_and_not1_saveexec_b32 s6, s6
	s_cbranch_execz .LBB124_38
; %bb.37:                               ;   in Loop: Header=BB124_7 Depth=2
	v_mov_b32_e32 v2, v0
	v_mov_b32_e32 v3, v0
	ds_store_b128 v66, v[0:3]
.LBB124_38:                             ;   in Loop: Header=BB124_7 Depth=2
	s_or_b32 exec_lo, exec_lo, s6
.LBB124_39:                             ;   in Loop: Header=BB124_7 Depth=2
	s_delay_alu instid0(SALU_CYCLE_1) | instskip(SKIP_1) | instid1(VALU_DEP_1)
	s_or_b32 exec_lo, exec_lo, s5
	v_add_co_u32 v2, s5, v59, s20
	v_add_co_ci_u32_e64 v3, null, 0, s21, s5
	v_add_co_u32 v54, s6, v36, v14
	s_delay_alu instid0(VALU_DEP_1) | instskip(NEXT) | instid1(VALU_DEP_3)
	v_add_co_ci_u32_e64 v55, s6, v37, v15, s6
	v_cmp_le_i64_e64 s5, s[38:39], v[2:3]
	s_delay_alu instid0(VALU_DEP_1) | instskip(NEXT) | instid1(SALU_CYCLE_1)
	s_or_b32 s6, s5, vcc_lo
	s_xor_b32 s6, s6, -1
	s_delay_alu instid0(SALU_CYCLE_1) | instskip(NEXT) | instid1(SALU_CYCLE_1)
	s_and_saveexec_b32 s7, s6
	s_xor_b32 s6, exec_lo, s7
	s_cbranch_execz .LBB124_41
; %bb.40:                               ;   in Loop: Header=BB124_7 Depth=2
	global_load_b128 v[73:76], v[54:55], off offset:-256
	s_waitcnt vmcnt(0)
	ds_store_2addr_b64 v65, v[73:74], v[75:76] offset1:1
.LBB124_41:                             ;   in Loop: Header=BB124_7 Depth=2
	s_and_not1_saveexec_b32 s6, s6
	s_cbranch_execz .LBB124_43
; %bb.42:                               ;   in Loop: Header=BB124_7 Depth=2
	v_mov_b32_e32 v73, v0
	v_mov_b32_e32 v74, v0
	;; [unrolled: 1-line block ×4, first 2 shown]
	ds_store_b128 v65, v[73:76]
.LBB124_43:                             ;   in Loop: Header=BB124_7 Depth=2
	s_or_b32 exec_lo, exec_lo, s6
	s_or_b32 s5, s5, s0
	s_delay_alu instid0(SALU_CYCLE_1) | instskip(NEXT) | instid1(SALU_CYCLE_1)
	s_xor_b32 s5, s5, -1
	s_and_saveexec_b32 s6, s5
	s_delay_alu instid0(SALU_CYCLE_1)
	s_xor_b32 s5, exec_lo, s6
	s_cbranch_execz .LBB124_45
; %bb.44:                               ;   in Loop: Header=BB124_7 Depth=2
	global_load_b128 v[54:57], v[54:55], off
	s_waitcnt vmcnt(0)
	ds_store_2addr_b64 v67, v[54:55], v[56:57] offset1:1
.LBB124_45:                             ;   in Loop: Header=BB124_7 Depth=2
	s_and_not1_saveexec_b32 s5, s5
	s_cbranch_execz .LBB124_47
; %bb.46:                               ;   in Loop: Header=BB124_7 Depth=2
	v_mov_b32_e32 v54, v0
	v_mov_b32_e32 v55, v0
	;; [unrolled: 1-line block ×4, first 2 shown]
	ds_store_b128 v67, v[54:57]
.LBB124_47:                             ;   in Loop: Header=BB124_7 Depth=2
	s_or_b32 exec_lo, exec_lo, s5
	v_cmp_le_i64_e64 s5, s[34:35], v[2:3]
	s_delay_alu instid0(VALU_DEP_1) | instskip(NEXT) | instid1(SALU_CYCLE_1)
	s_or_b32 s6, s5, vcc_lo
	s_xor_b32 s6, s6, -1
	s_delay_alu instid0(SALU_CYCLE_1) | instskip(NEXT) | instid1(SALU_CYCLE_1)
	s_and_saveexec_b32 s7, s6
	s_xor_b32 s7, exec_lo, s7
	s_cbranch_execz .LBB124_49
; %bb.48:                               ;   in Loop: Header=BB124_7 Depth=2
	v_add_co_u32 v2, s6, v36, v12
	s_delay_alu instid0(VALU_DEP_1)
	v_add_co_ci_u32_e64 v3, s6, v37, v13, s6
	global_load_b128 v[54:57], v[2:3], off offset:-256
	s_waitcnt vmcnt(0)
	ds_store_2addr_b64 v68, v[54:55], v[56:57] offset1:1
.LBB124_49:                             ;   in Loop: Header=BB124_7 Depth=2
	s_and_not1_saveexec_b32 s6, s7
	s_cbranch_execz .LBB124_51
; %bb.50:                               ;   in Loop: Header=BB124_7 Depth=2
	v_mov_b32_e32 v54, v0
	v_mov_b32_e32 v55, v0
	;; [unrolled: 1-line block ×4, first 2 shown]
	ds_store_b128 v68, v[54:57]
.LBB124_51:                             ;   in Loop: Header=BB124_7 Depth=2
	s_or_b32 exec_lo, exec_lo, s6
	s_or_b32 s5, s5, s0
	s_delay_alu instid0(SALU_CYCLE_1) | instskip(NEXT) | instid1(SALU_CYCLE_1)
	s_xor_b32 s5, s5, -1
	s_and_saveexec_b32 s6, s5
	s_delay_alu instid0(SALU_CYCLE_1)
	s_xor_b32 s6, exec_lo, s6
	s_cbranch_execz .LBB124_53
; %bb.52:                               ;   in Loop: Header=BB124_7 Depth=2
	v_add_co_u32 v2, s5, v36, v12
	s_delay_alu instid0(VALU_DEP_1)
	v_add_co_ci_u32_e64 v3, s5, v37, v13, s5
	global_load_b128 v[54:57], v[2:3], off
	s_waitcnt vmcnt(0)
	ds_store_2addr_b64 v69, v[54:55], v[56:57] offset1:1
.LBB124_53:                             ;   in Loop: Header=BB124_7 Depth=2
	s_and_not1_saveexec_b32 s5, s6
	s_cbranch_execz .LBB124_6
; %bb.54:                               ;   in Loop: Header=BB124_7 Depth=2
	v_mov_b32_e32 v54, v0
	v_mov_b32_e32 v55, v0
	;; [unrolled: 1-line block ×4, first 2 shown]
	ds_store_b128 v69, v[54:57]
	s_branch .LBB124_6
.LBB124_55:                             ;   in Loop: Header=BB124_4 Depth=1
	v_mul_lo_u32 v7, v21, s40
	v_mul_lo_u32 v21, v20, s41
	v_mad_u64_u32 v[2:3], null, v20, s40, 0
	v_cmp_gt_i32_e64 s3, s38, v20
	s_delay_alu instid0(VALU_DEP_2) | instskip(NEXT) | instid1(VALU_DEP_1)
	v_add3_u32 v3, v3, v21, v7
	v_lshlrev_b64 v[2:3], 4, v[2:3]
	s_delay_alu instid0(VALU_DEP_1) | instskip(NEXT) | instid1(VALU_DEP_1)
	v_add_co_u32 v2, s4, s42, v2
	v_add_co_ci_u32_e64 v3, s4, s43, v3, s4
	s_and_b32 s4, s1, s3
	s_delay_alu instid0(SALU_CYCLE_1)
	s_and_saveexec_b32 s5, s4
	s_cbranch_execz .LBB124_57
; %bb.56:                               ;   in Loop: Header=BB124_4 Depth=1
	v_add_co_u32 v25, s4, v2, v8
	s_delay_alu instid0(VALU_DEP_1)
	v_add_co_ci_u32_e64 v26, s4, v3, v9, s4
	v_mul_f64 v[27:28], s[18:19], v[48:49]
	v_mul_f64 v[29:30], s[16:17], v[48:49]
	global_load_b128 v[21:24], v[25:26], off
	v_fma_f64 v[27:28], s[16:17], v[46:47], -v[27:28]
	v_fma_f64 v[29:30], s[18:19], v[46:47], v[29:30]
	s_waitcnt vmcnt(0)
	s_delay_alu instid0(VALU_DEP_2) | instskip(NEXT) | instid1(VALU_DEP_2)
	v_add_f64 v[21:22], v[21:22], v[27:28]
	v_add_f64 v[23:24], v[23:24], v[29:30]
	global_store_b128 v[25:26], v[21:24], off
.LBB124_57:                             ;   in Loop: Header=BB124_4 Depth=1
	s_or_b32 exec_lo, exec_lo, s5
	s_and_b32 s3, s2, s3
	s_delay_alu instid0(SALU_CYCLE_1)
	s_and_saveexec_b32 s4, s3
	s_cbranch_execz .LBB124_59
; %bb.58:                               ;   in Loop: Header=BB124_4 Depth=1
	v_lshlrev_b64 v[21:22], 4, v[4:5]
	v_mul_f64 v[25:26], s[18:19], v[44:45]
	v_mul_f64 v[27:28], s[16:17], v[44:45]
	s_delay_alu instid0(VALU_DEP_3) | instskip(NEXT) | instid1(VALU_DEP_1)
	v_add_co_u32 v2, s3, v2, v21
	v_add_co_ci_u32_e64 v3, s3, v3, v22, s3
	global_load_b128 v[21:24], v[2:3], off
	v_fma_f64 v[25:26], s[16:17], v[42:43], -v[25:26]
	v_fma_f64 v[27:28], s[18:19], v[42:43], v[27:28]
	s_waitcnt vmcnt(0)
	s_delay_alu instid0(VALU_DEP_2) | instskip(NEXT) | instid1(VALU_DEP_2)
	v_add_f64 v[21:22], v[21:22], v[25:26]
	v_add_f64 v[23:24], v[23:24], v[27:28]
	global_store_b128 v[2:3], v[21:24], off
.LBB124_59:                             ;   in Loop: Header=BB124_4 Depth=1
	s_or_b32 exec_lo, exec_lo, s4
	v_add_nc_u32_e32 v7, 16, v20
	s_delay_alu instid0(VALU_DEP_1) | instskip(SKIP_3) | instid1(VALU_DEP_4)
	v_ashrrev_i32_e32 v20, 31, v7
	v_mul_lo_u32 v21, v7, s41
	v_mad_u64_u32 v[2:3], null, v7, s40, 0
	v_cmp_gt_i32_e64 s3, s38, v7
	v_mul_lo_u32 v20, v20, s40
	s_delay_alu instid0(VALU_DEP_1) | instskip(NEXT) | instid1(VALU_DEP_1)
	v_add3_u32 v3, v3, v21, v20
	v_lshlrev_b64 v[2:3], 4, v[2:3]
	s_delay_alu instid0(VALU_DEP_1) | instskip(NEXT) | instid1(VALU_DEP_1)
	v_add_co_u32 v2, s4, s42, v2
	v_add_co_ci_u32_e64 v3, s4, s43, v3, s4
	s_and_b32 s4, s1, s3
	s_delay_alu instid0(SALU_CYCLE_1)
	s_and_saveexec_b32 s5, s4
	s_cbranch_execz .LBB124_61
; %bb.60:                               ;   in Loop: Header=BB124_4 Depth=1
	v_add_co_u32 v24, s4, v2, v8
	s_delay_alu instid0(VALU_DEP_1)
	v_add_co_ci_u32_e64 v25, s4, v3, v9, s4
	v_mul_f64 v[26:27], s[18:19], v[40:41]
	v_mul_f64 v[28:29], s[16:17], v[40:41]
	global_load_b128 v[20:23], v[24:25], off
	v_fma_f64 v[26:27], s[16:17], v[38:39], -v[26:27]
	v_fma_f64 v[28:29], s[18:19], v[38:39], v[28:29]
	s_waitcnt vmcnt(0)
	s_delay_alu instid0(VALU_DEP_2) | instskip(NEXT) | instid1(VALU_DEP_2)
	v_add_f64 v[20:21], v[20:21], v[26:27]
	v_add_f64 v[22:23], v[22:23], v[28:29]
	global_store_b128 v[24:25], v[20:23], off
.LBB124_61:                             ;   in Loop: Header=BB124_4 Depth=1
	s_or_b32 exec_lo, exec_lo, s5
	s_and_b32 s3, s2, s3
	s_delay_alu instid0(SALU_CYCLE_1)
	s_and_saveexec_b32 s4, s3
	s_cbranch_execz .LBB124_3
; %bb.62:                               ;   in Loop: Header=BB124_4 Depth=1
	v_lshlrev_b64 v[20:21], 4, v[4:5]
	v_mul_f64 v[24:25], s[18:19], v[50:51]
	v_mul_f64 v[26:27], s[16:17], v[50:51]
	s_delay_alu instid0(VALU_DEP_3) | instskip(NEXT) | instid1(VALU_DEP_1)
	v_add_co_u32 v2, s3, v2, v20
	v_add_co_ci_u32_e64 v3, s3, v3, v21, s3
	global_load_b128 v[20:23], v[2:3], off
	v_fma_f64 v[24:25], s[16:17], v[52:53], -v[24:25]
	v_fma_f64 v[26:27], s[18:19], v[52:53], v[26:27]
	s_waitcnt vmcnt(0)
	s_delay_alu instid0(VALU_DEP_2) | instskip(NEXT) | instid1(VALU_DEP_2)
	v_add_f64 v[20:21], v[20:21], v[24:25]
	v_add_f64 v[22:23], v[22:23], v[26:27]
	global_store_b128 v[2:3], v[20:23], off
	s_branch .LBB124_3
.LBB124_63:
	s_nop 0
	s_sendmsg sendmsg(MSG_DEALLOC_VGPRS)
	s_endpgm
	.section	.rodata,"a",@progbits
	.p2align	6, 0x0
	.amdhsa_kernel _ZL30rocblas_trmm_outofplace_kernelI19rocblas_complex_numIdELi32ELi2ELb0ELb0ELb1ELb0EPKS1_S2_S1_Ev17rocblas_diagonal_iiT6_lPT7_lllS7_lllPT8_llli
		.amdhsa_group_segment_fixed_size 32768
		.amdhsa_private_segment_fixed_size 0
		.amdhsa_kernarg_size 392
		.amdhsa_user_sgpr_count 13
		.amdhsa_user_sgpr_dispatch_ptr 0
		.amdhsa_user_sgpr_queue_ptr 0
		.amdhsa_user_sgpr_kernarg_segment_ptr 1
		.amdhsa_user_sgpr_dispatch_id 0
		.amdhsa_user_sgpr_private_segment_size 0
		.amdhsa_wavefront_size32 1
		.amdhsa_uses_dynamic_stack 0
		.amdhsa_enable_private_segment 0
		.amdhsa_system_sgpr_workgroup_id_x 1
		.amdhsa_system_sgpr_workgroup_id_y 1
		.amdhsa_system_sgpr_workgroup_id_z 1
		.amdhsa_system_sgpr_workgroup_info 0
		.amdhsa_system_vgpr_workitem_id 1
		.amdhsa_next_free_vgpr 93
		.amdhsa_next_free_sgpr 45
		.amdhsa_reserve_vcc 1
		.amdhsa_float_round_mode_32 0
		.amdhsa_float_round_mode_16_64 0
		.amdhsa_float_denorm_mode_32 3
		.amdhsa_float_denorm_mode_16_64 3
		.amdhsa_dx10_clamp 1
		.amdhsa_ieee_mode 1
		.amdhsa_fp16_overflow 0
		.amdhsa_workgroup_processor_mode 1
		.amdhsa_memory_ordered 1
		.amdhsa_forward_progress 0
		.amdhsa_shared_vgpr_count 0
		.amdhsa_exception_fp_ieee_invalid_op 0
		.amdhsa_exception_fp_denorm_src 0
		.amdhsa_exception_fp_ieee_div_zero 0
		.amdhsa_exception_fp_ieee_overflow 0
		.amdhsa_exception_fp_ieee_underflow 0
		.amdhsa_exception_fp_ieee_inexact 0
		.amdhsa_exception_int_div_zero 0
	.end_amdhsa_kernel
	.section	.text._ZL30rocblas_trmm_outofplace_kernelI19rocblas_complex_numIdELi32ELi2ELb0ELb0ELb1ELb0EPKS1_S2_S1_Ev17rocblas_diagonal_iiT6_lPT7_lllS7_lllPT8_llli,"axG",@progbits,_ZL30rocblas_trmm_outofplace_kernelI19rocblas_complex_numIdELi32ELi2ELb0ELb0ELb1ELb0EPKS1_S2_S1_Ev17rocblas_diagonal_iiT6_lPT7_lllS7_lllPT8_llli,comdat
.Lfunc_end124:
	.size	_ZL30rocblas_trmm_outofplace_kernelI19rocblas_complex_numIdELi32ELi2ELb0ELb0ELb1ELb0EPKS1_S2_S1_Ev17rocblas_diagonal_iiT6_lPT7_lllS7_lllPT8_llli, .Lfunc_end124-_ZL30rocblas_trmm_outofplace_kernelI19rocblas_complex_numIdELi32ELi2ELb0ELb0ELb1ELb0EPKS1_S2_S1_Ev17rocblas_diagonal_iiT6_lPT7_lllS7_lllPT8_llli
                                        ; -- End function
	.section	.AMDGPU.csdata,"",@progbits
; Kernel info:
; codeLenInByte = 11576
; NumSgprs: 47
; NumVgprs: 93
; ScratchSize: 0
; MemoryBound: 0
; FloatMode: 240
; IeeeMode: 1
; LDSByteSize: 32768 bytes/workgroup (compile time only)
; SGPRBlocks: 5
; VGPRBlocks: 11
; NumSGPRsForWavesPerEU: 47
; NumVGPRsForWavesPerEU: 93
; Occupancy: 16
; WaveLimiterHint : 0
; COMPUTE_PGM_RSRC2:SCRATCH_EN: 0
; COMPUTE_PGM_RSRC2:USER_SGPR: 13
; COMPUTE_PGM_RSRC2:TRAP_HANDLER: 0
; COMPUTE_PGM_RSRC2:TGID_X_EN: 1
; COMPUTE_PGM_RSRC2:TGID_Y_EN: 1
; COMPUTE_PGM_RSRC2:TGID_Z_EN: 1
; COMPUTE_PGM_RSRC2:TIDIG_COMP_CNT: 1
	.section	.text._ZL30rocblas_trmm_outofplace_kernelI19rocblas_complex_numIdELi32ELi2ELb0ELb0ELb1ELb0ES1_KS1_S1_Ev17rocblas_diagonal_iiT6_lPT7_lllS6_lllPT8_llli,"axG",@progbits,_ZL30rocblas_trmm_outofplace_kernelI19rocblas_complex_numIdELi32ELi2ELb0ELb0ELb1ELb0ES1_KS1_S1_Ev17rocblas_diagonal_iiT6_lPT7_lllS6_lllPT8_llli,comdat
	.globl	_ZL30rocblas_trmm_outofplace_kernelI19rocblas_complex_numIdELi32ELi2ELb0ELb0ELb1ELb0ES1_KS1_S1_Ev17rocblas_diagonal_iiT6_lPT7_lllS6_lllPT8_llli ; -- Begin function _ZL30rocblas_trmm_outofplace_kernelI19rocblas_complex_numIdELi32ELi2ELb0ELb0ELb1ELb0ES1_KS1_S1_Ev17rocblas_diagonal_iiT6_lPT7_lllS6_lllPT8_llli
	.p2align	8
	.type	_ZL30rocblas_trmm_outofplace_kernelI19rocblas_complex_numIdELi32ELi2ELb0ELb0ELb1ELb0ES1_KS1_S1_Ev17rocblas_diagonal_iiT6_lPT7_lllS6_lllPT8_llli,@function
_ZL30rocblas_trmm_outofplace_kernelI19rocblas_complex_numIdELi32ELi2ELb0ELb0ELb1ELb0ES1_KS1_S1_Ev17rocblas_diagonal_iiT6_lPT7_lllS6_lllPT8_llli: ; @_ZL30rocblas_trmm_outofplace_kernelI19rocblas_complex_numIdELi32ELi2ELb0ELb0ELb1ELb0ES1_KS1_S1_Ev17rocblas_diagonal_iiT6_lPT7_lllS6_lllPT8_llli
; %bb.0:
	s_load_b128 s[44:47], s[0:1], 0x10
	s_waitcnt lgkmcnt(0)
	v_cmp_eq_f64_e64 s2, s[44:45], 0
	v_cmp_eq_f64_e64 s3, s[46:47], 0
	s_delay_alu instid0(VALU_DEP_1) | instskip(NEXT) | instid1(SALU_CYCLE_1)
	s_and_b32 s2, s2, s3
	s_and_b32 vcc_lo, exec_lo, s2
	s_cbranch_vccnz .LBB125_63
; %bb.1:
	s_load_b128 s[8:11], s[0:1], 0x0
	s_waitcnt lgkmcnt(0)
	s_add_i32 s2, s10, -1
	s_delay_alu instid0(SALU_CYCLE_1) | instskip(NEXT) | instid1(SALU_CYCLE_1)
	s_ashr_i32 s3, s2, 31
	s_lshr_b32 s3, s3, 27
	s_delay_alu instid0(SALU_CYCLE_1) | instskip(NEXT) | instid1(SALU_CYCLE_1)
	s_add_i32 s2, s2, s3
	s_ashr_i32 s33, s2, 5
	s_delay_alu instid0(SALU_CYCLE_1)
	s_cmp_gt_i32 s14, s33
	s_cbranch_scc1 .LBB125_63
; %bb.2:
	s_clause 0x1
	s_load_b512 s[16:31], s[0:1], 0x28
	s_load_b256 s[36:43], s[0:1], 0x68
	v_bfe_u32 v59, v0, 10, 10
	s_load_b32 s48, s[0:1], 0x94
	s_delay_alu instid0(VALU_DEP_1)
	v_lshl_add_u32 v19, v59, 4, 0x100
	s_waitcnt lgkmcnt(0)
	v_mad_u64_u32 v[14:15], null, s28, v59, 0
	v_and_b32_e32 v58, 0x3ff, v0
	s_mul_i32 s1, s15, s43
	s_mul_hi_u32 s2, s15, s42
	s_mul_i32 s0, s15, s42
	s_add_i32 s1, s2, s1
	s_mul_hi_u32 s4, s30, s15
	s_delay_alu instid0(VALU_DEP_2)
	v_mov_b32_e32 v3, v15
	v_lshl_add_u32 v1, s13, 5, v58
	s_lshl_b64 s[0:1], s[0:1], 4
	v_mad_u64_u32 v[16:17], null, s20, v58, 0
	s_add_u32 s2, s36, s0
	s_addc_u32 s3, s37, s1
	s_lshl_b64 s[0:1], s[38:39], 4
	v_add_nc_u32_e32 v4, 16, v1
	s_add_u32 s38, s2, s0
	s_addc_u32 s39, s3, s1
	s_cmpk_eq_i32 s8, 0x84
	v_sub_co_u32 v71, s3, 0, v58
	s_cselect_b32 s42, -1, 0
	s_ashr_i32 s0, s9, 31
	s_ashr_i32 s11, s10, 31
	s_lshl_b64 s[12:13], s[20:21], 9
	s_lshl_b64 s[34:35], s[28:29], 9
	v_sub_co_ci_u32_e64 v72, null, 0, 0, s3
	s_mul_i32 s3, s31, s15
	s_add_u32 s36, s10, -16
	v_mad_u64_u32 v[7:8], null, s29, v59, v[3:4]
	s_addc_u32 s37, s11, -1
	s_add_i32 s5, s4, s3
	s_mul_i32 s4, s30, s15
	v_dual_mov_b32 v3, v17 :: v_dual_lshlrev_b32 v60, 9, v59
	s_lshl_b64 s[4:5], s[4:5], 4
	s_lshl_b64 s[6:7], s[26:27], 4
	s_lshl_b32 s30, s48, 5
	s_add_u32 s3, s4, s6
	v_dual_mov_b32 v15, v7 :: v_dual_lshlrev_b32 v10, 4, v58
	s_addc_u32 s4, s5, s7
	s_mul_i32 s5, s23, s15
	s_mul_hi_u32 s6, s22, s15
	s_add_u32 s3, s24, s3
	v_mad_u64_u32 v[7:8], null, s21, v58, v[3:4]
	s_addc_u32 s8, s25, s4
	s_add_i32 s5, s6, s5
	s_mul_i32 s4, s22, s15
	s_lshl_b64 s[6:7], s[18:19], 4
	s_lshl_b64 s[4:5], s[4:5], 4
	s_add_u32 s6, s16, s6
	v_add_nc_u32_e32 v18, 0x100, v10
	s_addc_u32 s7, s17, s7
	v_ashrrev_i32_e32 v2, 31, v1
	s_add_u32 s4, s6, s4
	s_addc_u32 s5, s7, s5
	v_dual_mov_b32 v0, 0 :: v_dual_add_nc_u32 v61, v60, v10
	v_or_b32_e32 v62, 0x4000, v10
	v_dual_mov_b32 v17, v7 :: v_dual_add_nc_u32 v70, 0x4100, v10
	v_mad_u64_u32 v[10:11], null, s20, v18, s[4:5]
	v_mad_u64_u32 v[12:13], null, s28, v19, 0
	v_lshlrev_b64 v[8:9], 4, v[1:2]
	v_sub_co_u32 v5, vcc_lo, s9, v1
	v_sub_co_ci_u32_e32 v6, vcc_lo, s0, v2, vcc_lo
	v_cmp_gt_i32_e64 s1, s9, v1
	v_lshlrev_b64 v[1:2], 4, v[16:17]
	v_dual_mov_b32 v3, v11 :: v_dual_add_nc_u32 v64, 0x2000, v61
	v_add_co_u32 v16, s3, s3, v8
	v_dual_mov_b32 v7, v13 :: v_dual_add_nc_u32 v66, 0x2100, v61
	v_add_co_ci_u32_e64 v17, s3, s8, v9, s3
	v_add_co_u32 v11, s3, s4, v1
	s_delay_alu instid0(VALU_DEP_1) | instskip(SKIP_4) | instid1(VALU_DEP_1)
	v_add_co_ci_u32_e64 v13, s3, s5, v2, s3
	v_mad_u64_u32 v[1:2], null, s21, v18, v[3:4]
	v_mad_u64_u32 v[2:3], null, s29, v19, v[7:8]
	v_add_nc_u32_e32 v65, v62, v60
	v_add_co_u32 v16, s3, 0x100, v16
	v_add_co_ci_u32_e64 v17, s3, 0, v17, s3
	v_add_co_u32 v18, s3, 0x100, v11
	v_cmp_gt_i64_e32 vcc_lo, 1, v[5:6]
	v_cmp_gt_i64_e64 s0, 17, v[5:6]
	v_lshlrev_b64 v[14:15], 4, v[14:15]
	v_add_nc_u32_e32 v63, 0x100, v61
	v_add_nc_u32_e32 v67, 0x100, v65
	v_dual_mov_b32 v11, v1 :: v_dual_add_nc_u32 v68, 0x2000, v65
	v_add_nc_u32_e32 v69, 0x2100, v65
	v_cmp_gt_i32_e64 s2, s9, v4
	v_ashrrev_i32_e32 v5, 31, v4
	v_lshl_add_u32 v6, s14, 5, v59
	v_add_co_ci_u32_e64 v19, s3, 0, v13, s3
	v_mov_b32_e32 v13, v2
	v_mov_b32_e32 v1, 0x3ff00000
	s_branch .LBB125_4
.LBB125_3:                              ;   in Loop: Header=BB125_4 Depth=1
	s_or_b32 exec_lo, exec_lo, s4
	v_add_nc_u32_e32 v6, s30, v6
	s_add_i32 s14, s48, s14
	s_delay_alu instid0(SALU_CYCLE_1)
	s_cmp_le_i32 s14, s33
	s_cbranch_scc0 .LBB125_63
.LBB125_4:                              ; =>This Loop Header: Depth=1
                                        ;     Child Loop BB125_7 Depth 2
	s_lshl_b32 s15, s14, 5
	v_mov_b32_e32 v46, 0
	v_dual_mov_b32 v47, 0 :: v_dual_add_nc_u32 v20, s15, v59
	s_delay_alu instid0(VALU_DEP_2) | instskip(SKIP_1) | instid1(VALU_DEP_3)
	v_mov_b32_e32 v42, v46
	v_mov_b32_e32 v44, v46
	v_dual_mov_b32 v38, v46 :: v_dual_mov_b32 v39, v47
	v_dual_mov_b32 v49, v47 :: v_dual_mov_b32 v48, v46
	v_mov_b32_e32 v43, v47
	v_mov_b32_e32 v45, v47
	v_ashrrev_i32_e32 v21, 31, v20
	v_dual_mov_b32 v40, v46 :: v_dual_mov_b32 v41, v47
	v_dual_mov_b32 v53, v47 :: v_dual_mov_b32 v52, v46
	;; [unrolled: 1-line block ×3, first 2 shown]
	s_cmp_lt_i32 s14, 0
	s_cbranch_scc1 .LBB125_55
; %bb.5:                                ;   in Loop: Header=BB125_4 Depth=1
	v_ashrrev_i32_e32 v7, 31, v6
	v_add_co_u32 v22, s3, v20, 16
	s_delay_alu instid0(VALU_DEP_1) | instskip(SKIP_1) | instid1(VALU_DEP_1)
	v_add_co_ci_u32_e64 v23, s3, 0, v21, s3
	v_add_co_u32 v24, s3, v71, v6
	v_add_co_ci_u32_e64 v25, s3, v72, v7, s3
	v_dual_mov_b32 v50, 0 :: v_dual_mov_b32 v33, v11
	s_delay_alu instid0(VALU_DEP_3) | instskip(SKIP_1) | instid1(VALU_DEP_4)
	v_add_co_u32 v28, s5, v24, 16
	v_dual_mov_b32 v51, 0 :: v_dual_mov_b32 v32, v10
	v_add_co_ci_u32_e64 v29, s5, 0, v25, s5
	v_add_co_u32 v30, s5, v24, -16
	v_lshlrev_b64 v[26:27], 4, v[6:7]
	v_cmp_le_i64_e64 s4, s[10:11], v[22:23]
	v_cmp_le_i32_e64 s3, s10, v20
	v_add_co_ci_u32_e64 v31, s5, -1, v25, s5
	v_dual_mov_b32 v35, v19 :: v_dual_mov_b32 v34, v18
	v_dual_mov_b32 v37, v17 :: v_dual_mov_b32 v36, v16
	v_dual_mov_b32 v53, v51 :: v_dual_mov_b32 v52, v50
	v_dual_mov_b32 v40, v50 :: v_dual_mov_b32 v41, v51
	v_dual_mov_b32 v38, v50 :: v_dual_mov_b32 v39, v51
	v_dual_mov_b32 v44, v50 :: v_dual_mov_b32 v45, v51
	v_dual_mov_b32 v42, v50 :: v_dual_mov_b32 v43, v51
	v_dual_mov_b32 v48, v50 :: v_dual_mov_b32 v49, v51
	v_dual_mov_b32 v46, v50 :: v_dual_mov_b32 v47, v51
	s_mov_b64 s[16:17], 0
	s_branch .LBB125_7
.LBB125_6:                              ;   in Loop: Header=BB125_7 Depth=2
	s_or_b32 exec_lo, exec_lo, s5
	s_waitcnt lgkmcnt(0)
	s_waitcnt_vscnt null, 0x0
	s_barrier
	buffer_gl0_inv
	ds_load_b128 v[54:57], v60
	ds_load_b128 v[73:76], v60 offset:16
	ds_load_b128 v[77:80], v60 offset:32
	;; [unrolled: 1-line block ×3, first 2 shown]
	ds_load_b128 v[85:88], v62
	v_add_co_u32 v36, s5, v36, s34
	s_delay_alu instid0(VALU_DEP_1) | instskip(SKIP_1) | instid1(VALU_DEP_1)
	v_add_co_ci_u32_e64 v37, s5, s35, v37, s5
	v_add_co_u32 v34, s5, v34, s12
	v_add_co_ci_u32_e64 v35, s5, s13, v35, s5
	v_add_co_u32 v32, s5, v32, s12
	s_add_u32 s16, s16, 32
	v_add_co_ci_u32_e64 v33, s5, s13, v33, s5
	s_addc_u32 s17, s17, 0
	s_sub_i32 s6, s16, 32
	s_delay_alu instid0(SALU_CYCLE_1) | instskip(SKIP_3) | instid1(VALU_DEP_2)
	s_cmp_ge_i32 s6, s15
	s_waitcnt lgkmcnt(0)
	v_mul_f64 v[2:3], v[56:57], v[87:88]
	v_mul_f64 v[89:90], v[54:55], v[87:88]
	v_fma_f64 v[2:3], v[54:55], v[85:86], -v[2:3]
	s_delay_alu instid0(VALU_DEP_2) | instskip(NEXT) | instid1(VALU_DEP_2)
	v_fma_f64 v[89:90], v[56:57], v[85:86], v[89:90]
	v_add_f64 v[2:3], v[46:47], v[2:3]
	s_delay_alu instid0(VALU_DEP_2) | instskip(SKIP_3) | instid1(VALU_DEP_1)
	v_add_f64 v[89:90], v[48:49], v[89:90]
	ds_load_b128 v[46:49], v70
	s_waitcnt lgkmcnt(0)
	v_mul_f64 v[91:92], v[56:57], v[48:49]
	v_fma_f64 v[91:92], v[54:55], v[46:47], -v[91:92]
	v_mul_f64 v[54:55], v[54:55], v[48:49]
	s_delay_alu instid0(VALU_DEP_1) | instskip(NEXT) | instid1(VALU_DEP_3)
	v_fma_f64 v[54:55], v[56:57], v[46:47], v[54:55]
	v_add_f64 v[56:57], v[42:43], v[91:92]
	s_delay_alu instid0(VALU_DEP_2) | instskip(SKIP_4) | instid1(VALU_DEP_2)
	v_add_f64 v[54:55], v[44:45], v[54:55]
	ds_load_b128 v[42:45], v60 offset:8192
	s_waitcnt lgkmcnt(0)
	v_mul_f64 v[91:92], v[44:45], v[87:88]
	v_mul_f64 v[87:88], v[42:43], v[87:88]
	v_fma_f64 v[91:92], v[42:43], v[85:86], -v[91:92]
	s_delay_alu instid0(VALU_DEP_2) | instskip(NEXT) | instid1(VALU_DEP_2)
	v_fma_f64 v[85:86], v[44:45], v[85:86], v[87:88]
	v_add_f64 v[87:88], v[38:39], v[91:92]
	s_delay_alu instid0(VALU_DEP_2) | instskip(SKIP_2) | instid1(VALU_DEP_2)
	v_add_f64 v[85:86], v[40:41], v[85:86]
	v_mul_f64 v[38:39], v[44:45], v[48:49]
	v_mul_f64 v[40:41], v[42:43], v[48:49]
	v_fma_f64 v[38:39], v[42:43], v[46:47], -v[38:39]
	s_delay_alu instid0(VALU_DEP_2) | instskip(NEXT) | instid1(VALU_DEP_2)
	v_fma_f64 v[40:41], v[44:45], v[46:47], v[40:41]
	v_add_f64 v[52:53], v[52:53], v[38:39]
	s_delay_alu instid0(VALU_DEP_2) | instskip(SKIP_4) | instid1(VALU_DEP_2)
	v_add_f64 v[50:51], v[50:51], v[40:41]
	ds_load_b128 v[38:41], v62 offset:512
	s_waitcnt lgkmcnt(0)
	v_mul_f64 v[42:43], v[75:76], v[40:41]
	v_mul_f64 v[44:45], v[73:74], v[40:41]
	v_fma_f64 v[42:43], v[73:74], v[38:39], -v[42:43]
	s_delay_alu instid0(VALU_DEP_2) | instskip(NEXT) | instid1(VALU_DEP_2)
	v_fma_f64 v[44:45], v[75:76], v[38:39], v[44:45]
	v_add_f64 v[2:3], v[2:3], v[42:43]
	s_delay_alu instid0(VALU_DEP_2) | instskip(SKIP_4) | instid1(VALU_DEP_2)
	v_add_f64 v[89:90], v[89:90], v[44:45]
	ds_load_b128 v[42:45], v70 offset:512
	s_waitcnt lgkmcnt(0)
	;; [unrolled: 10-line block ×3, first 2 shown]
	v_mul_f64 v[73:74], v[48:49], v[40:41]
	v_mul_f64 v[40:41], v[46:47], v[40:41]
	v_fma_f64 v[73:74], v[46:47], v[38:39], -v[73:74]
	s_delay_alu instid0(VALU_DEP_2) | instskip(SKIP_1) | instid1(VALU_DEP_3)
	v_fma_f64 v[38:39], v[48:49], v[38:39], v[40:41]
	v_mul_f64 v[40:41], v[46:47], v[44:45]
	v_add_f64 v[73:74], v[87:88], v[73:74]
	s_delay_alu instid0(VALU_DEP_3) | instskip(SKIP_1) | instid1(VALU_DEP_4)
	v_add_f64 v[75:76], v[85:86], v[38:39]
	v_mul_f64 v[38:39], v[48:49], v[44:45]
	v_fma_f64 v[40:41], v[48:49], v[42:43], v[40:41]
	s_delay_alu instid0(VALU_DEP_2) | instskip(NEXT) | instid1(VALU_DEP_2)
	v_fma_f64 v[38:39], v[46:47], v[42:43], -v[38:39]
	v_add_f64 v[50:51], v[50:51], v[40:41]
	s_delay_alu instid0(VALU_DEP_2) | instskip(SKIP_4) | instid1(VALU_DEP_2)
	v_add_f64 v[52:53], v[52:53], v[38:39]
	ds_load_b128 v[38:41], v62 offset:1024
	s_waitcnt lgkmcnt(0)
	v_mul_f64 v[42:43], v[79:80], v[40:41]
	v_mul_f64 v[44:45], v[77:78], v[40:41]
	v_fma_f64 v[42:43], v[77:78], v[38:39], -v[42:43]
	s_delay_alu instid0(VALU_DEP_2) | instskip(NEXT) | instid1(VALU_DEP_2)
	v_fma_f64 v[44:45], v[79:80], v[38:39], v[44:45]
	v_add_f64 v[2:3], v[2:3], v[42:43]
	s_delay_alu instid0(VALU_DEP_2) | instskip(SKIP_4) | instid1(VALU_DEP_2)
	v_add_f64 v[85:86], v[89:90], v[44:45]
	ds_load_b128 v[42:45], v70 offset:1024
	s_waitcnt lgkmcnt(0)
	v_mul_f64 v[46:47], v[79:80], v[44:45]
	v_mul_f64 v[48:49], v[77:78], v[44:45]
	v_fma_f64 v[46:47], v[77:78], v[42:43], -v[46:47]
	s_delay_alu instid0(VALU_DEP_2) | instskip(NEXT) | instid1(VALU_DEP_2)
	v_fma_f64 v[48:49], v[79:80], v[42:43], v[48:49]
	v_add_f64 v[56:57], v[56:57], v[46:47]
	s_delay_alu instid0(VALU_DEP_2) | instskip(SKIP_4) | instid1(VALU_DEP_2)
	v_add_f64 v[54:55], v[54:55], v[48:49]
	ds_load_b128 v[46:49], v60 offset:8224
	s_waitcnt lgkmcnt(0)
	v_mul_f64 v[77:78], v[48:49], v[40:41]
	v_mul_f64 v[40:41], v[46:47], v[40:41]
	v_fma_f64 v[77:78], v[46:47], v[38:39], -v[77:78]
	s_delay_alu instid0(VALU_DEP_2) | instskip(SKIP_1) | instid1(VALU_DEP_3)
	v_fma_f64 v[38:39], v[48:49], v[38:39], v[40:41]
	v_mul_f64 v[40:41], v[46:47], v[44:45]
	v_add_f64 v[73:74], v[73:74], v[77:78]
	s_delay_alu instid0(VALU_DEP_3) | instskip(SKIP_1) | instid1(VALU_DEP_4)
	v_add_f64 v[75:76], v[75:76], v[38:39]
	v_mul_f64 v[38:39], v[48:49], v[44:45]
	v_fma_f64 v[40:41], v[48:49], v[42:43], v[40:41]
	s_delay_alu instid0(VALU_DEP_2) | instskip(NEXT) | instid1(VALU_DEP_2)
	v_fma_f64 v[38:39], v[46:47], v[42:43], -v[38:39]
	v_add_f64 v[50:51], v[50:51], v[40:41]
	s_delay_alu instid0(VALU_DEP_2) | instskip(SKIP_4) | instid1(VALU_DEP_2)
	v_add_f64 v[52:53], v[52:53], v[38:39]
	ds_load_b128 v[38:41], v62 offset:1536
	s_waitcnt lgkmcnt(0)
	v_mul_f64 v[42:43], v[83:84], v[40:41]
	v_mul_f64 v[44:45], v[81:82], v[40:41]
	v_fma_f64 v[42:43], v[81:82], v[38:39], -v[42:43]
	s_delay_alu instid0(VALU_DEP_2) | instskip(NEXT) | instid1(VALU_DEP_2)
	v_fma_f64 v[44:45], v[83:84], v[38:39], v[44:45]
	v_add_f64 v[2:3], v[2:3], v[42:43]
	s_delay_alu instid0(VALU_DEP_2) | instskip(SKIP_4) | instid1(VALU_DEP_2)
	v_add_f64 v[77:78], v[85:86], v[44:45]
	ds_load_b128 v[42:45], v70 offset:1536
	s_waitcnt lgkmcnt(0)
	v_mul_f64 v[46:47], v[83:84], v[44:45]
	v_mul_f64 v[48:49], v[81:82], v[44:45]
	v_fma_f64 v[46:47], v[81:82], v[42:43], -v[46:47]
	s_delay_alu instid0(VALU_DEP_2) | instskip(NEXT) | instid1(VALU_DEP_2)
	v_fma_f64 v[48:49], v[83:84], v[42:43], v[48:49]
	v_add_f64 v[56:57], v[56:57], v[46:47]
	s_delay_alu instid0(VALU_DEP_2) | instskip(SKIP_4) | instid1(VALU_DEP_2)
	v_add_f64 v[54:55], v[54:55], v[48:49]
	ds_load_b128 v[46:49], v60 offset:8240
	s_waitcnt lgkmcnt(0)
	v_mul_f64 v[79:80], v[48:49], v[40:41]
	v_mul_f64 v[40:41], v[46:47], v[40:41]
	v_fma_f64 v[79:80], v[46:47], v[38:39], -v[79:80]
	s_delay_alu instid0(VALU_DEP_2) | instskip(SKIP_1) | instid1(VALU_DEP_3)
	v_fma_f64 v[38:39], v[48:49], v[38:39], v[40:41]
	v_mul_f64 v[40:41], v[46:47], v[44:45]
	v_add_f64 v[73:74], v[73:74], v[79:80]
	s_delay_alu instid0(VALU_DEP_3) | instskip(SKIP_1) | instid1(VALU_DEP_4)
	v_add_f64 v[75:76], v[75:76], v[38:39]
	v_mul_f64 v[38:39], v[48:49], v[44:45]
	v_fma_f64 v[40:41], v[48:49], v[42:43], v[40:41]
	s_delay_alu instid0(VALU_DEP_2) | instskip(NEXT) | instid1(VALU_DEP_2)
	v_fma_f64 v[38:39], v[46:47], v[42:43], -v[38:39]
	v_add_f64 v[50:51], v[50:51], v[40:41]
	s_delay_alu instid0(VALU_DEP_2)
	v_add_f64 v[52:53], v[52:53], v[38:39]
	ds_load_b128 v[38:41], v60 offset:64
	ds_load_b128 v[42:45], v62 offset:2048
	s_waitcnt lgkmcnt(0)
	v_mul_f64 v[46:47], v[40:41], v[44:45]
	v_mul_f64 v[48:49], v[38:39], v[44:45]
	s_delay_alu instid0(VALU_DEP_2) | instskip(NEXT) | instid1(VALU_DEP_2)
	v_fma_f64 v[46:47], v[38:39], v[42:43], -v[46:47]
	v_fma_f64 v[48:49], v[40:41], v[42:43], v[48:49]
	s_delay_alu instid0(VALU_DEP_2) | instskip(NEXT) | instid1(VALU_DEP_2)
	v_add_f64 v[2:3], v[2:3], v[46:47]
	v_add_f64 v[77:78], v[77:78], v[48:49]
	ds_load_b128 v[46:49], v70 offset:2048
	s_waitcnt lgkmcnt(0)
	v_mul_f64 v[79:80], v[40:41], v[48:49]
	s_delay_alu instid0(VALU_DEP_1) | instskip(SKIP_1) | instid1(VALU_DEP_2)
	v_fma_f64 v[79:80], v[38:39], v[46:47], -v[79:80]
	v_mul_f64 v[38:39], v[38:39], v[48:49]
	v_add_f64 v[56:57], v[56:57], v[79:80]
	s_delay_alu instid0(VALU_DEP_2) | instskip(NEXT) | instid1(VALU_DEP_1)
	v_fma_f64 v[38:39], v[40:41], v[46:47], v[38:39]
	v_add_f64 v[54:55], v[54:55], v[38:39]
	ds_load_b128 v[38:41], v60 offset:8256
	s_waitcnt lgkmcnt(0)
	v_mul_f64 v[79:80], v[40:41], v[44:45]
	v_mul_f64 v[44:45], v[38:39], v[44:45]
	s_delay_alu instid0(VALU_DEP_2) | instskip(NEXT) | instid1(VALU_DEP_2)
	v_fma_f64 v[79:80], v[38:39], v[42:43], -v[79:80]
	v_fma_f64 v[42:43], v[40:41], v[42:43], v[44:45]
	s_delay_alu instid0(VALU_DEP_2) | instskip(NEXT) | instid1(VALU_DEP_2)
	v_add_f64 v[73:74], v[73:74], v[79:80]
	v_add_f64 v[75:76], v[75:76], v[42:43]
	v_mul_f64 v[42:43], v[40:41], v[48:49]
	s_delay_alu instid0(VALU_DEP_1) | instskip(SKIP_1) | instid1(VALU_DEP_2)
	v_fma_f64 v[42:43], v[38:39], v[46:47], -v[42:43]
	v_mul_f64 v[38:39], v[38:39], v[48:49]
	v_add_f64 v[52:53], v[52:53], v[42:43]
	s_delay_alu instid0(VALU_DEP_2) | instskip(NEXT) | instid1(VALU_DEP_1)
	v_fma_f64 v[38:39], v[40:41], v[46:47], v[38:39]
	v_add_f64 v[50:51], v[50:51], v[38:39]
	ds_load_b128 v[38:41], v60 offset:80
	ds_load_b128 v[42:45], v62 offset:2560
	s_waitcnt lgkmcnt(0)
	v_mul_f64 v[46:47], v[40:41], v[44:45]
	v_mul_f64 v[48:49], v[38:39], v[44:45]
	s_delay_alu instid0(VALU_DEP_2) | instskip(NEXT) | instid1(VALU_DEP_2)
	v_fma_f64 v[46:47], v[38:39], v[42:43], -v[46:47]
	v_fma_f64 v[48:49], v[40:41], v[42:43], v[48:49]
	s_delay_alu instid0(VALU_DEP_2) | instskip(NEXT) | instid1(VALU_DEP_2)
	v_add_f64 v[2:3], v[2:3], v[46:47]
	v_add_f64 v[77:78], v[77:78], v[48:49]
	ds_load_b128 v[46:49], v70 offset:2560
	s_waitcnt lgkmcnt(0)
	v_mul_f64 v[79:80], v[40:41], v[48:49]
	s_delay_alu instid0(VALU_DEP_1) | instskip(SKIP_1) | instid1(VALU_DEP_2)
	v_fma_f64 v[79:80], v[38:39], v[46:47], -v[79:80]
	v_mul_f64 v[38:39], v[38:39], v[48:49]
	v_add_f64 v[56:57], v[56:57], v[79:80]
	s_delay_alu instid0(VALU_DEP_2) | instskip(NEXT) | instid1(VALU_DEP_1)
	v_fma_f64 v[38:39], v[40:41], v[46:47], v[38:39]
	v_add_f64 v[54:55], v[54:55], v[38:39]
	ds_load_b128 v[38:41], v60 offset:8272
	s_waitcnt lgkmcnt(0)
	v_mul_f64 v[79:80], v[40:41], v[44:45]
	v_mul_f64 v[44:45], v[38:39], v[44:45]
	s_delay_alu instid0(VALU_DEP_2) | instskip(NEXT) | instid1(VALU_DEP_2)
	v_fma_f64 v[79:80], v[38:39], v[42:43], -v[79:80]
	v_fma_f64 v[42:43], v[40:41], v[42:43], v[44:45]
	s_delay_alu instid0(VALU_DEP_2) | instskip(NEXT) | instid1(VALU_DEP_2)
	v_add_f64 v[73:74], v[73:74], v[79:80]
	v_add_f64 v[75:76], v[75:76], v[42:43]
	v_mul_f64 v[42:43], v[40:41], v[48:49]
	s_delay_alu instid0(VALU_DEP_1) | instskip(SKIP_1) | instid1(VALU_DEP_2)
	v_fma_f64 v[42:43], v[38:39], v[46:47], -v[42:43]
	v_mul_f64 v[38:39], v[38:39], v[48:49]
	v_add_f64 v[52:53], v[52:53], v[42:43]
	s_delay_alu instid0(VALU_DEP_2) | instskip(NEXT) | instid1(VALU_DEP_1)
	v_fma_f64 v[38:39], v[40:41], v[46:47], v[38:39]
	;; [unrolled: 39-line block ×26, first 2 shown]
	v_add_f64 v[50:51], v[50:51], v[38:39]
	ds_load_b128 v[38:41], v60 offset:480
	ds_load_b128 v[42:45], v62 offset:15360
	s_waitcnt lgkmcnt(0)
	v_mul_f64 v[46:47], v[40:41], v[44:45]
	v_mul_f64 v[48:49], v[38:39], v[44:45]
	s_delay_alu instid0(VALU_DEP_2) | instskip(NEXT) | instid1(VALU_DEP_2)
	v_fma_f64 v[46:47], v[38:39], v[42:43], -v[46:47]
	v_fma_f64 v[48:49], v[40:41], v[42:43], v[48:49]
	s_delay_alu instid0(VALU_DEP_2) | instskip(NEXT) | instid1(VALU_DEP_2)
	v_add_f64 v[79:80], v[2:3], v[46:47]
	v_add_f64 v[77:78], v[77:78], v[48:49]
	ds_load_b128 v[46:49], v70 offset:15360
	s_waitcnt lgkmcnt(0)
	v_mul_f64 v[2:3], v[40:41], v[48:49]
	s_delay_alu instid0(VALU_DEP_1) | instskip(SKIP_1) | instid1(VALU_DEP_2)
	v_fma_f64 v[2:3], v[38:39], v[46:47], -v[2:3]
	v_mul_f64 v[38:39], v[38:39], v[48:49]
	v_add_f64 v[56:57], v[56:57], v[2:3]
	s_delay_alu instid0(VALU_DEP_2) | instskip(NEXT) | instid1(VALU_DEP_1)
	v_fma_f64 v[38:39], v[40:41], v[46:47], v[38:39]
	v_add_f64 v[81:82], v[54:55], v[38:39]
	ds_load_b128 v[38:41], v60 offset:8672
	s_waitcnt lgkmcnt(0)
	v_mul_f64 v[2:3], v[40:41], v[44:45]
	v_mul_f64 v[44:45], v[38:39], v[44:45]
	s_delay_alu instid0(VALU_DEP_2) | instskip(NEXT) | instid1(VALU_DEP_2)
	v_fma_f64 v[2:3], v[38:39], v[42:43], -v[2:3]
	v_fma_f64 v[42:43], v[40:41], v[42:43], v[44:45]
	s_delay_alu instid0(VALU_DEP_2) | instskip(SKIP_1) | instid1(VALU_DEP_3)
	v_add_f64 v[83:84], v[73:74], v[2:3]
	v_mul_f64 v[2:3], v[40:41], v[48:49]
	v_add_f64 v[85:86], v[75:76], v[42:43]
	s_delay_alu instid0(VALU_DEP_2) | instskip(SKIP_1) | instid1(VALU_DEP_2)
	v_fma_f64 v[2:3], v[38:39], v[46:47], -v[2:3]
	v_mul_f64 v[38:39], v[38:39], v[48:49]
	v_add_f64 v[2:3], v[52:53], v[2:3]
	s_delay_alu instid0(VALU_DEP_2) | instskip(NEXT) | instid1(VALU_DEP_1)
	v_fma_f64 v[38:39], v[40:41], v[46:47], v[38:39]
	v_add_f64 v[50:51], v[50:51], v[38:39]
	ds_load_b128 v[38:41], v60 offset:496
	ds_load_b128 v[52:55], v62 offset:15872
	ds_load_b128 v[73:76], v70 offset:15872
	s_waitcnt lgkmcnt(1)
	v_mul_f64 v[42:43], v[40:41], v[54:55]
	v_mul_f64 v[44:45], v[38:39], v[54:55]
	s_delay_alu instid0(VALU_DEP_2) | instskip(NEXT) | instid1(VALU_DEP_2)
	v_fma_f64 v[42:43], v[38:39], v[52:53], -v[42:43]
	v_fma_f64 v[44:45], v[40:41], v[52:53], v[44:45]
	s_delay_alu instid0(VALU_DEP_2) | instskip(NEXT) | instid1(VALU_DEP_2)
	v_add_f64 v[46:47], v[79:80], v[42:43]
	v_add_f64 v[48:49], v[77:78], v[44:45]
	ds_load_b128 v[77:80], v60 offset:8688
	s_waitcnt lgkmcnt(1)
	v_mul_f64 v[42:43], v[40:41], v[75:76]
	s_waitcnt lgkmcnt(0)
	s_barrier
	buffer_gl0_inv
	v_fma_f64 v[42:43], v[38:39], v[73:74], -v[42:43]
	v_mul_f64 v[38:39], v[38:39], v[75:76]
	s_delay_alu instid0(VALU_DEP_2) | instskip(NEXT) | instid1(VALU_DEP_2)
	v_add_f64 v[42:43], v[56:57], v[42:43]
	v_fma_f64 v[38:39], v[40:41], v[73:74], v[38:39]
	v_mul_f64 v[40:41], v[77:78], v[54:55]
	s_delay_alu instid0(VALU_DEP_2) | instskip(SKIP_1) | instid1(VALU_DEP_3)
	v_add_f64 v[44:45], v[81:82], v[38:39]
	v_mul_f64 v[38:39], v[79:80], v[54:55]
	v_fma_f64 v[40:41], v[79:80], v[52:53], v[40:41]
	v_mul_f64 v[54:55], v[77:78], v[75:76]
	s_delay_alu instid0(VALU_DEP_3) | instskip(SKIP_1) | instid1(VALU_DEP_3)
	v_fma_f64 v[38:39], v[77:78], v[52:53], -v[38:39]
	v_mul_f64 v[52:53], v[79:80], v[75:76]
	v_fma_f64 v[54:55], v[79:80], v[73:74], v[54:55]
	v_add_f64 v[40:41], v[85:86], v[40:41]
	s_delay_alu instid0(VALU_DEP_4) | instskip(NEXT) | instid1(VALU_DEP_4)
	v_add_f64 v[38:39], v[83:84], v[38:39]
	v_fma_f64 v[52:53], v[77:78], v[73:74], -v[52:53]
	s_delay_alu instid0(VALU_DEP_4) | instskip(NEXT) | instid1(VALU_DEP_2)
	v_add_f64 v[50:51], v[50:51], v[54:55]
	v_add_f64 v[52:53], v[2:3], v[52:53]
	s_cbranch_scc1 .LBB125_55
.LBB125_7:                              ;   Parent Loop BB125_4 Depth=1
                                        ; =>  This Inner Loop Header: Depth=2
	v_add_co_u32 v54, s5, v58, s16
	s_delay_alu instid0(VALU_DEP_1) | instskip(SKIP_1) | instid1(VALU_DEP_2)
	v_add_co_ci_u32_e64 v55, null, 0, s17, s5
	v_cmp_eq_u64_e64 s6, s[16:17], v[24:25]
	v_cmp_gt_i64_e64 s5, v[54:55], v[20:21]
	s_delay_alu instid0(VALU_DEP_2) | instskip(SKIP_1) | instid1(VALU_DEP_2)
	s_and_b32 s19, s42, s6
	v_cmp_le_i64_e64 s6, s[10:11], v[54:55]
	s_or_b32 s7, s3, s5
	s_delay_alu instid0(SALU_CYCLE_1) | instskip(SKIP_1) | instid1(VALU_DEP_1)
	s_or_b32 s8, s7, s19
	v_add_co_u32 v56, s7, v34, v26
	v_add_co_ci_u32_e64 v57, s7, v35, v27, s7
	s_delay_alu instid0(VALU_DEP_3) | instskip(NEXT) | instid1(SALU_CYCLE_1)
	s_or_b32 s7, s6, s8
	s_xor_b32 s7, s7, -1
	s_delay_alu instid0(SALU_CYCLE_1) | instskip(NEXT) | instid1(SALU_CYCLE_1)
	s_and_saveexec_b32 s8, s7
	s_xor_b32 s7, exec_lo, s8
	s_cbranch_execz .LBB125_9
; %bb.8:                                ;   in Loop: Header=BB125_7 Depth=2
	global_load_b128 v[73:76], v[56:57], off offset:-256
	s_waitcnt vmcnt(0)
	ds_store_2addr_b64 v61, v[73:74], v[75:76] offset1:1
.LBB125_9:                              ;   in Loop: Header=BB125_7 Depth=2
	s_or_saveexec_b32 s7, s7
	s_xor_b32 s18, s19, -1
	s_xor_b32 exec_lo, exec_lo, s7
	s_cbranch_execz .LBB125_15
; %bb.10:                               ;   in Loop: Header=BB125_7 Depth=2
	s_and_saveexec_b32 s8, s18
	s_delay_alu instid0(SALU_CYCLE_1)
	s_xor_b32 s8, exec_lo, s8
	s_cbranch_execz .LBB125_12
; %bb.11:                               ;   in Loop: Header=BB125_7 Depth=2
	v_mov_b32_e32 v73, v0
	v_mov_b32_e32 v74, v0
	;; [unrolled: 1-line block ×4, first 2 shown]
	ds_store_b128 v61, v[73:76]
.LBB125_12:                             ;   in Loop: Header=BB125_7 Depth=2
	s_and_not1_saveexec_b32 s8, s8
	s_cbranch_execz .LBB125_14
; %bb.13:                               ;   in Loop: Header=BB125_7 Depth=2
	v_mov_b32_e32 v2, v0
	v_mov_b32_e32 v3, v0
	ds_store_b128 v61, v[0:3]
.LBB125_14:                             ;   in Loop: Header=BB125_7 Depth=2
	s_or_b32 exec_lo, exec_lo, s8
.LBB125_15:                             ;   in Loop: Header=BB125_7 Depth=2
	s_delay_alu instid0(SALU_CYCLE_1) | instskip(SKIP_1) | instid1(VALU_DEP_1)
	s_or_b32 exec_lo, exec_lo, s7
	v_add_co_u32 v2, s7, v54, 16
	v_add_co_ci_u32_e64 v3, s7, 0, v55, s7
	v_cmp_eq_u64_e64 s8, s[16:17], v[30:31]
	s_delay_alu instid0(VALU_DEP_2) | instskip(SKIP_1) | instid1(VALU_DEP_3)
	v_cmp_gt_i64_e64 s9, v[2:3], v[20:21]
	v_cmp_le_i64_e64 s7, s[10:11], v[2:3]
	s_and_b32 s20, s42, s8
	s_delay_alu instid0(VALU_DEP_2) | instskip(NEXT) | instid1(SALU_CYCLE_1)
	s_or_b32 s8, s3, s9
	s_or_b32 s8, s8, s20
	s_delay_alu instid0(VALU_DEP_1) | instid1(SALU_CYCLE_1)
	s_or_b32 s8, s7, s8
	s_delay_alu instid0(SALU_CYCLE_1) | instskip(NEXT) | instid1(SALU_CYCLE_1)
	s_xor_b32 s8, s8, -1
	s_and_saveexec_b32 s9, s8
	s_delay_alu instid0(SALU_CYCLE_1)
	s_xor_b32 s9, exec_lo, s9
	s_cbranch_execz .LBB125_17
; %bb.16:                               ;   in Loop: Header=BB125_7 Depth=2
	v_add_co_u32 v2, s8, v32, v26
	s_delay_alu instid0(VALU_DEP_1)
	v_add_co_ci_u32_e64 v3, s8, v33, v27, s8
	global_load_b128 v[73:76], v[2:3], off
	s_waitcnt vmcnt(0)
	ds_store_2addr_b64 v63, v[73:74], v[75:76] offset1:1
.LBB125_17:                             ;   in Loop: Header=BB125_7 Depth=2
	s_and_not1_saveexec_b32 s8, s9
	s_cbranch_execz .LBB125_23
; %bb.18:                               ;   in Loop: Header=BB125_7 Depth=2
	s_xor_b32 s9, s20, -1
	s_delay_alu instid0(SALU_CYCLE_1) | instskip(NEXT) | instid1(SALU_CYCLE_1)
	s_and_saveexec_b32 s20, s9
	s_xor_b32 s9, exec_lo, s20
	s_cbranch_execz .LBB125_20
; %bb.19:                               ;   in Loop: Header=BB125_7 Depth=2
	v_mov_b32_e32 v73, v0
	v_mov_b32_e32 v74, v0
	v_mov_b32_e32 v75, v0
	v_mov_b32_e32 v76, v0
	ds_store_b128 v63, v[73:76]
.LBB125_20:                             ;   in Loop: Header=BB125_7 Depth=2
	s_and_not1_saveexec_b32 s9, s9
	s_cbranch_execz .LBB125_22
; %bb.21:                               ;   in Loop: Header=BB125_7 Depth=2
	v_mov_b32_e32 v2, v0
	v_mov_b32_e32 v3, v0
	ds_store_b128 v63, v[0:3]
.LBB125_22:                             ;   in Loop: Header=BB125_7 Depth=2
	s_or_b32 exec_lo, exec_lo, s9
.LBB125_23:                             ;   in Loop: Header=BB125_7 Depth=2
	s_delay_alu instid0(SALU_CYCLE_1) | instskip(SKIP_2) | instid1(VALU_DEP_2)
	s_or_b32 exec_lo, exec_lo, s8
	v_cmp_eq_u64_e64 s8, s[16:17], v[28:29]
	v_cmp_gt_i64_e64 s9, v[54:55], v[22:23]
	s_and_b32 s8, s42, s8
	s_delay_alu instid0(VALU_DEP_1) | instskip(NEXT) | instid1(SALU_CYCLE_1)
	s_or_b32 s9, s4, s9
	s_or_b32 s9, s9, s8
	s_delay_alu instid0(SALU_CYCLE_1) | instskip(NEXT) | instid1(SALU_CYCLE_1)
	s_or_b32 s6, s6, s9
	s_xor_b32 s6, s6, -1
	s_delay_alu instid0(SALU_CYCLE_1) | instskip(NEXT) | instid1(SALU_CYCLE_1)
	s_and_saveexec_b32 s9, s6
	s_xor_b32 s6, exec_lo, s9
	s_cbranch_execz .LBB125_25
; %bb.24:                               ;   in Loop: Header=BB125_7 Depth=2
	global_load_b128 v[54:57], v[56:57], off
	s_waitcnt vmcnt(0)
	ds_store_2addr_b64 v64, v[54:55], v[56:57] offset1:1
.LBB125_25:                             ;   in Loop: Header=BB125_7 Depth=2
	s_and_not1_saveexec_b32 s6, s6
	s_cbranch_execz .LBB125_31
; %bb.26:                               ;   in Loop: Header=BB125_7 Depth=2
	s_xor_b32 s8, s8, -1
	s_delay_alu instid0(SALU_CYCLE_1) | instskip(NEXT) | instid1(SALU_CYCLE_1)
	s_and_saveexec_b32 s9, s8
	s_xor_b32 s8, exec_lo, s9
	s_cbranch_execz .LBB125_28
; %bb.27:                               ;   in Loop: Header=BB125_7 Depth=2
	v_mov_b32_e32 v54, v0
	v_mov_b32_e32 v55, v0
	;; [unrolled: 1-line block ×4, first 2 shown]
	ds_store_b128 v64, v[54:57]
.LBB125_28:                             ;   in Loop: Header=BB125_7 Depth=2
	s_and_not1_saveexec_b32 s8, s8
	s_cbranch_execz .LBB125_30
; %bb.29:                               ;   in Loop: Header=BB125_7 Depth=2
	v_mov_b32_e32 v2, v0
	v_mov_b32_e32 v3, v0
	ds_store_b128 v64, v[0:3]
.LBB125_30:                             ;   in Loop: Header=BB125_7 Depth=2
	s_or_b32 exec_lo, exec_lo, s8
.LBB125_31:                             ;   in Loop: Header=BB125_7 Depth=2
	s_delay_alu instid0(SALU_CYCLE_1) | instskip(SKIP_1) | instid1(SALU_CYCLE_1)
	s_or_b32 exec_lo, exec_lo, s6
	s_or_b32 s5, s4, s5
	s_or_b32 s5, s5, s19
	s_delay_alu instid0(SALU_CYCLE_1) | instskip(NEXT) | instid1(SALU_CYCLE_1)
	s_or_b32 s5, s7, s5
	s_xor_b32 s5, s5, -1
	s_delay_alu instid0(SALU_CYCLE_1) | instskip(NEXT) | instid1(SALU_CYCLE_1)
	s_and_saveexec_b32 s6, s5
	s_xor_b32 s6, exec_lo, s6
	s_cbranch_execz .LBB125_33
; %bb.32:                               ;   in Loop: Header=BB125_7 Depth=2
	v_add_co_u32 v2, s5, v32, v26
	s_delay_alu instid0(VALU_DEP_1)
	v_add_co_ci_u32_e64 v3, s5, v33, v27, s5
	global_load_b128 v[54:57], v[2:3], off offset:256
	s_waitcnt vmcnt(0)
	ds_store_2addr_b64 v66, v[54:55], v[56:57] offset1:1
.LBB125_33:                             ;   in Loop: Header=BB125_7 Depth=2
	s_and_not1_saveexec_b32 s5, s6
	s_cbranch_execz .LBB125_39
; %bb.34:                               ;   in Loop: Header=BB125_7 Depth=2
	s_and_saveexec_b32 s6, s18
	s_delay_alu instid0(SALU_CYCLE_1)
	s_xor_b32 s6, exec_lo, s6
	s_cbranch_execz .LBB125_36
; %bb.35:                               ;   in Loop: Header=BB125_7 Depth=2
	v_mov_b32_e32 v54, v0
	v_mov_b32_e32 v55, v0
	;; [unrolled: 1-line block ×4, first 2 shown]
	ds_store_b128 v66, v[54:57]
.LBB125_36:                             ;   in Loop: Header=BB125_7 Depth=2
	s_and_not1_saveexec_b32 s6, s6
	s_cbranch_execz .LBB125_38
; %bb.37:                               ;   in Loop: Header=BB125_7 Depth=2
	v_mov_b32_e32 v2, v0
	v_mov_b32_e32 v3, v0
	ds_store_b128 v66, v[0:3]
.LBB125_38:                             ;   in Loop: Header=BB125_7 Depth=2
	s_or_b32 exec_lo, exec_lo, s6
.LBB125_39:                             ;   in Loop: Header=BB125_7 Depth=2
	s_delay_alu instid0(SALU_CYCLE_1) | instskip(SKIP_1) | instid1(VALU_DEP_1)
	s_or_b32 exec_lo, exec_lo, s5
	v_add_co_u32 v2, s5, v59, s16
	v_add_co_ci_u32_e64 v3, null, 0, s17, s5
	v_add_co_u32 v54, s6, v36, v14
	s_delay_alu instid0(VALU_DEP_1) | instskip(NEXT) | instid1(VALU_DEP_3)
	v_add_co_ci_u32_e64 v55, s6, v37, v15, s6
	v_cmp_le_i64_e64 s5, s[10:11], v[2:3]
	s_delay_alu instid0(VALU_DEP_1) | instskip(NEXT) | instid1(SALU_CYCLE_1)
	s_or_b32 s6, s5, vcc_lo
	s_xor_b32 s6, s6, -1
	s_delay_alu instid0(SALU_CYCLE_1) | instskip(NEXT) | instid1(SALU_CYCLE_1)
	s_and_saveexec_b32 s7, s6
	s_xor_b32 s6, exec_lo, s7
	s_cbranch_execz .LBB125_41
; %bb.40:                               ;   in Loop: Header=BB125_7 Depth=2
	global_load_b128 v[73:76], v[54:55], off offset:-256
	s_waitcnt vmcnt(0)
	ds_store_2addr_b64 v65, v[73:74], v[75:76] offset1:1
.LBB125_41:                             ;   in Loop: Header=BB125_7 Depth=2
	s_and_not1_saveexec_b32 s6, s6
	s_cbranch_execz .LBB125_43
; %bb.42:                               ;   in Loop: Header=BB125_7 Depth=2
	v_mov_b32_e32 v73, v0
	v_mov_b32_e32 v74, v0
	;; [unrolled: 1-line block ×4, first 2 shown]
	ds_store_b128 v65, v[73:76]
.LBB125_43:                             ;   in Loop: Header=BB125_7 Depth=2
	s_or_b32 exec_lo, exec_lo, s6
	s_or_b32 s5, s5, s0
	s_delay_alu instid0(SALU_CYCLE_1) | instskip(NEXT) | instid1(SALU_CYCLE_1)
	s_xor_b32 s5, s5, -1
	s_and_saveexec_b32 s6, s5
	s_delay_alu instid0(SALU_CYCLE_1)
	s_xor_b32 s5, exec_lo, s6
	s_cbranch_execz .LBB125_45
; %bb.44:                               ;   in Loop: Header=BB125_7 Depth=2
	global_load_b128 v[54:57], v[54:55], off
	s_waitcnt vmcnt(0)
	ds_store_2addr_b64 v67, v[54:55], v[56:57] offset1:1
.LBB125_45:                             ;   in Loop: Header=BB125_7 Depth=2
	s_and_not1_saveexec_b32 s5, s5
	s_cbranch_execz .LBB125_47
; %bb.46:                               ;   in Loop: Header=BB125_7 Depth=2
	v_mov_b32_e32 v54, v0
	v_mov_b32_e32 v55, v0
	;; [unrolled: 1-line block ×4, first 2 shown]
	ds_store_b128 v67, v[54:57]
.LBB125_47:                             ;   in Loop: Header=BB125_7 Depth=2
	s_or_b32 exec_lo, exec_lo, s5
	v_cmp_le_i64_e64 s5, s[36:37], v[2:3]
	s_delay_alu instid0(VALU_DEP_1) | instskip(NEXT) | instid1(SALU_CYCLE_1)
	s_or_b32 s6, s5, vcc_lo
	s_xor_b32 s6, s6, -1
	s_delay_alu instid0(SALU_CYCLE_1) | instskip(NEXT) | instid1(SALU_CYCLE_1)
	s_and_saveexec_b32 s7, s6
	s_xor_b32 s7, exec_lo, s7
	s_cbranch_execz .LBB125_49
; %bb.48:                               ;   in Loop: Header=BB125_7 Depth=2
	v_add_co_u32 v2, s6, v36, v12
	s_delay_alu instid0(VALU_DEP_1)
	v_add_co_ci_u32_e64 v3, s6, v37, v13, s6
	global_load_b128 v[54:57], v[2:3], off offset:-256
	s_waitcnt vmcnt(0)
	ds_store_2addr_b64 v68, v[54:55], v[56:57] offset1:1
.LBB125_49:                             ;   in Loop: Header=BB125_7 Depth=2
	s_and_not1_saveexec_b32 s6, s7
	s_cbranch_execz .LBB125_51
; %bb.50:                               ;   in Loop: Header=BB125_7 Depth=2
	v_mov_b32_e32 v54, v0
	v_mov_b32_e32 v55, v0
	;; [unrolled: 1-line block ×4, first 2 shown]
	ds_store_b128 v68, v[54:57]
.LBB125_51:                             ;   in Loop: Header=BB125_7 Depth=2
	s_or_b32 exec_lo, exec_lo, s6
	s_or_b32 s5, s5, s0
	s_delay_alu instid0(SALU_CYCLE_1) | instskip(NEXT) | instid1(SALU_CYCLE_1)
	s_xor_b32 s5, s5, -1
	s_and_saveexec_b32 s6, s5
	s_delay_alu instid0(SALU_CYCLE_1)
	s_xor_b32 s6, exec_lo, s6
	s_cbranch_execz .LBB125_53
; %bb.52:                               ;   in Loop: Header=BB125_7 Depth=2
	v_add_co_u32 v2, s5, v36, v12
	s_delay_alu instid0(VALU_DEP_1)
	v_add_co_ci_u32_e64 v3, s5, v37, v13, s5
	global_load_b128 v[54:57], v[2:3], off
	s_waitcnt vmcnt(0)
	ds_store_2addr_b64 v69, v[54:55], v[56:57] offset1:1
.LBB125_53:                             ;   in Loop: Header=BB125_7 Depth=2
	s_and_not1_saveexec_b32 s5, s6
	s_cbranch_execz .LBB125_6
; %bb.54:                               ;   in Loop: Header=BB125_7 Depth=2
	v_mov_b32_e32 v54, v0
	v_mov_b32_e32 v55, v0
	;; [unrolled: 1-line block ×4, first 2 shown]
	ds_store_b128 v69, v[54:57]
	s_branch .LBB125_6
.LBB125_55:                             ;   in Loop: Header=BB125_4 Depth=1
	v_mul_lo_u32 v7, v21, s40
	v_mul_lo_u32 v21, v20, s41
	v_mad_u64_u32 v[2:3], null, v20, s40, 0
	v_cmp_gt_i32_e64 s3, s10, v20
	s_delay_alu instid0(VALU_DEP_2) | instskip(NEXT) | instid1(VALU_DEP_1)
	v_add3_u32 v3, v3, v21, v7
	v_lshlrev_b64 v[2:3], 4, v[2:3]
	s_delay_alu instid0(VALU_DEP_1) | instskip(NEXT) | instid1(VALU_DEP_1)
	v_add_co_u32 v2, s4, s38, v2
	v_add_co_ci_u32_e64 v3, s4, s39, v3, s4
	s_and_b32 s4, s1, s3
	s_delay_alu instid0(SALU_CYCLE_1)
	s_and_saveexec_b32 s5, s4
	s_cbranch_execz .LBB125_57
; %bb.56:                               ;   in Loop: Header=BB125_4 Depth=1
	v_add_co_u32 v25, s4, v2, v8
	s_delay_alu instid0(VALU_DEP_1)
	v_add_co_ci_u32_e64 v26, s4, v3, v9, s4
	v_mul_f64 v[27:28], s[46:47], v[48:49]
	v_mul_f64 v[29:30], s[44:45], v[48:49]
	global_load_b128 v[21:24], v[25:26], off
	v_fma_f64 v[27:28], s[44:45], v[46:47], -v[27:28]
	v_fma_f64 v[29:30], s[46:47], v[46:47], v[29:30]
	s_waitcnt vmcnt(0)
	s_delay_alu instid0(VALU_DEP_2) | instskip(NEXT) | instid1(VALU_DEP_2)
	v_add_f64 v[21:22], v[21:22], v[27:28]
	v_add_f64 v[23:24], v[23:24], v[29:30]
	global_store_b128 v[25:26], v[21:24], off
.LBB125_57:                             ;   in Loop: Header=BB125_4 Depth=1
	s_or_b32 exec_lo, exec_lo, s5
	s_and_b32 s3, s2, s3
	s_delay_alu instid0(SALU_CYCLE_1)
	s_and_saveexec_b32 s4, s3
	s_cbranch_execz .LBB125_59
; %bb.58:                               ;   in Loop: Header=BB125_4 Depth=1
	v_lshlrev_b64 v[21:22], 4, v[4:5]
	v_mul_f64 v[25:26], s[46:47], v[44:45]
	v_mul_f64 v[27:28], s[44:45], v[44:45]
	s_delay_alu instid0(VALU_DEP_3) | instskip(NEXT) | instid1(VALU_DEP_1)
	v_add_co_u32 v2, s3, v2, v21
	v_add_co_ci_u32_e64 v3, s3, v3, v22, s3
	global_load_b128 v[21:24], v[2:3], off
	v_fma_f64 v[25:26], s[44:45], v[42:43], -v[25:26]
	v_fma_f64 v[27:28], s[46:47], v[42:43], v[27:28]
	s_waitcnt vmcnt(0)
	s_delay_alu instid0(VALU_DEP_2) | instskip(NEXT) | instid1(VALU_DEP_2)
	v_add_f64 v[21:22], v[21:22], v[25:26]
	v_add_f64 v[23:24], v[23:24], v[27:28]
	global_store_b128 v[2:3], v[21:24], off
.LBB125_59:                             ;   in Loop: Header=BB125_4 Depth=1
	s_or_b32 exec_lo, exec_lo, s4
	v_add_nc_u32_e32 v7, 16, v20
	s_delay_alu instid0(VALU_DEP_1) | instskip(SKIP_3) | instid1(VALU_DEP_4)
	v_ashrrev_i32_e32 v20, 31, v7
	v_mul_lo_u32 v21, v7, s41
	v_mad_u64_u32 v[2:3], null, v7, s40, 0
	v_cmp_gt_i32_e64 s3, s10, v7
	v_mul_lo_u32 v20, v20, s40
	s_delay_alu instid0(VALU_DEP_1) | instskip(NEXT) | instid1(VALU_DEP_1)
	v_add3_u32 v3, v3, v21, v20
	v_lshlrev_b64 v[2:3], 4, v[2:3]
	s_delay_alu instid0(VALU_DEP_1) | instskip(NEXT) | instid1(VALU_DEP_1)
	v_add_co_u32 v2, s4, s38, v2
	v_add_co_ci_u32_e64 v3, s4, s39, v3, s4
	s_and_b32 s4, s1, s3
	s_delay_alu instid0(SALU_CYCLE_1)
	s_and_saveexec_b32 s5, s4
	s_cbranch_execz .LBB125_61
; %bb.60:                               ;   in Loop: Header=BB125_4 Depth=1
	v_add_co_u32 v24, s4, v2, v8
	s_delay_alu instid0(VALU_DEP_1)
	v_add_co_ci_u32_e64 v25, s4, v3, v9, s4
	v_mul_f64 v[26:27], s[46:47], v[40:41]
	v_mul_f64 v[28:29], s[44:45], v[40:41]
	global_load_b128 v[20:23], v[24:25], off
	v_fma_f64 v[26:27], s[44:45], v[38:39], -v[26:27]
	v_fma_f64 v[28:29], s[46:47], v[38:39], v[28:29]
	s_waitcnt vmcnt(0)
	s_delay_alu instid0(VALU_DEP_2) | instskip(NEXT) | instid1(VALU_DEP_2)
	v_add_f64 v[20:21], v[20:21], v[26:27]
	v_add_f64 v[22:23], v[22:23], v[28:29]
	global_store_b128 v[24:25], v[20:23], off
.LBB125_61:                             ;   in Loop: Header=BB125_4 Depth=1
	s_or_b32 exec_lo, exec_lo, s5
	s_and_b32 s3, s2, s3
	s_delay_alu instid0(SALU_CYCLE_1)
	s_and_saveexec_b32 s4, s3
	s_cbranch_execz .LBB125_3
; %bb.62:                               ;   in Loop: Header=BB125_4 Depth=1
	v_lshlrev_b64 v[20:21], 4, v[4:5]
	v_mul_f64 v[24:25], s[46:47], v[50:51]
	v_mul_f64 v[26:27], s[44:45], v[50:51]
	s_delay_alu instid0(VALU_DEP_3) | instskip(NEXT) | instid1(VALU_DEP_1)
	v_add_co_u32 v2, s3, v2, v20
	v_add_co_ci_u32_e64 v3, s3, v3, v21, s3
	global_load_b128 v[20:23], v[2:3], off
	v_fma_f64 v[24:25], s[44:45], v[52:53], -v[24:25]
	v_fma_f64 v[26:27], s[46:47], v[52:53], v[26:27]
	s_waitcnt vmcnt(0)
	s_delay_alu instid0(VALU_DEP_2) | instskip(NEXT) | instid1(VALU_DEP_2)
	v_add_f64 v[20:21], v[20:21], v[24:25]
	v_add_f64 v[22:23], v[22:23], v[26:27]
	global_store_b128 v[2:3], v[20:23], off
	s_branch .LBB125_3
.LBB125_63:
	s_nop 0
	s_sendmsg sendmsg(MSG_DEALLOC_VGPRS)
	s_endpgm
	.section	.rodata,"a",@progbits
	.p2align	6, 0x0
	.amdhsa_kernel _ZL30rocblas_trmm_outofplace_kernelI19rocblas_complex_numIdELi32ELi2ELb0ELb0ELb1ELb0ES1_KS1_S1_Ev17rocblas_diagonal_iiT6_lPT7_lllS6_lllPT8_llli
		.amdhsa_group_segment_fixed_size 32768
		.amdhsa_private_segment_fixed_size 0
		.amdhsa_kernarg_size 400
		.amdhsa_user_sgpr_count 13
		.amdhsa_user_sgpr_dispatch_ptr 0
		.amdhsa_user_sgpr_queue_ptr 0
		.amdhsa_user_sgpr_kernarg_segment_ptr 1
		.amdhsa_user_sgpr_dispatch_id 0
		.amdhsa_user_sgpr_private_segment_size 0
		.amdhsa_wavefront_size32 1
		.amdhsa_uses_dynamic_stack 0
		.amdhsa_enable_private_segment 0
		.amdhsa_system_sgpr_workgroup_id_x 1
		.amdhsa_system_sgpr_workgroup_id_y 1
		.amdhsa_system_sgpr_workgroup_id_z 1
		.amdhsa_system_sgpr_workgroup_info 0
		.amdhsa_system_vgpr_workitem_id 1
		.amdhsa_next_free_vgpr 93
		.amdhsa_next_free_sgpr 49
		.amdhsa_reserve_vcc 1
		.amdhsa_float_round_mode_32 0
		.amdhsa_float_round_mode_16_64 0
		.amdhsa_float_denorm_mode_32 3
		.amdhsa_float_denorm_mode_16_64 3
		.amdhsa_dx10_clamp 1
		.amdhsa_ieee_mode 1
		.amdhsa_fp16_overflow 0
		.amdhsa_workgroup_processor_mode 1
		.amdhsa_memory_ordered 1
		.amdhsa_forward_progress 0
		.amdhsa_shared_vgpr_count 0
		.amdhsa_exception_fp_ieee_invalid_op 0
		.amdhsa_exception_fp_denorm_src 0
		.amdhsa_exception_fp_ieee_div_zero 0
		.amdhsa_exception_fp_ieee_overflow 0
		.amdhsa_exception_fp_ieee_underflow 0
		.amdhsa_exception_fp_ieee_inexact 0
		.amdhsa_exception_int_div_zero 0
	.end_amdhsa_kernel
	.section	.text._ZL30rocblas_trmm_outofplace_kernelI19rocblas_complex_numIdELi32ELi2ELb0ELb0ELb1ELb0ES1_KS1_S1_Ev17rocblas_diagonal_iiT6_lPT7_lllS6_lllPT8_llli,"axG",@progbits,_ZL30rocblas_trmm_outofplace_kernelI19rocblas_complex_numIdELi32ELi2ELb0ELb0ELb1ELb0ES1_KS1_S1_Ev17rocblas_diagonal_iiT6_lPT7_lllS6_lllPT8_llli,comdat
.Lfunc_end125:
	.size	_ZL30rocblas_trmm_outofplace_kernelI19rocblas_complex_numIdELi32ELi2ELb0ELb0ELb1ELb0ES1_KS1_S1_Ev17rocblas_diagonal_iiT6_lPT7_lllS6_lllPT8_llli, .Lfunc_end125-_ZL30rocblas_trmm_outofplace_kernelI19rocblas_complex_numIdELi32ELi2ELb0ELb0ELb1ELb0ES1_KS1_S1_Ev17rocblas_diagonal_iiT6_lPT7_lllS6_lllPT8_llli
                                        ; -- End function
	.section	.AMDGPU.csdata,"",@progbits
; Kernel info:
; codeLenInByte = 11524
; NumSgprs: 51
; NumVgprs: 93
; ScratchSize: 0
; MemoryBound: 0
; FloatMode: 240
; IeeeMode: 1
; LDSByteSize: 32768 bytes/workgroup (compile time only)
; SGPRBlocks: 6
; VGPRBlocks: 11
; NumSGPRsForWavesPerEU: 51
; NumVGPRsForWavesPerEU: 93
; Occupancy: 16
; WaveLimiterHint : 0
; COMPUTE_PGM_RSRC2:SCRATCH_EN: 0
; COMPUTE_PGM_RSRC2:USER_SGPR: 13
; COMPUTE_PGM_RSRC2:TRAP_HANDLER: 0
; COMPUTE_PGM_RSRC2:TGID_X_EN: 1
; COMPUTE_PGM_RSRC2:TGID_Y_EN: 1
; COMPUTE_PGM_RSRC2:TGID_Z_EN: 1
; COMPUTE_PGM_RSRC2:TIDIG_COMP_CNT: 1
	.section	.text._ZL30rocblas_trmm_outofplace_kernelI19rocblas_complex_numIdELi32ELi2ELb0ELb1ELb1ELb0EPKS1_S2_S1_Ev17rocblas_diagonal_iiT6_lPT7_lllS7_lllPT8_llli,"axG",@progbits,_ZL30rocblas_trmm_outofplace_kernelI19rocblas_complex_numIdELi32ELi2ELb0ELb1ELb1ELb0EPKS1_S2_S1_Ev17rocblas_diagonal_iiT6_lPT7_lllS7_lllPT8_llli,comdat
	.globl	_ZL30rocblas_trmm_outofplace_kernelI19rocblas_complex_numIdELi32ELi2ELb0ELb1ELb1ELb0EPKS1_S2_S1_Ev17rocblas_diagonal_iiT6_lPT7_lllS7_lllPT8_llli ; -- Begin function _ZL30rocblas_trmm_outofplace_kernelI19rocblas_complex_numIdELi32ELi2ELb0ELb1ELb1ELb0EPKS1_S2_S1_Ev17rocblas_diagonal_iiT6_lPT7_lllS7_lllPT8_llli
	.p2align	8
	.type	_ZL30rocblas_trmm_outofplace_kernelI19rocblas_complex_numIdELi32ELi2ELb0ELb1ELb1ELb0EPKS1_S2_S1_Ev17rocblas_diagonal_iiT6_lPT7_lllS7_lllPT8_llli,@function
_ZL30rocblas_trmm_outofplace_kernelI19rocblas_complex_numIdELi32ELi2ELb0ELb1ELb1ELb0EPKS1_S2_S1_Ev17rocblas_diagonal_iiT6_lPT7_lllS7_lllPT8_llli: ; @_ZL30rocblas_trmm_outofplace_kernelI19rocblas_complex_numIdELi32ELi2ELb0ELb1ELb1ELb0EPKS1_S2_S1_Ev17rocblas_diagonal_iiT6_lPT7_lllS7_lllPT8_llli
; %bb.0:
	s_load_b512 s[16:31], s[0:1], 0x10
	s_waitcnt lgkmcnt(0)
	s_mul_i32 s3, s15, s19
	s_mul_hi_u32 s4, s15, s18
	s_mul_i32 s2, s15, s18
	s_add_i32 s3, s4, s3
	s_delay_alu instid0(SALU_CYCLE_1) | instskip(NEXT) | instid1(SALU_CYCLE_1)
	s_lshl_b64 s[2:3], s[2:3], 4
	s_add_u32 s2, s16, s2
	s_addc_u32 s3, s17, s3
	s_load_b128 s[16:19], s[2:3], 0x0
	s_waitcnt lgkmcnt(0)
	v_cmp_eq_f64_e64 s2, s[16:17], 0
	v_cmp_eq_f64_e64 s3, s[18:19], 0
	s_delay_alu instid0(VALU_DEP_1) | instskip(NEXT) | instid1(SALU_CYCLE_1)
	s_and_b32 s2, s2, s3
	s_and_b32 vcc_lo, exec_lo, s2
	s_cbranch_vccnz .LBB126_63
; %bb.1:
	s_load_b128 s[8:11], s[0:1], 0x0
	s_waitcnt lgkmcnt(0)
	s_add_i32 s2, s10, -1
	s_delay_alu instid0(SALU_CYCLE_1) | instskip(NEXT) | instid1(SALU_CYCLE_1)
	s_ashr_i32 s3, s2, 31
	s_lshr_b32 s3, s3, 27
	s_delay_alu instid0(SALU_CYCLE_1) | instskip(NEXT) | instid1(SALU_CYCLE_1)
	s_add_i32 s2, s2, s3
	s_ashr_i32 s33, s2, 5
	s_delay_alu instid0(SALU_CYCLE_1)
	s_cmp_gt_i32 s14, s33
	s_cbranch_scc1 .LBB126_63
; %bb.2:
	s_clause 0x1
	s_load_b256 s[36:43], s[0:1], 0x50
	s_load_b128 s[44:47], s[0:1], 0x70
	v_and_b32_e32 v10, 0x3ff, v0
	v_bfe_u32 v56, v0, 10, 10
	s_load_b32 s48, s[0:1], 0x8c
	s_delay_alu instid0(VALU_DEP_2) | instskip(SKIP_1) | instid1(VALU_DEP_3)
	v_lshl_add_u32 v0, s13, 5, v10
	v_lshlrev_b32_e32 v11, 4, v10
	v_lshlrev_b32_e32 v57, 9, v56
	s_delay_alu instid0(VALU_DEP_3) | instskip(SKIP_1) | instid1(VALU_DEP_2)
	v_ashrrev_i32_e32 v1, 31, v0
	v_add_nc_u32_e32 v8, 16, v0
	v_lshlrev_b64 v[4:5], 4, v[0:1]
	s_delay_alu instid0(VALU_DEP_2)
	v_ashrrev_i32_e32 v9, 31, v8
	s_waitcnt lgkmcnt(0)
	s_mul_i32 s1, s15, s39
	s_mul_hi_u32 s2, s15, s38
	s_mul_i32 s0, s15, s38
	s_add_i32 s1, s2, s1
	s_mul_i32 s3, s15, s47
	s_lshl_b64 s[0:1], s[0:1], 4
	s_mul_hi_u32 s4, s15, s46
	s_add_u32 s5, s28, s0
	s_addc_u32 s6, s29, s1
	s_lshl_b64 s[0:1], s[30:31], 4
	s_mul_i32 s2, s15, s46
	s_add_u32 s5, s5, s0
	s_addc_u32 s6, s6, s1
	s_add_i32 s3, s4, s3
	v_add_co_u32 v6, vcc_lo, s5, v4
	s_lshl_b64 s[0:1], s[2:3], 4
	v_add_co_ci_u32_e32 v7, vcc_lo, s6, v5, vcc_lo
	s_add_u32 s2, s40, s0
	s_addc_u32 s3, s41, s1
	s_lshl_b64 s[0:1], s[42:43], 4
	v_sub_co_u32 v2, vcc_lo, s9, v0
	s_add_u32 s40, s2, s0
	s_addc_u32 s41, s3, s1
	s_cmpk_eq_i32 s8, 0x84
	v_cmp_gt_i32_e64 s1, s9, v0
	v_mov_b32_e32 v0, 0
	v_or_b32_e32 v59, 0x4000, v11
	s_cselect_b32 s42, -1, 0
	s_ashr_i32 s11, s10, 31
	s_ashr_i32 s0, s9, 31
	s_lshl_b64 s[12:13], s[24:25], 9
	s_lshl_b64 s[28:29], s[36:37], 9
	s_mul_i32 s4, s27, s15
	s_mul_hi_u32 s5, s26, s15
	s_add_u32 s30, s10, -16
	v_sub_co_ci_u32_e32 v3, vcc_lo, s0, v1, vcc_lo
	s_addc_u32 s31, s11, -1
	s_add_i32 s5, s5, s4
	s_mul_i32 s4, s26, s15
	v_dual_mov_b32 v1, 0x3ff00000 :: v_dual_add_nc_u32 v58, v57, v11
	v_add_nc_u32_e32 v61, v59, v57
	s_lshl_b32 s3, s14, 5
	s_lshl_b64 s[4:5], s[4:5], 4
	s_lshl_b64 s[6:7], s[22:23], 4
	s_lshl_b32 s43, s48, 5
	s_lshl_b64 s[22:23], s[36:37], 4
	v_add_nc_u32_e32 v10, s3, v10
	v_add_nc_u32_e32 v12, s3, v56
	s_add_u32 s3, s4, s6
	v_cmp_gt_i64_e32 vcc_lo, 1, v[2:3]
	v_cmp_gt_i64_e64 s0, 17, v[2:3]
	s_addc_u32 s4, s5, s7
	v_add_nc_u32_e32 v60, 0x100, v58
	v_add_nc_u32_e32 v62, 0x2000, v58
	;; [unrolled: 1-line block ×6, first 2 shown]
	v_cmp_gt_i32_e64 s2, s9, v8
	v_add_nc_u32_e32 v67, 0x4100, v11
	s_add_u32 s20, s20, s3
	s_addc_u32 s21, s21, s4
	s_add_u32 s26, s20, 0x100
	s_addc_u32 s27, s21, 0
	s_lshl_b64 s[34:35], s[24:25], 4
	s_branch .LBB126_4
.LBB126_3:                              ;   in Loop: Header=BB126_4 Depth=1
	s_or_b32 exec_lo, exec_lo, s4
	v_add_nc_u32_e32 v10, s43, v10
	v_add_nc_u32_e32 v12, s43, v12
	s_add_i32 s14, s48, s14
	s_delay_alu instid0(SALU_CYCLE_1)
	s_cmp_le_i32 s14, s33
	s_cbranch_scc0 .LBB126_63
.LBB126_4:                              ; =>This Loop Header: Depth=1
                                        ;     Child Loop BB126_7 Depth 2
	s_lshl_b32 s3, s14, 5
	v_mov_b32_e32 v44, 0
	v_dual_mov_b32 v45, 0 :: v_dual_add_nc_u32 v14, s3, v56
	v_ashrrev_i32_e32 v11, 31, v10
	v_ashrrev_i32_e32 v13, 31, v12
	s_delay_alu instid0(VALU_DEP_3)
	v_dual_mov_b32 v40, v44 :: v_dual_mov_b32 v41, v45
	v_dual_mov_b32 v47, v45 :: v_dual_mov_b32 v46, v44
	v_ashrrev_i32_e32 v15, 31, v14
	v_dual_mov_b32 v42, v44 :: v_dual_mov_b32 v43, v45
	v_dual_mov_b32 v36, v44 :: v_dual_mov_b32 v37, v45
	;; [unrolled: 1-line block ×5, first 2 shown]
	s_sub_i32 s15, s10, s3
	s_delay_alu instid0(SALU_CYCLE_1)
	s_cmp_lt_i32 s15, 1
	s_cbranch_scc1 .LBB126_55
; %bb.5:                                ;   in Loop: Header=BB126_4 Depth=1
	v_lshlrev_b64 v[2:3], 4, v[10:11]
	v_sub_co_u32 v16, s3, v12, v10
	v_lshlrev_b64 v[20:21], 4, v[12:13]
	v_sub_co_ci_u32_e64 v17, s3, v13, v11, s3
	s_delay_alu instid0(VALU_DEP_4) | instskip(NEXT) | instid1(VALU_DEP_1)
	v_add_co_u32 v2, s3, 0x100, v2
	v_add_co_ci_u32_e64 v3, s3, 0, v3, s3
	v_mad_u64_u32 v[18:19], null, s22, v12, 0x100
	v_mul_lo_u32 v28, s22, v13
	v_mul_lo_u32 v29, s23, v12
	v_add_co_u32 v32, s3, 0x100, v20
	s_delay_alu instid0(VALU_DEP_1)
	v_add_co_ci_u32_e64 v26, s3, 0, v21, s3
	v_mad_u64_u32 v[22:23], null, s34, v10, s[26:27]
	v_mul_lo_u32 v30, s34, v11
	v_mul_lo_u32 v31, s35, v10
	;; [unrolled: 1-line block ×3, first 2 shown]
	v_mad_u64_u32 v[24:25], null, s24, v2, s[20:21]
	v_mul_lo_u32 v2, s36, v26
	v_mul_lo_u32 v34, s37, v32
	v_mad_u64_u32 v[26:27], null, s36, v32, 0x100
	v_mul_lo_u32 v3, s24, v3
	v_add3_u32 v19, v29, v19, v28
	v_add_co_u32 v28, s3, v14, 16
	s_delay_alu instid0(VALU_DEP_1)
	v_add_co_ci_u32_e64 v29, s3, 0, v15, s3
	v_mov_b32_e32 v48, 0
	v_add3_u32 v23, v31, v23, v30
	v_add_co_u32 v30, s5, v16, 16
	v_mov_b32_e32 v49, 0
	v_add_co_ci_u32_e64 v31, s5, 0, v17, s5
	v_add_co_u32 v32, s5, v16, -16
	v_add3_u32 v27, v34, v27, v2
	v_cmp_le_i64_e64 s4, s[10:11], v[28:29]
	v_dual_mov_b32 v35, v7 :: v_dual_mov_b32 v34, v6
	v_add3_u32 v25, v33, v25, v3
	v_cmp_le_i32_e64 s3, s10, v14
	v_add_co_ci_u32_e64 v33, s5, -1, v17, s5
	v_dual_mov_b32 v51, v49 :: v_dual_mov_b32 v50, v48
	v_dual_mov_b32 v38, v48 :: v_dual_mov_b32 v39, v49
	;; [unrolled: 1-line block ×7, first 2 shown]
	s_mov_b64 s[38:39], 0
	s_branch .LBB126_7
.LBB126_6:                              ;   in Loop: Header=BB126_7 Depth=2
	s_or_b32 exec_lo, exec_lo, s5
	s_waitcnt lgkmcnt(0)
	s_waitcnt_vscnt null, 0x0
	s_barrier
	buffer_gl0_inv
	ds_load_b128 v[52:55], v57
	ds_load_b128 v[68:71], v57 offset:16
	ds_load_b128 v[72:75], v57 offset:32
	;; [unrolled: 1-line block ×3, first 2 shown]
	ds_load_b128 v[80:83], v59
	v_add_co_u32 v34, s5, v34, s28
	s_delay_alu instid0(VALU_DEP_1) | instskip(SKIP_1) | instid1(VALU_DEP_1)
	v_add_co_ci_u32_e64 v35, s5, s29, v35, s5
	v_add_co_u32 v22, s5, v22, s12
	v_add_co_ci_u32_e64 v23, s5, s13, v23, s5
	v_add_co_u32 v24, s5, v24, s12
	s_delay_alu instid0(VALU_DEP_1)
	v_add_co_ci_u32_e64 v25, s5, s13, v25, s5
	s_add_u32 s38, s38, 32
	s_addc_u32 s39, s39, 0
	s_cmp_ge_i32 s38, s15
	s_waitcnt lgkmcnt(0)
	v_mul_f64 v[2:3], v[54:55], v[82:83]
	v_mul_f64 v[84:85], v[52:53], v[82:83]
	s_delay_alu instid0(VALU_DEP_2) | instskip(NEXT) | instid1(VALU_DEP_2)
	v_fma_f64 v[2:3], v[52:53], v[80:81], -v[2:3]
	v_fma_f64 v[84:85], v[54:55], v[80:81], v[84:85]
	s_delay_alu instid0(VALU_DEP_2) | instskip(NEXT) | instid1(VALU_DEP_2)
	v_add_f64 v[2:3], v[44:45], v[2:3]
	v_add_f64 v[84:85], v[46:47], v[84:85]
	ds_load_b128 v[44:47], v67
	s_waitcnt lgkmcnt(0)
	v_mul_f64 v[86:87], v[54:55], v[46:47]
	s_delay_alu instid0(VALU_DEP_1) | instskip(SKIP_1) | instid1(VALU_DEP_1)
	v_fma_f64 v[86:87], v[52:53], v[44:45], -v[86:87]
	v_mul_f64 v[52:53], v[52:53], v[46:47]
	v_fma_f64 v[52:53], v[54:55], v[44:45], v[52:53]
	s_delay_alu instid0(VALU_DEP_3) | instskip(NEXT) | instid1(VALU_DEP_2)
	v_add_f64 v[54:55], v[40:41], v[86:87]
	v_add_f64 v[52:53], v[42:43], v[52:53]
	ds_load_b128 v[40:43], v57 offset:8192
	s_waitcnt lgkmcnt(0)
	v_mul_f64 v[86:87], v[42:43], v[82:83]
	v_mul_f64 v[82:83], v[40:41], v[82:83]
	s_delay_alu instid0(VALU_DEP_2) | instskip(NEXT) | instid1(VALU_DEP_2)
	v_fma_f64 v[86:87], v[40:41], v[80:81], -v[86:87]
	v_fma_f64 v[80:81], v[42:43], v[80:81], v[82:83]
	s_delay_alu instid0(VALU_DEP_2) | instskip(NEXT) | instid1(VALU_DEP_2)
	v_add_f64 v[82:83], v[36:37], v[86:87]
	v_add_f64 v[80:81], v[38:39], v[80:81]
	v_mul_f64 v[36:37], v[42:43], v[46:47]
	v_mul_f64 v[38:39], v[40:41], v[46:47]
	s_delay_alu instid0(VALU_DEP_2) | instskip(NEXT) | instid1(VALU_DEP_2)
	v_fma_f64 v[36:37], v[40:41], v[44:45], -v[36:37]
	v_fma_f64 v[38:39], v[42:43], v[44:45], v[38:39]
	s_delay_alu instid0(VALU_DEP_2) | instskip(NEXT) | instid1(VALU_DEP_2)
	v_add_f64 v[50:51], v[50:51], v[36:37]
	v_add_f64 v[48:49], v[48:49], v[38:39]
	ds_load_b128 v[36:39], v59 offset:512
	s_waitcnt lgkmcnt(0)
	v_mul_f64 v[40:41], v[70:71], v[38:39]
	v_mul_f64 v[42:43], v[68:69], v[38:39]
	s_delay_alu instid0(VALU_DEP_2) | instskip(NEXT) | instid1(VALU_DEP_2)
	v_fma_f64 v[40:41], v[68:69], v[36:37], -v[40:41]
	v_fma_f64 v[42:43], v[70:71], v[36:37], v[42:43]
	s_delay_alu instid0(VALU_DEP_2) | instskip(NEXT) | instid1(VALU_DEP_2)
	v_add_f64 v[2:3], v[2:3], v[40:41]
	v_add_f64 v[84:85], v[84:85], v[42:43]
	ds_load_b128 v[40:43], v67 offset:512
	s_waitcnt lgkmcnt(0)
	;; [unrolled: 10-line block ×3, first 2 shown]
	v_mul_f64 v[68:69], v[46:47], v[38:39]
	v_mul_f64 v[38:39], v[44:45], v[38:39]
	s_delay_alu instid0(VALU_DEP_2) | instskip(NEXT) | instid1(VALU_DEP_2)
	v_fma_f64 v[68:69], v[44:45], v[36:37], -v[68:69]
	v_fma_f64 v[36:37], v[46:47], v[36:37], v[38:39]
	v_mul_f64 v[38:39], v[44:45], v[42:43]
	s_delay_alu instid0(VALU_DEP_3) | instskip(NEXT) | instid1(VALU_DEP_3)
	v_add_f64 v[68:69], v[82:83], v[68:69]
	v_add_f64 v[70:71], v[80:81], v[36:37]
	v_mul_f64 v[36:37], v[46:47], v[42:43]
	s_delay_alu instid0(VALU_DEP_4) | instskip(NEXT) | instid1(VALU_DEP_2)
	v_fma_f64 v[38:39], v[46:47], v[40:41], v[38:39]
	v_fma_f64 v[36:37], v[44:45], v[40:41], -v[36:37]
	s_delay_alu instid0(VALU_DEP_2) | instskip(NEXT) | instid1(VALU_DEP_2)
	v_add_f64 v[48:49], v[48:49], v[38:39]
	v_add_f64 v[50:51], v[50:51], v[36:37]
	ds_load_b128 v[36:39], v59 offset:1024
	s_waitcnt lgkmcnt(0)
	v_mul_f64 v[40:41], v[74:75], v[38:39]
	v_mul_f64 v[42:43], v[72:73], v[38:39]
	s_delay_alu instid0(VALU_DEP_2) | instskip(NEXT) | instid1(VALU_DEP_2)
	v_fma_f64 v[40:41], v[72:73], v[36:37], -v[40:41]
	v_fma_f64 v[42:43], v[74:75], v[36:37], v[42:43]
	s_delay_alu instid0(VALU_DEP_2) | instskip(NEXT) | instid1(VALU_DEP_2)
	v_add_f64 v[2:3], v[2:3], v[40:41]
	v_add_f64 v[80:81], v[84:85], v[42:43]
	ds_load_b128 v[40:43], v67 offset:1024
	s_waitcnt lgkmcnt(0)
	v_mul_f64 v[44:45], v[74:75], v[42:43]
	v_mul_f64 v[46:47], v[72:73], v[42:43]
	s_delay_alu instid0(VALU_DEP_2) | instskip(NEXT) | instid1(VALU_DEP_2)
	v_fma_f64 v[44:45], v[72:73], v[40:41], -v[44:45]
	v_fma_f64 v[46:47], v[74:75], v[40:41], v[46:47]
	;; [unrolled: 10-line block ×3, first 2 shown]
	v_mul_f64 v[38:39], v[44:45], v[42:43]
	s_delay_alu instid0(VALU_DEP_3) | instskip(NEXT) | instid1(VALU_DEP_3)
	v_add_f64 v[68:69], v[68:69], v[72:73]
	v_add_f64 v[70:71], v[70:71], v[36:37]
	v_mul_f64 v[36:37], v[46:47], v[42:43]
	s_delay_alu instid0(VALU_DEP_4) | instskip(NEXT) | instid1(VALU_DEP_2)
	v_fma_f64 v[38:39], v[46:47], v[40:41], v[38:39]
	v_fma_f64 v[36:37], v[44:45], v[40:41], -v[36:37]
	s_delay_alu instid0(VALU_DEP_2) | instskip(NEXT) | instid1(VALU_DEP_2)
	v_add_f64 v[48:49], v[48:49], v[38:39]
	v_add_f64 v[50:51], v[50:51], v[36:37]
	ds_load_b128 v[36:39], v59 offset:1536
	s_waitcnt lgkmcnt(0)
	v_mul_f64 v[40:41], v[78:79], v[38:39]
	v_mul_f64 v[42:43], v[76:77], v[38:39]
	s_delay_alu instid0(VALU_DEP_2) | instskip(NEXT) | instid1(VALU_DEP_2)
	v_fma_f64 v[40:41], v[76:77], v[36:37], -v[40:41]
	v_fma_f64 v[42:43], v[78:79], v[36:37], v[42:43]
	s_delay_alu instid0(VALU_DEP_2) | instskip(NEXT) | instid1(VALU_DEP_2)
	v_add_f64 v[2:3], v[2:3], v[40:41]
	v_add_f64 v[72:73], v[80:81], v[42:43]
	ds_load_b128 v[40:43], v67 offset:1536
	s_waitcnt lgkmcnt(0)
	v_mul_f64 v[44:45], v[78:79], v[42:43]
	v_mul_f64 v[46:47], v[76:77], v[42:43]
	s_delay_alu instid0(VALU_DEP_2) | instskip(NEXT) | instid1(VALU_DEP_2)
	v_fma_f64 v[44:45], v[76:77], v[40:41], -v[44:45]
	v_fma_f64 v[46:47], v[78:79], v[40:41], v[46:47]
	;; [unrolled: 10-line block ×3, first 2 shown]
	v_mul_f64 v[38:39], v[44:45], v[42:43]
	s_delay_alu instid0(VALU_DEP_3) | instskip(NEXT) | instid1(VALU_DEP_3)
	v_add_f64 v[68:69], v[68:69], v[74:75]
	v_add_f64 v[70:71], v[70:71], v[36:37]
	v_mul_f64 v[36:37], v[46:47], v[42:43]
	s_delay_alu instid0(VALU_DEP_4) | instskip(NEXT) | instid1(VALU_DEP_2)
	v_fma_f64 v[38:39], v[46:47], v[40:41], v[38:39]
	v_fma_f64 v[36:37], v[44:45], v[40:41], -v[36:37]
	s_delay_alu instid0(VALU_DEP_2) | instskip(NEXT) | instid1(VALU_DEP_2)
	v_add_f64 v[48:49], v[48:49], v[38:39]
	v_add_f64 v[50:51], v[50:51], v[36:37]
	ds_load_b128 v[36:39], v57 offset:64
	ds_load_b128 v[40:43], v59 offset:2048
	s_waitcnt lgkmcnt(0)
	v_mul_f64 v[44:45], v[38:39], v[42:43]
	v_mul_f64 v[46:47], v[36:37], v[42:43]
	s_delay_alu instid0(VALU_DEP_2) | instskip(NEXT) | instid1(VALU_DEP_2)
	v_fma_f64 v[44:45], v[36:37], v[40:41], -v[44:45]
	v_fma_f64 v[46:47], v[38:39], v[40:41], v[46:47]
	s_delay_alu instid0(VALU_DEP_2) | instskip(NEXT) | instid1(VALU_DEP_2)
	v_add_f64 v[2:3], v[2:3], v[44:45]
	v_add_f64 v[72:73], v[72:73], v[46:47]
	ds_load_b128 v[44:47], v67 offset:2048
	s_waitcnt lgkmcnt(0)
	v_mul_f64 v[74:75], v[38:39], v[46:47]
	s_delay_alu instid0(VALU_DEP_1) | instskip(SKIP_1) | instid1(VALU_DEP_2)
	v_fma_f64 v[74:75], v[36:37], v[44:45], -v[74:75]
	v_mul_f64 v[36:37], v[36:37], v[46:47]
	v_add_f64 v[54:55], v[54:55], v[74:75]
	s_delay_alu instid0(VALU_DEP_2) | instskip(NEXT) | instid1(VALU_DEP_1)
	v_fma_f64 v[36:37], v[38:39], v[44:45], v[36:37]
	v_add_f64 v[52:53], v[52:53], v[36:37]
	ds_load_b128 v[36:39], v57 offset:8256
	s_waitcnt lgkmcnt(0)
	v_mul_f64 v[74:75], v[38:39], v[42:43]
	v_mul_f64 v[42:43], v[36:37], v[42:43]
	s_delay_alu instid0(VALU_DEP_2) | instskip(NEXT) | instid1(VALU_DEP_2)
	v_fma_f64 v[74:75], v[36:37], v[40:41], -v[74:75]
	v_fma_f64 v[40:41], v[38:39], v[40:41], v[42:43]
	s_delay_alu instid0(VALU_DEP_2) | instskip(NEXT) | instid1(VALU_DEP_2)
	v_add_f64 v[68:69], v[68:69], v[74:75]
	v_add_f64 v[70:71], v[70:71], v[40:41]
	v_mul_f64 v[40:41], v[38:39], v[46:47]
	s_delay_alu instid0(VALU_DEP_1) | instskip(SKIP_1) | instid1(VALU_DEP_2)
	v_fma_f64 v[40:41], v[36:37], v[44:45], -v[40:41]
	v_mul_f64 v[36:37], v[36:37], v[46:47]
	v_add_f64 v[50:51], v[50:51], v[40:41]
	s_delay_alu instid0(VALU_DEP_2) | instskip(NEXT) | instid1(VALU_DEP_1)
	v_fma_f64 v[36:37], v[38:39], v[44:45], v[36:37]
	v_add_f64 v[48:49], v[48:49], v[36:37]
	ds_load_b128 v[36:39], v57 offset:80
	ds_load_b128 v[40:43], v59 offset:2560
	s_waitcnt lgkmcnt(0)
	v_mul_f64 v[44:45], v[38:39], v[42:43]
	v_mul_f64 v[46:47], v[36:37], v[42:43]
	s_delay_alu instid0(VALU_DEP_2) | instskip(NEXT) | instid1(VALU_DEP_2)
	v_fma_f64 v[44:45], v[36:37], v[40:41], -v[44:45]
	v_fma_f64 v[46:47], v[38:39], v[40:41], v[46:47]
	s_delay_alu instid0(VALU_DEP_2) | instskip(NEXT) | instid1(VALU_DEP_2)
	v_add_f64 v[2:3], v[2:3], v[44:45]
	v_add_f64 v[72:73], v[72:73], v[46:47]
	ds_load_b128 v[44:47], v67 offset:2560
	s_waitcnt lgkmcnt(0)
	v_mul_f64 v[74:75], v[38:39], v[46:47]
	s_delay_alu instid0(VALU_DEP_1) | instskip(SKIP_1) | instid1(VALU_DEP_2)
	v_fma_f64 v[74:75], v[36:37], v[44:45], -v[74:75]
	v_mul_f64 v[36:37], v[36:37], v[46:47]
	v_add_f64 v[54:55], v[54:55], v[74:75]
	s_delay_alu instid0(VALU_DEP_2) | instskip(NEXT) | instid1(VALU_DEP_1)
	v_fma_f64 v[36:37], v[38:39], v[44:45], v[36:37]
	v_add_f64 v[52:53], v[52:53], v[36:37]
	ds_load_b128 v[36:39], v57 offset:8272
	s_waitcnt lgkmcnt(0)
	v_mul_f64 v[74:75], v[38:39], v[42:43]
	v_mul_f64 v[42:43], v[36:37], v[42:43]
	s_delay_alu instid0(VALU_DEP_2) | instskip(NEXT) | instid1(VALU_DEP_2)
	v_fma_f64 v[74:75], v[36:37], v[40:41], -v[74:75]
	v_fma_f64 v[40:41], v[38:39], v[40:41], v[42:43]
	s_delay_alu instid0(VALU_DEP_2) | instskip(NEXT) | instid1(VALU_DEP_2)
	v_add_f64 v[68:69], v[68:69], v[74:75]
	v_add_f64 v[70:71], v[70:71], v[40:41]
	v_mul_f64 v[40:41], v[38:39], v[46:47]
	s_delay_alu instid0(VALU_DEP_1) | instskip(SKIP_1) | instid1(VALU_DEP_2)
	v_fma_f64 v[40:41], v[36:37], v[44:45], -v[40:41]
	v_mul_f64 v[36:37], v[36:37], v[46:47]
	v_add_f64 v[50:51], v[50:51], v[40:41]
	s_delay_alu instid0(VALU_DEP_2) | instskip(NEXT) | instid1(VALU_DEP_1)
	v_fma_f64 v[36:37], v[38:39], v[44:45], v[36:37]
	;; [unrolled: 39-line block ×26, first 2 shown]
	v_add_f64 v[48:49], v[48:49], v[36:37]
	ds_load_b128 v[36:39], v57 offset:480
	ds_load_b128 v[40:43], v59 offset:15360
	s_waitcnt lgkmcnt(0)
	v_mul_f64 v[44:45], v[38:39], v[42:43]
	v_mul_f64 v[46:47], v[36:37], v[42:43]
	s_delay_alu instid0(VALU_DEP_2) | instskip(NEXT) | instid1(VALU_DEP_2)
	v_fma_f64 v[44:45], v[36:37], v[40:41], -v[44:45]
	v_fma_f64 v[46:47], v[38:39], v[40:41], v[46:47]
	s_delay_alu instid0(VALU_DEP_2) | instskip(NEXT) | instid1(VALU_DEP_2)
	v_add_f64 v[74:75], v[2:3], v[44:45]
	v_add_f64 v[72:73], v[72:73], v[46:47]
	ds_load_b128 v[44:47], v67 offset:15360
	s_waitcnt lgkmcnt(0)
	v_mul_f64 v[2:3], v[38:39], v[46:47]
	s_delay_alu instid0(VALU_DEP_1) | instskip(SKIP_1) | instid1(VALU_DEP_2)
	v_fma_f64 v[2:3], v[36:37], v[44:45], -v[2:3]
	v_mul_f64 v[36:37], v[36:37], v[46:47]
	v_add_f64 v[54:55], v[54:55], v[2:3]
	s_delay_alu instid0(VALU_DEP_2) | instskip(NEXT) | instid1(VALU_DEP_1)
	v_fma_f64 v[36:37], v[38:39], v[44:45], v[36:37]
	v_add_f64 v[76:77], v[52:53], v[36:37]
	ds_load_b128 v[36:39], v57 offset:8672
	s_waitcnt lgkmcnt(0)
	v_mul_f64 v[2:3], v[38:39], v[42:43]
	v_mul_f64 v[42:43], v[36:37], v[42:43]
	s_delay_alu instid0(VALU_DEP_2) | instskip(NEXT) | instid1(VALU_DEP_2)
	v_fma_f64 v[2:3], v[36:37], v[40:41], -v[2:3]
	v_fma_f64 v[40:41], v[38:39], v[40:41], v[42:43]
	s_delay_alu instid0(VALU_DEP_2) | instskip(SKIP_1) | instid1(VALU_DEP_3)
	v_add_f64 v[78:79], v[68:69], v[2:3]
	v_mul_f64 v[2:3], v[38:39], v[46:47]
	v_add_f64 v[80:81], v[70:71], v[40:41]
	s_delay_alu instid0(VALU_DEP_2) | instskip(SKIP_1) | instid1(VALU_DEP_2)
	v_fma_f64 v[2:3], v[36:37], v[44:45], -v[2:3]
	v_mul_f64 v[36:37], v[36:37], v[46:47]
	v_add_f64 v[2:3], v[50:51], v[2:3]
	s_delay_alu instid0(VALU_DEP_2) | instskip(NEXT) | instid1(VALU_DEP_1)
	v_fma_f64 v[36:37], v[38:39], v[44:45], v[36:37]
	v_add_f64 v[48:49], v[48:49], v[36:37]
	ds_load_b128 v[36:39], v57 offset:496
	ds_load_b128 v[50:53], v59 offset:15872
	;; [unrolled: 1-line block ×3, first 2 shown]
	s_waitcnt lgkmcnt(1)
	v_mul_f64 v[40:41], v[38:39], v[52:53]
	v_mul_f64 v[42:43], v[36:37], v[52:53]
	s_delay_alu instid0(VALU_DEP_2) | instskip(NEXT) | instid1(VALU_DEP_2)
	v_fma_f64 v[40:41], v[36:37], v[50:51], -v[40:41]
	v_fma_f64 v[42:43], v[38:39], v[50:51], v[42:43]
	s_delay_alu instid0(VALU_DEP_2) | instskip(NEXT) | instid1(VALU_DEP_2)
	v_add_f64 v[44:45], v[74:75], v[40:41]
	v_add_f64 v[46:47], v[72:73], v[42:43]
	ds_load_b128 v[72:75], v57 offset:8688
	s_waitcnt lgkmcnt(1)
	v_mul_f64 v[40:41], v[38:39], v[70:71]
	s_waitcnt lgkmcnt(0)
	s_barrier
	buffer_gl0_inv
	v_fma_f64 v[40:41], v[36:37], v[68:69], -v[40:41]
	v_mul_f64 v[36:37], v[36:37], v[70:71]
	s_delay_alu instid0(VALU_DEP_2) | instskip(NEXT) | instid1(VALU_DEP_2)
	v_add_f64 v[40:41], v[54:55], v[40:41]
	v_fma_f64 v[36:37], v[38:39], v[68:69], v[36:37]
	v_mul_f64 v[38:39], v[72:73], v[52:53]
	s_delay_alu instid0(VALU_DEP_2) | instskip(SKIP_1) | instid1(VALU_DEP_3)
	v_add_f64 v[42:43], v[76:77], v[36:37]
	v_mul_f64 v[36:37], v[74:75], v[52:53]
	v_fma_f64 v[38:39], v[74:75], v[50:51], v[38:39]
	v_mul_f64 v[52:53], v[72:73], v[70:71]
	s_delay_alu instid0(VALU_DEP_3) | instskip(SKIP_1) | instid1(VALU_DEP_3)
	v_fma_f64 v[36:37], v[72:73], v[50:51], -v[36:37]
	v_mul_f64 v[50:51], v[74:75], v[70:71]
	v_fma_f64 v[52:53], v[74:75], v[68:69], v[52:53]
	v_add_f64 v[38:39], v[80:81], v[38:39]
	s_delay_alu instid0(VALU_DEP_4) | instskip(NEXT) | instid1(VALU_DEP_4)
	v_add_f64 v[36:37], v[78:79], v[36:37]
	v_fma_f64 v[50:51], v[72:73], v[68:69], -v[50:51]
	s_delay_alu instid0(VALU_DEP_4) | instskip(NEXT) | instid1(VALU_DEP_2)
	v_add_f64 v[48:49], v[48:49], v[52:53]
	v_add_f64 v[50:51], v[2:3], v[50:51]
	s_cbranch_scc1 .LBB126_55
.LBB126_7:                              ;   Parent Loop BB126_4 Depth=1
                                        ; =>  This Inner Loop Header: Depth=2
	v_add_co_u32 v52, s5, v10, s38
	s_delay_alu instid0(VALU_DEP_1) | instskip(SKIP_1) | instid1(VALU_DEP_2)
	v_add_co_ci_u32_e64 v53, s5, s39, v11, s5
	v_cmp_eq_u64_e64 s7, s[38:39], v[16:17]
	v_cmp_lt_i64_e64 s5, v[52:53], v[14:15]
	v_cmp_le_i64_e64 s6, s[10:11], v[52:53]
	s_delay_alu instid0(VALU_DEP_3) | instskip(SKIP_1) | instid1(VALU_DEP_3)
	s_and_b32 s47, s42, s7
	v_add_co_u32 v54, s7, v22, v20
	s_or_b32 s8, s3, s5
	v_add_co_ci_u32_e64 v55, s7, v23, v21, s7
	s_delay_alu instid0(VALU_DEP_3) | instskip(NEXT) | instid1(SALU_CYCLE_1)
	s_or_b32 s8, s6, s8
	s_or_b32 s7, s8, s47
	s_delay_alu instid0(SALU_CYCLE_1) | instskip(NEXT) | instid1(SALU_CYCLE_1)
	s_xor_b32 s7, s7, -1
	s_and_saveexec_b32 s8, s7
	s_delay_alu instid0(SALU_CYCLE_1)
	s_xor_b32 s7, exec_lo, s8
	s_cbranch_execz .LBB126_9
; %bb.8:                                ;   in Loop: Header=BB126_7 Depth=2
	global_load_b128 v[68:71], v[54:55], off offset:-256
	s_waitcnt vmcnt(0)
	ds_store_2addr_b64 v58, v[68:69], v[70:71] offset1:1
.LBB126_9:                              ;   in Loop: Header=BB126_7 Depth=2
	s_or_saveexec_b32 s7, s7
	s_xor_b32 s46, s47, -1
	s_xor_b32 exec_lo, exec_lo, s7
	s_cbranch_execz .LBB126_15
; %bb.10:                               ;   in Loop: Header=BB126_7 Depth=2
	s_and_saveexec_b32 s8, s46
	s_delay_alu instid0(SALU_CYCLE_1)
	s_xor_b32 s8, exec_lo, s8
	s_cbranch_execz .LBB126_12
; %bb.11:                               ;   in Loop: Header=BB126_7 Depth=2
	v_mov_b32_e32 v68, v0
	v_mov_b32_e32 v69, v0
	;; [unrolled: 1-line block ×4, first 2 shown]
	ds_store_b128 v58, v[68:71]
.LBB126_12:                             ;   in Loop: Header=BB126_7 Depth=2
	s_and_not1_saveexec_b32 s8, s8
	s_cbranch_execz .LBB126_14
; %bb.13:                               ;   in Loop: Header=BB126_7 Depth=2
	v_mov_b32_e32 v2, v0
	v_mov_b32_e32 v3, v0
	ds_store_b128 v58, v[0:3]
.LBB126_14:                             ;   in Loop: Header=BB126_7 Depth=2
	s_or_b32 exec_lo, exec_lo, s8
.LBB126_15:                             ;   in Loop: Header=BB126_7 Depth=2
	s_delay_alu instid0(SALU_CYCLE_1) | instskip(SKIP_1) | instid1(VALU_DEP_1)
	s_or_b32 exec_lo, exec_lo, s7
	v_add_co_u32 v2, s7, v52, 16
	v_add_co_ci_u32_e64 v3, s7, 0, v53, s7
	v_cmp_eq_u64_e64 s9, s[38:39], v[32:33]
	s_delay_alu instid0(VALU_DEP_2) | instskip(SKIP_1) | instid1(VALU_DEP_3)
	v_cmp_lt_i64_e64 s8, v[2:3], v[14:15]
	v_cmp_le_i64_e64 s7, s[10:11], v[2:3]
	s_and_b32 s9, s42, s9
	s_delay_alu instid0(VALU_DEP_2)
	s_or_b32 s8, s3, s8
	s_delay_alu instid0(VALU_DEP_1) | instid1(SALU_CYCLE_1)
	s_or_b32 s8, s7, s8
	s_delay_alu instid0(SALU_CYCLE_1) | instskip(NEXT) | instid1(SALU_CYCLE_1)
	s_or_b32 s8, s8, s9
	s_xor_b32 s8, s8, -1
	s_delay_alu instid0(SALU_CYCLE_1) | instskip(NEXT) | instid1(SALU_CYCLE_1)
	s_and_saveexec_b32 s49, s8
	s_xor_b32 s49, exec_lo, s49
	s_cbranch_execz .LBB126_17
; %bb.16:                               ;   in Loop: Header=BB126_7 Depth=2
	v_add_co_u32 v2, s8, v24, v20
	s_delay_alu instid0(VALU_DEP_1)
	v_add_co_ci_u32_e64 v3, s8, v25, v21, s8
	global_load_b128 v[68:71], v[2:3], off
	s_waitcnt vmcnt(0)
	ds_store_2addr_b64 v60, v[68:69], v[70:71] offset1:1
.LBB126_17:                             ;   in Loop: Header=BB126_7 Depth=2
	s_and_not1_saveexec_b32 s8, s49
	s_cbranch_execz .LBB126_23
; %bb.18:                               ;   in Loop: Header=BB126_7 Depth=2
	s_xor_b32 s9, s9, -1
	s_delay_alu instid0(SALU_CYCLE_1) | instskip(NEXT) | instid1(SALU_CYCLE_1)
	s_and_saveexec_b32 s49, s9
	s_xor_b32 s9, exec_lo, s49
	s_cbranch_execz .LBB126_20
; %bb.19:                               ;   in Loop: Header=BB126_7 Depth=2
	v_mov_b32_e32 v68, v0
	v_mov_b32_e32 v69, v0
	;; [unrolled: 1-line block ×4, first 2 shown]
	ds_store_b128 v60, v[68:71]
.LBB126_20:                             ;   in Loop: Header=BB126_7 Depth=2
	s_and_not1_saveexec_b32 s9, s9
	s_cbranch_execz .LBB126_22
; %bb.21:                               ;   in Loop: Header=BB126_7 Depth=2
	v_mov_b32_e32 v2, v0
	v_mov_b32_e32 v3, v0
	ds_store_b128 v60, v[0:3]
.LBB126_22:                             ;   in Loop: Header=BB126_7 Depth=2
	s_or_b32 exec_lo, exec_lo, s9
.LBB126_23:                             ;   in Loop: Header=BB126_7 Depth=2
	s_delay_alu instid0(SALU_CYCLE_1) | instskip(SKIP_2) | instid1(VALU_DEP_2)
	s_or_b32 exec_lo, exec_lo, s8
	v_cmp_eq_u64_e64 s8, s[38:39], v[30:31]
	v_cmp_lt_i64_e64 s9, v[52:53], v[28:29]
	s_and_b32 s8, s42, s8
	s_delay_alu instid0(VALU_DEP_1) | instskip(NEXT) | instid1(SALU_CYCLE_1)
	s_or_b32 s9, s4, s9
	s_or_b32 s9, s9, s8
	s_delay_alu instid0(SALU_CYCLE_1) | instskip(NEXT) | instid1(SALU_CYCLE_1)
	s_or_b32 s6, s6, s9
	s_xor_b32 s6, s6, -1
	s_delay_alu instid0(SALU_CYCLE_1) | instskip(NEXT) | instid1(SALU_CYCLE_1)
	s_and_saveexec_b32 s9, s6
	s_xor_b32 s6, exec_lo, s9
	s_cbranch_execz .LBB126_25
; %bb.24:                               ;   in Loop: Header=BB126_7 Depth=2
	global_load_b128 v[52:55], v[54:55], off
	s_waitcnt vmcnt(0)
	ds_store_2addr_b64 v62, v[52:53], v[54:55] offset1:1
.LBB126_25:                             ;   in Loop: Header=BB126_7 Depth=2
	s_and_not1_saveexec_b32 s6, s6
	s_cbranch_execz .LBB126_31
; %bb.26:                               ;   in Loop: Header=BB126_7 Depth=2
	s_xor_b32 s8, s8, -1
	s_delay_alu instid0(SALU_CYCLE_1) | instskip(NEXT) | instid1(SALU_CYCLE_1)
	s_and_saveexec_b32 s9, s8
	s_xor_b32 s8, exec_lo, s9
	s_cbranch_execz .LBB126_28
; %bb.27:                               ;   in Loop: Header=BB126_7 Depth=2
	v_mov_b32_e32 v52, v0
	v_mov_b32_e32 v53, v0
	;; [unrolled: 1-line block ×4, first 2 shown]
	ds_store_b128 v62, v[52:55]
.LBB126_28:                             ;   in Loop: Header=BB126_7 Depth=2
	s_and_not1_saveexec_b32 s8, s8
	s_cbranch_execz .LBB126_30
; %bb.29:                               ;   in Loop: Header=BB126_7 Depth=2
	v_mov_b32_e32 v2, v0
	v_mov_b32_e32 v3, v0
	ds_store_b128 v62, v[0:3]
.LBB126_30:                             ;   in Loop: Header=BB126_7 Depth=2
	s_or_b32 exec_lo, exec_lo, s8
.LBB126_31:                             ;   in Loop: Header=BB126_7 Depth=2
	s_delay_alu instid0(SALU_CYCLE_1) | instskip(SKIP_1) | instid1(SALU_CYCLE_1)
	s_or_b32 exec_lo, exec_lo, s6
	s_or_b32 s5, s4, s5
	s_or_b32 s5, s7, s5
	s_delay_alu instid0(SALU_CYCLE_1) | instskip(NEXT) | instid1(SALU_CYCLE_1)
	s_or_b32 s5, s5, s47
	s_xor_b32 s5, s5, -1
	s_delay_alu instid0(SALU_CYCLE_1) | instskip(NEXT) | instid1(SALU_CYCLE_1)
	s_and_saveexec_b32 s6, s5
	s_xor_b32 s6, exec_lo, s6
	s_cbranch_execz .LBB126_33
; %bb.32:                               ;   in Loop: Header=BB126_7 Depth=2
	v_add_co_u32 v2, s5, v24, v20
	s_delay_alu instid0(VALU_DEP_1)
	v_add_co_ci_u32_e64 v3, s5, v25, v21, s5
	global_load_b128 v[52:55], v[2:3], off offset:256
	s_waitcnt vmcnt(0)
	ds_store_2addr_b64 v63, v[52:53], v[54:55] offset1:1
.LBB126_33:                             ;   in Loop: Header=BB126_7 Depth=2
	s_and_not1_saveexec_b32 s5, s6
	s_cbranch_execz .LBB126_39
; %bb.34:                               ;   in Loop: Header=BB126_7 Depth=2
	s_and_saveexec_b32 s6, s46
	s_delay_alu instid0(SALU_CYCLE_1)
	s_xor_b32 s6, exec_lo, s6
	s_cbranch_execz .LBB126_36
; %bb.35:                               ;   in Loop: Header=BB126_7 Depth=2
	v_mov_b32_e32 v52, v0
	v_mov_b32_e32 v53, v0
	;; [unrolled: 1-line block ×4, first 2 shown]
	ds_store_b128 v63, v[52:55]
.LBB126_36:                             ;   in Loop: Header=BB126_7 Depth=2
	s_and_not1_saveexec_b32 s6, s6
	s_cbranch_execz .LBB126_38
; %bb.37:                               ;   in Loop: Header=BB126_7 Depth=2
	v_mov_b32_e32 v2, v0
	v_mov_b32_e32 v3, v0
	ds_store_b128 v63, v[0:3]
.LBB126_38:                             ;   in Loop: Header=BB126_7 Depth=2
	s_or_b32 exec_lo, exec_lo, s6
.LBB126_39:                             ;   in Loop: Header=BB126_7 Depth=2
	s_delay_alu instid0(SALU_CYCLE_1) | instskip(SKIP_1) | instid1(VALU_DEP_1)
	s_or_b32 exec_lo, exec_lo, s5
	v_add_co_u32 v2, s5, v12, s38
	v_add_co_ci_u32_e64 v3, s5, s39, v13, s5
	v_add_co_u32 v52, s6, v34, v18
	s_delay_alu instid0(VALU_DEP_1) | instskip(NEXT) | instid1(VALU_DEP_3)
	v_add_co_ci_u32_e64 v53, s6, v35, v19, s6
	v_cmp_le_i64_e64 s5, s[10:11], v[2:3]
	s_delay_alu instid0(VALU_DEP_1) | instskip(NEXT) | instid1(SALU_CYCLE_1)
	s_or_b32 s6, s5, vcc_lo
	s_xor_b32 s6, s6, -1
	s_delay_alu instid0(SALU_CYCLE_1) | instskip(NEXT) | instid1(SALU_CYCLE_1)
	s_and_saveexec_b32 s7, s6
	s_xor_b32 s6, exec_lo, s7
	s_cbranch_execz .LBB126_41
; %bb.40:                               ;   in Loop: Header=BB126_7 Depth=2
	global_load_b128 v[68:71], v[52:53], off offset:-256
	s_waitcnt vmcnt(0)
	ds_store_2addr_b64 v61, v[68:69], v[70:71] offset1:1
.LBB126_41:                             ;   in Loop: Header=BB126_7 Depth=2
	s_and_not1_saveexec_b32 s6, s6
	s_cbranch_execz .LBB126_43
; %bb.42:                               ;   in Loop: Header=BB126_7 Depth=2
	v_mov_b32_e32 v68, v0
	v_mov_b32_e32 v69, v0
	;; [unrolled: 1-line block ×4, first 2 shown]
	ds_store_b128 v61, v[68:71]
.LBB126_43:                             ;   in Loop: Header=BB126_7 Depth=2
	s_or_b32 exec_lo, exec_lo, s6
	s_or_b32 s5, s5, s0
	s_delay_alu instid0(SALU_CYCLE_1) | instskip(NEXT) | instid1(SALU_CYCLE_1)
	s_xor_b32 s5, s5, -1
	s_and_saveexec_b32 s6, s5
	s_delay_alu instid0(SALU_CYCLE_1)
	s_xor_b32 s5, exec_lo, s6
	s_cbranch_execz .LBB126_45
; %bb.44:                               ;   in Loop: Header=BB126_7 Depth=2
	global_load_b128 v[52:55], v[52:53], off
	s_waitcnt vmcnt(0)
	ds_store_2addr_b64 v64, v[52:53], v[54:55] offset1:1
.LBB126_45:                             ;   in Loop: Header=BB126_7 Depth=2
	s_and_not1_saveexec_b32 s5, s5
	s_cbranch_execz .LBB126_47
; %bb.46:                               ;   in Loop: Header=BB126_7 Depth=2
	v_mov_b32_e32 v52, v0
	v_mov_b32_e32 v53, v0
	v_mov_b32_e32 v54, v0
	v_mov_b32_e32 v55, v0
	ds_store_b128 v64, v[52:55]
.LBB126_47:                             ;   in Loop: Header=BB126_7 Depth=2
	s_or_b32 exec_lo, exec_lo, s5
	v_cmp_le_i64_e64 s5, s[30:31], v[2:3]
	s_delay_alu instid0(VALU_DEP_1) | instskip(NEXT) | instid1(SALU_CYCLE_1)
	s_or_b32 s6, s5, vcc_lo
	s_xor_b32 s6, s6, -1
	s_delay_alu instid0(SALU_CYCLE_1) | instskip(NEXT) | instid1(SALU_CYCLE_1)
	s_and_saveexec_b32 s7, s6
	s_xor_b32 s7, exec_lo, s7
	s_cbranch_execz .LBB126_49
; %bb.48:                               ;   in Loop: Header=BB126_7 Depth=2
	v_add_co_u32 v2, s6, v34, v26
	s_delay_alu instid0(VALU_DEP_1)
	v_add_co_ci_u32_e64 v3, s6, v35, v27, s6
	global_load_b128 v[52:55], v[2:3], off offset:-256
	s_waitcnt vmcnt(0)
	ds_store_2addr_b64 v65, v[52:53], v[54:55] offset1:1
.LBB126_49:                             ;   in Loop: Header=BB126_7 Depth=2
	s_and_not1_saveexec_b32 s6, s7
	s_cbranch_execz .LBB126_51
; %bb.50:                               ;   in Loop: Header=BB126_7 Depth=2
	v_mov_b32_e32 v52, v0
	v_mov_b32_e32 v53, v0
	;; [unrolled: 1-line block ×4, first 2 shown]
	ds_store_b128 v65, v[52:55]
.LBB126_51:                             ;   in Loop: Header=BB126_7 Depth=2
	s_or_b32 exec_lo, exec_lo, s6
	s_or_b32 s5, s5, s0
	s_delay_alu instid0(SALU_CYCLE_1) | instskip(NEXT) | instid1(SALU_CYCLE_1)
	s_xor_b32 s5, s5, -1
	s_and_saveexec_b32 s6, s5
	s_delay_alu instid0(SALU_CYCLE_1)
	s_xor_b32 s6, exec_lo, s6
	s_cbranch_execz .LBB126_53
; %bb.52:                               ;   in Loop: Header=BB126_7 Depth=2
	v_add_co_u32 v2, s5, v34, v26
	s_delay_alu instid0(VALU_DEP_1)
	v_add_co_ci_u32_e64 v3, s5, v35, v27, s5
	global_load_b128 v[52:55], v[2:3], off
	s_waitcnt vmcnt(0)
	ds_store_2addr_b64 v66, v[52:53], v[54:55] offset1:1
.LBB126_53:                             ;   in Loop: Header=BB126_7 Depth=2
	s_and_not1_saveexec_b32 s5, s6
	s_cbranch_execz .LBB126_6
; %bb.54:                               ;   in Loop: Header=BB126_7 Depth=2
	v_mov_b32_e32 v52, v0
	v_mov_b32_e32 v53, v0
	;; [unrolled: 1-line block ×4, first 2 shown]
	ds_store_b128 v66, v[52:55]
	s_branch .LBB126_6
.LBB126_55:                             ;   in Loop: Header=BB126_4 Depth=1
	v_mul_lo_u32 v11, v15, s44
	v_mul_lo_u32 v13, v14, s45
	v_mad_u64_u32 v[2:3], null, v14, s44, 0
	v_cmp_gt_i32_e64 s3, s10, v14
	s_delay_alu instid0(VALU_DEP_2) | instskip(NEXT) | instid1(VALU_DEP_1)
	v_add3_u32 v3, v3, v13, v11
	v_lshlrev_b64 v[2:3], 4, v[2:3]
	s_delay_alu instid0(VALU_DEP_1) | instskip(NEXT) | instid1(VALU_DEP_1)
	v_add_co_u32 v2, s4, s40, v2
	v_add_co_ci_u32_e64 v3, s4, s41, v3, s4
	s_and_b32 s4, s1, s3
	s_delay_alu instid0(SALU_CYCLE_1)
	s_and_saveexec_b32 s5, s4
	s_cbranch_execz .LBB126_57
; %bb.56:                               ;   in Loop: Header=BB126_4 Depth=1
	v_add_co_u32 v19, s4, v2, v4
	s_delay_alu instid0(VALU_DEP_1)
	v_add_co_ci_u32_e64 v20, s4, v3, v5, s4
	v_mul_f64 v[21:22], s[18:19], v[46:47]
	v_mul_f64 v[23:24], s[16:17], v[46:47]
	global_load_b128 v[15:18], v[19:20], off
	v_fma_f64 v[21:22], s[16:17], v[44:45], -v[21:22]
	v_fma_f64 v[23:24], s[18:19], v[44:45], v[23:24]
	s_waitcnt vmcnt(0)
	s_delay_alu instid0(VALU_DEP_2) | instskip(NEXT) | instid1(VALU_DEP_2)
	v_add_f64 v[15:16], v[15:16], v[21:22]
	v_add_f64 v[17:18], v[17:18], v[23:24]
	global_store_b128 v[19:20], v[15:18], off
.LBB126_57:                             ;   in Loop: Header=BB126_4 Depth=1
	s_or_b32 exec_lo, exec_lo, s5
	s_and_b32 s3, s2, s3
	s_delay_alu instid0(SALU_CYCLE_1)
	s_and_saveexec_b32 s4, s3
	s_cbranch_execz .LBB126_59
; %bb.58:                               ;   in Loop: Header=BB126_4 Depth=1
	v_lshlrev_b64 v[15:16], 4, v[8:9]
	v_mul_f64 v[19:20], s[18:19], v[42:43]
	v_mul_f64 v[21:22], s[16:17], v[42:43]
	s_delay_alu instid0(VALU_DEP_3) | instskip(NEXT) | instid1(VALU_DEP_1)
	v_add_co_u32 v2, s3, v2, v15
	v_add_co_ci_u32_e64 v3, s3, v3, v16, s3
	global_load_b128 v[15:18], v[2:3], off
	v_fma_f64 v[19:20], s[16:17], v[40:41], -v[19:20]
	v_fma_f64 v[21:22], s[18:19], v[40:41], v[21:22]
	s_waitcnt vmcnt(0)
	s_delay_alu instid0(VALU_DEP_2) | instskip(NEXT) | instid1(VALU_DEP_2)
	v_add_f64 v[15:16], v[15:16], v[19:20]
	v_add_f64 v[17:18], v[17:18], v[21:22]
	global_store_b128 v[2:3], v[15:18], off
.LBB126_59:                             ;   in Loop: Header=BB126_4 Depth=1
	s_or_b32 exec_lo, exec_lo, s4
	v_add_nc_u32_e32 v11, 16, v14
	s_delay_alu instid0(VALU_DEP_1) | instskip(SKIP_3) | instid1(VALU_DEP_4)
	v_ashrrev_i32_e32 v13, 31, v11
	v_mul_lo_u32 v14, v11, s45
	v_mad_u64_u32 v[2:3], null, v11, s44, 0
	v_cmp_gt_i32_e64 s3, s10, v11
	v_mul_lo_u32 v13, v13, s44
	s_delay_alu instid0(VALU_DEP_1) | instskip(NEXT) | instid1(VALU_DEP_1)
	v_add3_u32 v3, v3, v14, v13
	v_lshlrev_b64 v[2:3], 4, v[2:3]
	s_delay_alu instid0(VALU_DEP_1) | instskip(NEXT) | instid1(VALU_DEP_1)
	v_add_co_u32 v2, s4, s40, v2
	v_add_co_ci_u32_e64 v3, s4, s41, v3, s4
	s_and_b32 s4, s1, s3
	s_delay_alu instid0(SALU_CYCLE_1)
	s_and_saveexec_b32 s5, s4
	s_cbranch_execz .LBB126_61
; %bb.60:                               ;   in Loop: Header=BB126_4 Depth=1
	v_add_co_u32 v17, s4, v2, v4
	s_delay_alu instid0(VALU_DEP_1)
	v_add_co_ci_u32_e64 v18, s4, v3, v5, s4
	v_mul_f64 v[19:20], s[18:19], v[38:39]
	v_mul_f64 v[21:22], s[16:17], v[38:39]
	global_load_b128 v[13:16], v[17:18], off
	v_fma_f64 v[19:20], s[16:17], v[36:37], -v[19:20]
	v_fma_f64 v[21:22], s[18:19], v[36:37], v[21:22]
	s_waitcnt vmcnt(0)
	s_delay_alu instid0(VALU_DEP_2) | instskip(NEXT) | instid1(VALU_DEP_2)
	v_add_f64 v[13:14], v[13:14], v[19:20]
	v_add_f64 v[15:16], v[15:16], v[21:22]
	global_store_b128 v[17:18], v[13:16], off
.LBB126_61:                             ;   in Loop: Header=BB126_4 Depth=1
	s_or_b32 exec_lo, exec_lo, s5
	s_and_b32 s3, s2, s3
	s_delay_alu instid0(SALU_CYCLE_1)
	s_and_saveexec_b32 s4, s3
	s_cbranch_execz .LBB126_3
; %bb.62:                               ;   in Loop: Header=BB126_4 Depth=1
	v_lshlrev_b64 v[13:14], 4, v[8:9]
	v_mul_f64 v[17:18], s[18:19], v[48:49]
	v_mul_f64 v[19:20], s[16:17], v[48:49]
	s_delay_alu instid0(VALU_DEP_3) | instskip(NEXT) | instid1(VALU_DEP_1)
	v_add_co_u32 v2, s3, v2, v13
	v_add_co_ci_u32_e64 v3, s3, v3, v14, s3
	global_load_b128 v[13:16], v[2:3], off
	v_fma_f64 v[17:18], s[16:17], v[50:51], -v[17:18]
	v_fma_f64 v[19:20], s[18:19], v[50:51], v[19:20]
	s_waitcnt vmcnt(0)
	s_delay_alu instid0(VALU_DEP_2) | instskip(NEXT) | instid1(VALU_DEP_2)
	v_add_f64 v[13:14], v[13:14], v[17:18]
	v_add_f64 v[15:16], v[15:16], v[19:20]
	global_store_b128 v[2:3], v[13:16], off
	s_branch .LBB126_3
.LBB126_63:
	s_nop 0
	s_sendmsg sendmsg(MSG_DEALLOC_VGPRS)
	s_endpgm
	.section	.rodata,"a",@progbits
	.p2align	6, 0x0
	.amdhsa_kernel _ZL30rocblas_trmm_outofplace_kernelI19rocblas_complex_numIdELi32ELi2ELb0ELb1ELb1ELb0EPKS1_S2_S1_Ev17rocblas_diagonal_iiT6_lPT7_lllS7_lllPT8_llli
		.amdhsa_group_segment_fixed_size 32768
		.amdhsa_private_segment_fixed_size 0
		.amdhsa_kernarg_size 392
		.amdhsa_user_sgpr_count 13
		.amdhsa_user_sgpr_dispatch_ptr 0
		.amdhsa_user_sgpr_queue_ptr 0
		.amdhsa_user_sgpr_kernarg_segment_ptr 1
		.amdhsa_user_sgpr_dispatch_id 0
		.amdhsa_user_sgpr_private_segment_size 0
		.amdhsa_wavefront_size32 1
		.amdhsa_uses_dynamic_stack 0
		.amdhsa_enable_private_segment 0
		.amdhsa_system_sgpr_workgroup_id_x 1
		.amdhsa_system_sgpr_workgroup_id_y 1
		.amdhsa_system_sgpr_workgroup_id_z 1
		.amdhsa_system_sgpr_workgroup_info 0
		.amdhsa_system_vgpr_workitem_id 1
		.amdhsa_next_free_vgpr 88
		.amdhsa_next_free_sgpr 50
		.amdhsa_reserve_vcc 1
		.amdhsa_float_round_mode_32 0
		.amdhsa_float_round_mode_16_64 0
		.amdhsa_float_denorm_mode_32 3
		.amdhsa_float_denorm_mode_16_64 3
		.amdhsa_dx10_clamp 1
		.amdhsa_ieee_mode 1
		.amdhsa_fp16_overflow 0
		.amdhsa_workgroup_processor_mode 1
		.amdhsa_memory_ordered 1
		.amdhsa_forward_progress 0
		.amdhsa_shared_vgpr_count 0
		.amdhsa_exception_fp_ieee_invalid_op 0
		.amdhsa_exception_fp_denorm_src 0
		.amdhsa_exception_fp_ieee_div_zero 0
		.amdhsa_exception_fp_ieee_overflow 0
		.amdhsa_exception_fp_ieee_underflow 0
		.amdhsa_exception_fp_ieee_inexact 0
		.amdhsa_exception_int_div_zero 0
	.end_amdhsa_kernel
	.section	.text._ZL30rocblas_trmm_outofplace_kernelI19rocblas_complex_numIdELi32ELi2ELb0ELb1ELb1ELb0EPKS1_S2_S1_Ev17rocblas_diagonal_iiT6_lPT7_lllS7_lllPT8_llli,"axG",@progbits,_ZL30rocblas_trmm_outofplace_kernelI19rocblas_complex_numIdELi32ELi2ELb0ELb1ELb1ELb0EPKS1_S2_S1_Ev17rocblas_diagonal_iiT6_lPT7_lllS7_lllPT8_llli,comdat
.Lfunc_end126:
	.size	_ZL30rocblas_trmm_outofplace_kernelI19rocblas_complex_numIdELi32ELi2ELb0ELb1ELb1ELb0EPKS1_S2_S1_Ev17rocblas_diagonal_iiT6_lPT7_lllS7_lllPT8_llli, .Lfunc_end126-_ZL30rocblas_trmm_outofplace_kernelI19rocblas_complex_numIdELi32ELi2ELb0ELb1ELb1ELb0EPKS1_S2_S1_Ev17rocblas_diagonal_iiT6_lPT7_lllS7_lllPT8_llli
                                        ; -- End function
	.section	.AMDGPU.csdata,"",@progbits
; Kernel info:
; codeLenInByte = 11568
; NumSgprs: 52
; NumVgprs: 88
; ScratchSize: 0
; MemoryBound: 0
; FloatMode: 240
; IeeeMode: 1
; LDSByteSize: 32768 bytes/workgroup (compile time only)
; SGPRBlocks: 6
; VGPRBlocks: 10
; NumSGPRsForWavesPerEU: 52
; NumVGPRsForWavesPerEU: 88
; Occupancy: 16
; WaveLimiterHint : 0
; COMPUTE_PGM_RSRC2:SCRATCH_EN: 0
; COMPUTE_PGM_RSRC2:USER_SGPR: 13
; COMPUTE_PGM_RSRC2:TRAP_HANDLER: 0
; COMPUTE_PGM_RSRC2:TGID_X_EN: 1
; COMPUTE_PGM_RSRC2:TGID_Y_EN: 1
; COMPUTE_PGM_RSRC2:TGID_Z_EN: 1
; COMPUTE_PGM_RSRC2:TIDIG_COMP_CNT: 1
	.section	.text._ZL30rocblas_trmm_outofplace_kernelI19rocblas_complex_numIdELi32ELi2ELb0ELb1ELb1ELb0ES1_KS1_S1_Ev17rocblas_diagonal_iiT6_lPT7_lllS6_lllPT8_llli,"axG",@progbits,_ZL30rocblas_trmm_outofplace_kernelI19rocblas_complex_numIdELi32ELi2ELb0ELb1ELb1ELb0ES1_KS1_S1_Ev17rocblas_diagonal_iiT6_lPT7_lllS6_lllPT8_llli,comdat
	.globl	_ZL30rocblas_trmm_outofplace_kernelI19rocblas_complex_numIdELi32ELi2ELb0ELb1ELb1ELb0ES1_KS1_S1_Ev17rocblas_diagonal_iiT6_lPT7_lllS6_lllPT8_llli ; -- Begin function _ZL30rocblas_trmm_outofplace_kernelI19rocblas_complex_numIdELi32ELi2ELb0ELb1ELb1ELb0ES1_KS1_S1_Ev17rocblas_diagonal_iiT6_lPT7_lllS6_lllPT8_llli
	.p2align	8
	.type	_ZL30rocblas_trmm_outofplace_kernelI19rocblas_complex_numIdELi32ELi2ELb0ELb1ELb1ELb0ES1_KS1_S1_Ev17rocblas_diagonal_iiT6_lPT7_lllS6_lllPT8_llli,@function
_ZL30rocblas_trmm_outofplace_kernelI19rocblas_complex_numIdELi32ELi2ELb0ELb1ELb1ELb0ES1_KS1_S1_Ev17rocblas_diagonal_iiT6_lPT7_lllS6_lllPT8_llli: ; @_ZL30rocblas_trmm_outofplace_kernelI19rocblas_complex_numIdELi32ELi2ELb0ELb1ELb1ELb0ES1_KS1_S1_Ev17rocblas_diagonal_iiT6_lPT7_lllS6_lllPT8_llli
; %bb.0:
	s_load_b128 s[44:47], s[0:1], 0x10
	s_waitcnt lgkmcnt(0)
	v_cmp_eq_f64_e64 s2, s[44:45], 0
	v_cmp_eq_f64_e64 s3, s[46:47], 0
	s_delay_alu instid0(VALU_DEP_1) | instskip(NEXT) | instid1(SALU_CYCLE_1)
	s_and_b32 s2, s2, s3
	s_and_b32 vcc_lo, exec_lo, s2
	s_cbranch_vccnz .LBB127_63
; %bb.1:
	s_load_b128 s[8:11], s[0:1], 0x0
	s_waitcnt lgkmcnt(0)
	s_add_i32 s2, s10, -1
	s_delay_alu instid0(SALU_CYCLE_1) | instskip(NEXT) | instid1(SALU_CYCLE_1)
	s_ashr_i32 s3, s2, 31
	s_lshr_b32 s3, s3, 27
	s_delay_alu instid0(SALU_CYCLE_1) | instskip(NEXT) | instid1(SALU_CYCLE_1)
	s_add_i32 s2, s2, s3
	s_ashr_i32 s33, s2, 5
	s_delay_alu instid0(SALU_CYCLE_1)
	s_cmp_gt_i32 s14, s33
	s_cbranch_scc1 .LBB127_63
; %bb.2:
	s_clause 0x1
	s_load_b512 s[16:31], s[0:1], 0x28
	s_load_b256 s[36:43], s[0:1], 0x68
	v_and_b32_e32 v10, 0x3ff, v0
	v_bfe_u32 v56, v0, 10, 10
	s_delay_alu instid0(VALU_DEP_2) | instskip(SKIP_1) | instid1(VALU_DEP_3)
	v_lshl_add_u32 v0, s13, 5, v10
	v_lshlrev_b32_e32 v11, 4, v10
	v_lshlrev_b32_e32 v57, 9, v56
	s_delay_alu instid0(VALU_DEP_3) | instskip(SKIP_1) | instid1(VALU_DEP_2)
	v_ashrrev_i32_e32 v1, 31, v0
	v_add_nc_u32_e32 v8, 16, v0
	v_lshlrev_b64 v[4:5], 4, v[0:1]
	s_delay_alu instid0(VALU_DEP_2)
	v_ashrrev_i32_e32 v9, 31, v8
	s_waitcnt lgkmcnt(0)
	s_mul_i32 s3, s15, s31
	s_mul_hi_u32 s4, s15, s30
	s_mul_i32 s2, s15, s30
	s_add_i32 s3, s4, s3
	s_mul_i32 s5, s15, s43
	s_lshl_b64 s[2:3], s[2:3], 4
	s_mul_hi_u32 s6, s15, s42
	s_add_u32 s7, s24, s2
	s_addc_u32 s11, s25, s3
	s_lshl_b64 s[2:3], s[26:27], 4
	s_mul_i32 s4, s15, s42
	s_add_u32 s7, s7, s2
	s_addc_u32 s11, s11, s3
	s_add_i32 s5, s6, s5
	v_add_co_u32 v6, vcc_lo, s7, v4
	s_lshl_b64 s[2:3], s[4:5], 4
	v_add_co_ci_u32_e32 v7, vcc_lo, s11, v5, vcc_lo
	s_add_u32 s4, s36, s2
	s_addc_u32 s5, s37, s3
	s_lshl_b64 s[2:3], s[38:39], 4
	s_load_b32 s39, s[0:1], 0x94
	s_add_u32 s36, s4, s2
	s_addc_u32 s37, s5, s3
	s_cmpk_eq_i32 s8, 0x84
	v_sub_co_u32 v2, vcc_lo, s9, v0
	v_cmp_gt_i32_e64 s1, s9, v0
	v_mov_b32_e32 v0, 0
	v_or_b32_e32 v59, 0x4000, v11
	s_cselect_b32 s38, -1, 0
	s_ashr_i32 s11, s10, 31
	s_ashr_i32 s2, s9, 31
	s_lshl_b64 s[12:13], s[20:21], 9
	s_lshl_b64 s[24:25], s[28:29], 9
	s_mul_i32 s4, s23, s15
	s_mul_hi_u32 s5, s22, s15
	s_add_u32 s26, s10, -16
	v_sub_co_ci_u32_e32 v3, vcc_lo, s2, v1, vcc_lo
	s_addc_u32 s27, s11, -1
	s_add_i32 s5, s5, s4
	s_mul_i32 s4, s22, s15
	v_dual_mov_b32 v1, 0x3ff00000 :: v_dual_add_nc_u32 v58, v57, v11
	v_add_nc_u32_e32 v61, v59, v57
	s_lshl_b32 s3, s14, 5
	s_lshl_b64 s[4:5], s[4:5], 4
	s_lshl_b64 s[6:7], s[18:19], 4
	s_waitcnt lgkmcnt(0)
	s_lshl_b32 s42, s39, 5
	s_lshl_b64 s[18:19], s[28:29], 4
	v_add_nc_u32_e32 v10, s3, v10
	v_add_nc_u32_e32 v12, s3, v56
	s_add_u32 s3, s4, s6
	v_cmp_gt_i64_e32 vcc_lo, 1, v[2:3]
	v_cmp_gt_i64_e64 s0, 17, v[2:3]
	s_addc_u32 s4, s5, s7
	v_add_nc_u32_e32 v60, 0x100, v58
	v_add_nc_u32_e32 v62, 0x2000, v58
	;; [unrolled: 1-line block ×6, first 2 shown]
	v_cmp_gt_i32_e64 s2, s9, v8
	v_add_nc_u32_e32 v67, 0x4100, v11
	s_add_u32 s16, s16, s3
	s_addc_u32 s17, s17, s4
	s_add_u32 s22, s16, 0x100
	s_addc_u32 s23, s17, 0
	s_lshl_b64 s[30:31], s[20:21], 4
	s_branch .LBB127_4
.LBB127_3:                              ;   in Loop: Header=BB127_4 Depth=1
	s_or_b32 exec_lo, exec_lo, s4
	v_add_nc_u32_e32 v10, s42, v10
	v_add_nc_u32_e32 v12, s42, v12
	s_add_i32 s14, s39, s14
	s_delay_alu instid0(SALU_CYCLE_1)
	s_cmp_le_i32 s14, s33
	s_cbranch_scc0 .LBB127_63
.LBB127_4:                              ; =>This Loop Header: Depth=1
                                        ;     Child Loop BB127_7 Depth 2
	s_lshl_b32 s3, s14, 5
	v_mov_b32_e32 v44, 0
	v_dual_mov_b32 v45, 0 :: v_dual_add_nc_u32 v14, s3, v56
	v_ashrrev_i32_e32 v11, 31, v10
	v_ashrrev_i32_e32 v13, 31, v12
	s_delay_alu instid0(VALU_DEP_3)
	v_dual_mov_b32 v40, v44 :: v_dual_mov_b32 v41, v45
	v_dual_mov_b32 v47, v45 :: v_dual_mov_b32 v46, v44
	v_ashrrev_i32_e32 v15, 31, v14
	v_dual_mov_b32 v42, v44 :: v_dual_mov_b32 v43, v45
	v_dual_mov_b32 v36, v44 :: v_dual_mov_b32 v37, v45
	;; [unrolled: 1-line block ×5, first 2 shown]
	s_sub_i32 s15, s10, s3
	s_delay_alu instid0(SALU_CYCLE_1)
	s_cmp_lt_i32 s15, 1
	s_cbranch_scc1 .LBB127_55
; %bb.5:                                ;   in Loop: Header=BB127_4 Depth=1
	v_lshlrev_b64 v[2:3], 4, v[10:11]
	v_sub_co_u32 v16, s3, v12, v10
	v_lshlrev_b64 v[20:21], 4, v[12:13]
	v_sub_co_ci_u32_e64 v17, s3, v13, v11, s3
	s_delay_alu instid0(VALU_DEP_4) | instskip(NEXT) | instid1(VALU_DEP_1)
	v_add_co_u32 v2, s3, 0x100, v2
	v_add_co_ci_u32_e64 v3, s3, 0, v3, s3
	v_mad_u64_u32 v[18:19], null, s18, v12, 0x100
	v_mul_lo_u32 v28, s18, v13
	v_mul_lo_u32 v29, s19, v12
	v_add_co_u32 v32, s3, 0x100, v20
	s_delay_alu instid0(VALU_DEP_1)
	v_add_co_ci_u32_e64 v26, s3, 0, v21, s3
	v_mad_u64_u32 v[22:23], null, s30, v10, s[22:23]
	v_mul_lo_u32 v30, s30, v11
	v_mul_lo_u32 v31, s31, v10
	;; [unrolled: 1-line block ×3, first 2 shown]
	v_mad_u64_u32 v[24:25], null, s20, v2, s[16:17]
	v_mul_lo_u32 v2, s28, v26
	v_mul_lo_u32 v34, s29, v32
	v_mad_u64_u32 v[26:27], null, s28, v32, 0x100
	v_mul_lo_u32 v3, s20, v3
	v_add3_u32 v19, v29, v19, v28
	v_add_co_u32 v28, s3, v14, 16
	s_delay_alu instid0(VALU_DEP_1)
	v_add_co_ci_u32_e64 v29, s3, 0, v15, s3
	v_mov_b32_e32 v48, 0
	v_add3_u32 v23, v31, v23, v30
	v_add_co_u32 v30, s5, v16, 16
	v_mov_b32_e32 v49, 0
	v_add_co_ci_u32_e64 v31, s5, 0, v17, s5
	v_add_co_u32 v32, s5, v16, -16
	v_add3_u32 v27, v34, v27, v2
	v_cmp_le_i64_e64 s4, s[10:11], v[28:29]
	v_dual_mov_b32 v35, v7 :: v_dual_mov_b32 v34, v6
	v_add3_u32 v25, v33, v25, v3
	v_cmp_le_i32_e64 s3, s10, v14
	v_add_co_ci_u32_e64 v33, s5, -1, v17, s5
	v_dual_mov_b32 v51, v49 :: v_dual_mov_b32 v50, v48
	v_dual_mov_b32 v38, v48 :: v_dual_mov_b32 v39, v49
	;; [unrolled: 1-line block ×7, first 2 shown]
	s_mov_b64 s[34:35], 0
	s_branch .LBB127_7
.LBB127_6:                              ;   in Loop: Header=BB127_7 Depth=2
	s_or_b32 exec_lo, exec_lo, s5
	s_waitcnt lgkmcnt(0)
	s_waitcnt_vscnt null, 0x0
	s_barrier
	buffer_gl0_inv
	ds_load_b128 v[52:55], v57
	ds_load_b128 v[68:71], v57 offset:16
	ds_load_b128 v[72:75], v57 offset:32
	;; [unrolled: 1-line block ×3, first 2 shown]
	ds_load_b128 v[80:83], v59
	v_add_co_u32 v34, s5, v34, s24
	s_delay_alu instid0(VALU_DEP_1) | instskip(SKIP_1) | instid1(VALU_DEP_1)
	v_add_co_ci_u32_e64 v35, s5, s25, v35, s5
	v_add_co_u32 v22, s5, v22, s12
	v_add_co_ci_u32_e64 v23, s5, s13, v23, s5
	v_add_co_u32 v24, s5, v24, s12
	s_delay_alu instid0(VALU_DEP_1)
	v_add_co_ci_u32_e64 v25, s5, s13, v25, s5
	s_add_u32 s34, s34, 32
	s_addc_u32 s35, s35, 0
	s_cmp_ge_i32 s34, s15
	s_waitcnt lgkmcnt(0)
	v_mul_f64 v[2:3], v[54:55], v[82:83]
	v_mul_f64 v[84:85], v[52:53], v[82:83]
	s_delay_alu instid0(VALU_DEP_2) | instskip(NEXT) | instid1(VALU_DEP_2)
	v_fma_f64 v[2:3], v[52:53], v[80:81], -v[2:3]
	v_fma_f64 v[84:85], v[54:55], v[80:81], v[84:85]
	s_delay_alu instid0(VALU_DEP_2) | instskip(NEXT) | instid1(VALU_DEP_2)
	v_add_f64 v[2:3], v[44:45], v[2:3]
	v_add_f64 v[84:85], v[46:47], v[84:85]
	ds_load_b128 v[44:47], v67
	s_waitcnt lgkmcnt(0)
	v_mul_f64 v[86:87], v[54:55], v[46:47]
	s_delay_alu instid0(VALU_DEP_1) | instskip(SKIP_1) | instid1(VALU_DEP_1)
	v_fma_f64 v[86:87], v[52:53], v[44:45], -v[86:87]
	v_mul_f64 v[52:53], v[52:53], v[46:47]
	v_fma_f64 v[52:53], v[54:55], v[44:45], v[52:53]
	s_delay_alu instid0(VALU_DEP_3) | instskip(NEXT) | instid1(VALU_DEP_2)
	v_add_f64 v[54:55], v[40:41], v[86:87]
	v_add_f64 v[52:53], v[42:43], v[52:53]
	ds_load_b128 v[40:43], v57 offset:8192
	s_waitcnt lgkmcnt(0)
	v_mul_f64 v[86:87], v[42:43], v[82:83]
	v_mul_f64 v[82:83], v[40:41], v[82:83]
	s_delay_alu instid0(VALU_DEP_2) | instskip(NEXT) | instid1(VALU_DEP_2)
	v_fma_f64 v[86:87], v[40:41], v[80:81], -v[86:87]
	v_fma_f64 v[80:81], v[42:43], v[80:81], v[82:83]
	s_delay_alu instid0(VALU_DEP_2) | instskip(NEXT) | instid1(VALU_DEP_2)
	v_add_f64 v[82:83], v[36:37], v[86:87]
	v_add_f64 v[80:81], v[38:39], v[80:81]
	v_mul_f64 v[36:37], v[42:43], v[46:47]
	v_mul_f64 v[38:39], v[40:41], v[46:47]
	s_delay_alu instid0(VALU_DEP_2) | instskip(NEXT) | instid1(VALU_DEP_2)
	v_fma_f64 v[36:37], v[40:41], v[44:45], -v[36:37]
	v_fma_f64 v[38:39], v[42:43], v[44:45], v[38:39]
	s_delay_alu instid0(VALU_DEP_2) | instskip(NEXT) | instid1(VALU_DEP_2)
	v_add_f64 v[50:51], v[50:51], v[36:37]
	v_add_f64 v[48:49], v[48:49], v[38:39]
	ds_load_b128 v[36:39], v59 offset:512
	s_waitcnt lgkmcnt(0)
	v_mul_f64 v[40:41], v[70:71], v[38:39]
	v_mul_f64 v[42:43], v[68:69], v[38:39]
	s_delay_alu instid0(VALU_DEP_2) | instskip(NEXT) | instid1(VALU_DEP_2)
	v_fma_f64 v[40:41], v[68:69], v[36:37], -v[40:41]
	v_fma_f64 v[42:43], v[70:71], v[36:37], v[42:43]
	s_delay_alu instid0(VALU_DEP_2) | instskip(NEXT) | instid1(VALU_DEP_2)
	v_add_f64 v[2:3], v[2:3], v[40:41]
	v_add_f64 v[84:85], v[84:85], v[42:43]
	ds_load_b128 v[40:43], v67 offset:512
	s_waitcnt lgkmcnt(0)
	;; [unrolled: 10-line block ×3, first 2 shown]
	v_mul_f64 v[68:69], v[46:47], v[38:39]
	v_mul_f64 v[38:39], v[44:45], v[38:39]
	s_delay_alu instid0(VALU_DEP_2) | instskip(NEXT) | instid1(VALU_DEP_2)
	v_fma_f64 v[68:69], v[44:45], v[36:37], -v[68:69]
	v_fma_f64 v[36:37], v[46:47], v[36:37], v[38:39]
	v_mul_f64 v[38:39], v[44:45], v[42:43]
	s_delay_alu instid0(VALU_DEP_3) | instskip(NEXT) | instid1(VALU_DEP_3)
	v_add_f64 v[68:69], v[82:83], v[68:69]
	v_add_f64 v[70:71], v[80:81], v[36:37]
	v_mul_f64 v[36:37], v[46:47], v[42:43]
	s_delay_alu instid0(VALU_DEP_4) | instskip(NEXT) | instid1(VALU_DEP_2)
	v_fma_f64 v[38:39], v[46:47], v[40:41], v[38:39]
	v_fma_f64 v[36:37], v[44:45], v[40:41], -v[36:37]
	s_delay_alu instid0(VALU_DEP_2) | instskip(NEXT) | instid1(VALU_DEP_2)
	v_add_f64 v[48:49], v[48:49], v[38:39]
	v_add_f64 v[50:51], v[50:51], v[36:37]
	ds_load_b128 v[36:39], v59 offset:1024
	s_waitcnt lgkmcnt(0)
	v_mul_f64 v[40:41], v[74:75], v[38:39]
	v_mul_f64 v[42:43], v[72:73], v[38:39]
	s_delay_alu instid0(VALU_DEP_2) | instskip(NEXT) | instid1(VALU_DEP_2)
	v_fma_f64 v[40:41], v[72:73], v[36:37], -v[40:41]
	v_fma_f64 v[42:43], v[74:75], v[36:37], v[42:43]
	s_delay_alu instid0(VALU_DEP_2) | instskip(NEXT) | instid1(VALU_DEP_2)
	v_add_f64 v[2:3], v[2:3], v[40:41]
	v_add_f64 v[80:81], v[84:85], v[42:43]
	ds_load_b128 v[40:43], v67 offset:1024
	s_waitcnt lgkmcnt(0)
	v_mul_f64 v[44:45], v[74:75], v[42:43]
	v_mul_f64 v[46:47], v[72:73], v[42:43]
	s_delay_alu instid0(VALU_DEP_2) | instskip(NEXT) | instid1(VALU_DEP_2)
	v_fma_f64 v[44:45], v[72:73], v[40:41], -v[44:45]
	v_fma_f64 v[46:47], v[74:75], v[40:41], v[46:47]
	;; [unrolled: 10-line block ×3, first 2 shown]
	v_mul_f64 v[38:39], v[44:45], v[42:43]
	s_delay_alu instid0(VALU_DEP_3) | instskip(NEXT) | instid1(VALU_DEP_3)
	v_add_f64 v[68:69], v[68:69], v[72:73]
	v_add_f64 v[70:71], v[70:71], v[36:37]
	v_mul_f64 v[36:37], v[46:47], v[42:43]
	s_delay_alu instid0(VALU_DEP_4) | instskip(NEXT) | instid1(VALU_DEP_2)
	v_fma_f64 v[38:39], v[46:47], v[40:41], v[38:39]
	v_fma_f64 v[36:37], v[44:45], v[40:41], -v[36:37]
	s_delay_alu instid0(VALU_DEP_2) | instskip(NEXT) | instid1(VALU_DEP_2)
	v_add_f64 v[48:49], v[48:49], v[38:39]
	v_add_f64 v[50:51], v[50:51], v[36:37]
	ds_load_b128 v[36:39], v59 offset:1536
	s_waitcnt lgkmcnt(0)
	v_mul_f64 v[40:41], v[78:79], v[38:39]
	v_mul_f64 v[42:43], v[76:77], v[38:39]
	s_delay_alu instid0(VALU_DEP_2) | instskip(NEXT) | instid1(VALU_DEP_2)
	v_fma_f64 v[40:41], v[76:77], v[36:37], -v[40:41]
	v_fma_f64 v[42:43], v[78:79], v[36:37], v[42:43]
	s_delay_alu instid0(VALU_DEP_2) | instskip(NEXT) | instid1(VALU_DEP_2)
	v_add_f64 v[2:3], v[2:3], v[40:41]
	v_add_f64 v[72:73], v[80:81], v[42:43]
	ds_load_b128 v[40:43], v67 offset:1536
	s_waitcnt lgkmcnt(0)
	v_mul_f64 v[44:45], v[78:79], v[42:43]
	v_mul_f64 v[46:47], v[76:77], v[42:43]
	s_delay_alu instid0(VALU_DEP_2) | instskip(NEXT) | instid1(VALU_DEP_2)
	v_fma_f64 v[44:45], v[76:77], v[40:41], -v[44:45]
	v_fma_f64 v[46:47], v[78:79], v[40:41], v[46:47]
	;; [unrolled: 10-line block ×3, first 2 shown]
	v_mul_f64 v[38:39], v[44:45], v[42:43]
	s_delay_alu instid0(VALU_DEP_3) | instskip(NEXT) | instid1(VALU_DEP_3)
	v_add_f64 v[68:69], v[68:69], v[74:75]
	v_add_f64 v[70:71], v[70:71], v[36:37]
	v_mul_f64 v[36:37], v[46:47], v[42:43]
	s_delay_alu instid0(VALU_DEP_4) | instskip(NEXT) | instid1(VALU_DEP_2)
	v_fma_f64 v[38:39], v[46:47], v[40:41], v[38:39]
	v_fma_f64 v[36:37], v[44:45], v[40:41], -v[36:37]
	s_delay_alu instid0(VALU_DEP_2) | instskip(NEXT) | instid1(VALU_DEP_2)
	v_add_f64 v[48:49], v[48:49], v[38:39]
	v_add_f64 v[50:51], v[50:51], v[36:37]
	ds_load_b128 v[36:39], v57 offset:64
	ds_load_b128 v[40:43], v59 offset:2048
	s_waitcnt lgkmcnt(0)
	v_mul_f64 v[44:45], v[38:39], v[42:43]
	v_mul_f64 v[46:47], v[36:37], v[42:43]
	s_delay_alu instid0(VALU_DEP_2) | instskip(NEXT) | instid1(VALU_DEP_2)
	v_fma_f64 v[44:45], v[36:37], v[40:41], -v[44:45]
	v_fma_f64 v[46:47], v[38:39], v[40:41], v[46:47]
	s_delay_alu instid0(VALU_DEP_2) | instskip(NEXT) | instid1(VALU_DEP_2)
	v_add_f64 v[2:3], v[2:3], v[44:45]
	v_add_f64 v[72:73], v[72:73], v[46:47]
	ds_load_b128 v[44:47], v67 offset:2048
	s_waitcnt lgkmcnt(0)
	v_mul_f64 v[74:75], v[38:39], v[46:47]
	s_delay_alu instid0(VALU_DEP_1) | instskip(SKIP_1) | instid1(VALU_DEP_2)
	v_fma_f64 v[74:75], v[36:37], v[44:45], -v[74:75]
	v_mul_f64 v[36:37], v[36:37], v[46:47]
	v_add_f64 v[54:55], v[54:55], v[74:75]
	s_delay_alu instid0(VALU_DEP_2) | instskip(NEXT) | instid1(VALU_DEP_1)
	v_fma_f64 v[36:37], v[38:39], v[44:45], v[36:37]
	v_add_f64 v[52:53], v[52:53], v[36:37]
	ds_load_b128 v[36:39], v57 offset:8256
	s_waitcnt lgkmcnt(0)
	v_mul_f64 v[74:75], v[38:39], v[42:43]
	v_mul_f64 v[42:43], v[36:37], v[42:43]
	s_delay_alu instid0(VALU_DEP_2) | instskip(NEXT) | instid1(VALU_DEP_2)
	v_fma_f64 v[74:75], v[36:37], v[40:41], -v[74:75]
	v_fma_f64 v[40:41], v[38:39], v[40:41], v[42:43]
	s_delay_alu instid0(VALU_DEP_2) | instskip(NEXT) | instid1(VALU_DEP_2)
	v_add_f64 v[68:69], v[68:69], v[74:75]
	v_add_f64 v[70:71], v[70:71], v[40:41]
	v_mul_f64 v[40:41], v[38:39], v[46:47]
	s_delay_alu instid0(VALU_DEP_1) | instskip(SKIP_1) | instid1(VALU_DEP_2)
	v_fma_f64 v[40:41], v[36:37], v[44:45], -v[40:41]
	v_mul_f64 v[36:37], v[36:37], v[46:47]
	v_add_f64 v[50:51], v[50:51], v[40:41]
	s_delay_alu instid0(VALU_DEP_2) | instskip(NEXT) | instid1(VALU_DEP_1)
	v_fma_f64 v[36:37], v[38:39], v[44:45], v[36:37]
	v_add_f64 v[48:49], v[48:49], v[36:37]
	ds_load_b128 v[36:39], v57 offset:80
	ds_load_b128 v[40:43], v59 offset:2560
	s_waitcnt lgkmcnt(0)
	v_mul_f64 v[44:45], v[38:39], v[42:43]
	v_mul_f64 v[46:47], v[36:37], v[42:43]
	s_delay_alu instid0(VALU_DEP_2) | instskip(NEXT) | instid1(VALU_DEP_2)
	v_fma_f64 v[44:45], v[36:37], v[40:41], -v[44:45]
	v_fma_f64 v[46:47], v[38:39], v[40:41], v[46:47]
	s_delay_alu instid0(VALU_DEP_2) | instskip(NEXT) | instid1(VALU_DEP_2)
	v_add_f64 v[2:3], v[2:3], v[44:45]
	v_add_f64 v[72:73], v[72:73], v[46:47]
	ds_load_b128 v[44:47], v67 offset:2560
	s_waitcnt lgkmcnt(0)
	v_mul_f64 v[74:75], v[38:39], v[46:47]
	s_delay_alu instid0(VALU_DEP_1) | instskip(SKIP_1) | instid1(VALU_DEP_2)
	v_fma_f64 v[74:75], v[36:37], v[44:45], -v[74:75]
	v_mul_f64 v[36:37], v[36:37], v[46:47]
	v_add_f64 v[54:55], v[54:55], v[74:75]
	s_delay_alu instid0(VALU_DEP_2) | instskip(NEXT) | instid1(VALU_DEP_1)
	v_fma_f64 v[36:37], v[38:39], v[44:45], v[36:37]
	v_add_f64 v[52:53], v[52:53], v[36:37]
	ds_load_b128 v[36:39], v57 offset:8272
	s_waitcnt lgkmcnt(0)
	v_mul_f64 v[74:75], v[38:39], v[42:43]
	v_mul_f64 v[42:43], v[36:37], v[42:43]
	s_delay_alu instid0(VALU_DEP_2) | instskip(NEXT) | instid1(VALU_DEP_2)
	v_fma_f64 v[74:75], v[36:37], v[40:41], -v[74:75]
	v_fma_f64 v[40:41], v[38:39], v[40:41], v[42:43]
	s_delay_alu instid0(VALU_DEP_2) | instskip(NEXT) | instid1(VALU_DEP_2)
	v_add_f64 v[68:69], v[68:69], v[74:75]
	v_add_f64 v[70:71], v[70:71], v[40:41]
	v_mul_f64 v[40:41], v[38:39], v[46:47]
	s_delay_alu instid0(VALU_DEP_1) | instskip(SKIP_1) | instid1(VALU_DEP_2)
	v_fma_f64 v[40:41], v[36:37], v[44:45], -v[40:41]
	v_mul_f64 v[36:37], v[36:37], v[46:47]
	v_add_f64 v[50:51], v[50:51], v[40:41]
	s_delay_alu instid0(VALU_DEP_2) | instskip(NEXT) | instid1(VALU_DEP_1)
	v_fma_f64 v[36:37], v[38:39], v[44:45], v[36:37]
	;; [unrolled: 39-line block ×26, first 2 shown]
	v_add_f64 v[48:49], v[48:49], v[36:37]
	ds_load_b128 v[36:39], v57 offset:480
	ds_load_b128 v[40:43], v59 offset:15360
	s_waitcnt lgkmcnt(0)
	v_mul_f64 v[44:45], v[38:39], v[42:43]
	v_mul_f64 v[46:47], v[36:37], v[42:43]
	s_delay_alu instid0(VALU_DEP_2) | instskip(NEXT) | instid1(VALU_DEP_2)
	v_fma_f64 v[44:45], v[36:37], v[40:41], -v[44:45]
	v_fma_f64 v[46:47], v[38:39], v[40:41], v[46:47]
	s_delay_alu instid0(VALU_DEP_2) | instskip(NEXT) | instid1(VALU_DEP_2)
	v_add_f64 v[74:75], v[2:3], v[44:45]
	v_add_f64 v[72:73], v[72:73], v[46:47]
	ds_load_b128 v[44:47], v67 offset:15360
	s_waitcnt lgkmcnt(0)
	v_mul_f64 v[2:3], v[38:39], v[46:47]
	s_delay_alu instid0(VALU_DEP_1) | instskip(SKIP_1) | instid1(VALU_DEP_2)
	v_fma_f64 v[2:3], v[36:37], v[44:45], -v[2:3]
	v_mul_f64 v[36:37], v[36:37], v[46:47]
	v_add_f64 v[54:55], v[54:55], v[2:3]
	s_delay_alu instid0(VALU_DEP_2) | instskip(NEXT) | instid1(VALU_DEP_1)
	v_fma_f64 v[36:37], v[38:39], v[44:45], v[36:37]
	v_add_f64 v[76:77], v[52:53], v[36:37]
	ds_load_b128 v[36:39], v57 offset:8672
	s_waitcnt lgkmcnt(0)
	v_mul_f64 v[2:3], v[38:39], v[42:43]
	v_mul_f64 v[42:43], v[36:37], v[42:43]
	s_delay_alu instid0(VALU_DEP_2) | instskip(NEXT) | instid1(VALU_DEP_2)
	v_fma_f64 v[2:3], v[36:37], v[40:41], -v[2:3]
	v_fma_f64 v[40:41], v[38:39], v[40:41], v[42:43]
	s_delay_alu instid0(VALU_DEP_2) | instskip(SKIP_1) | instid1(VALU_DEP_3)
	v_add_f64 v[78:79], v[68:69], v[2:3]
	v_mul_f64 v[2:3], v[38:39], v[46:47]
	v_add_f64 v[80:81], v[70:71], v[40:41]
	s_delay_alu instid0(VALU_DEP_2) | instskip(SKIP_1) | instid1(VALU_DEP_2)
	v_fma_f64 v[2:3], v[36:37], v[44:45], -v[2:3]
	v_mul_f64 v[36:37], v[36:37], v[46:47]
	v_add_f64 v[2:3], v[50:51], v[2:3]
	s_delay_alu instid0(VALU_DEP_2) | instskip(NEXT) | instid1(VALU_DEP_1)
	v_fma_f64 v[36:37], v[38:39], v[44:45], v[36:37]
	v_add_f64 v[48:49], v[48:49], v[36:37]
	ds_load_b128 v[36:39], v57 offset:496
	ds_load_b128 v[50:53], v59 offset:15872
	ds_load_b128 v[68:71], v67 offset:15872
	s_waitcnt lgkmcnt(1)
	v_mul_f64 v[40:41], v[38:39], v[52:53]
	v_mul_f64 v[42:43], v[36:37], v[52:53]
	s_delay_alu instid0(VALU_DEP_2) | instskip(NEXT) | instid1(VALU_DEP_2)
	v_fma_f64 v[40:41], v[36:37], v[50:51], -v[40:41]
	v_fma_f64 v[42:43], v[38:39], v[50:51], v[42:43]
	s_delay_alu instid0(VALU_DEP_2) | instskip(NEXT) | instid1(VALU_DEP_2)
	v_add_f64 v[44:45], v[74:75], v[40:41]
	v_add_f64 v[46:47], v[72:73], v[42:43]
	ds_load_b128 v[72:75], v57 offset:8688
	s_waitcnt lgkmcnt(1)
	v_mul_f64 v[40:41], v[38:39], v[70:71]
	s_waitcnt lgkmcnt(0)
	s_barrier
	buffer_gl0_inv
	v_fma_f64 v[40:41], v[36:37], v[68:69], -v[40:41]
	v_mul_f64 v[36:37], v[36:37], v[70:71]
	s_delay_alu instid0(VALU_DEP_2) | instskip(NEXT) | instid1(VALU_DEP_2)
	v_add_f64 v[40:41], v[54:55], v[40:41]
	v_fma_f64 v[36:37], v[38:39], v[68:69], v[36:37]
	v_mul_f64 v[38:39], v[72:73], v[52:53]
	s_delay_alu instid0(VALU_DEP_2) | instskip(SKIP_1) | instid1(VALU_DEP_3)
	v_add_f64 v[42:43], v[76:77], v[36:37]
	v_mul_f64 v[36:37], v[74:75], v[52:53]
	v_fma_f64 v[38:39], v[74:75], v[50:51], v[38:39]
	v_mul_f64 v[52:53], v[72:73], v[70:71]
	s_delay_alu instid0(VALU_DEP_3) | instskip(SKIP_1) | instid1(VALU_DEP_3)
	v_fma_f64 v[36:37], v[72:73], v[50:51], -v[36:37]
	v_mul_f64 v[50:51], v[74:75], v[70:71]
	v_fma_f64 v[52:53], v[74:75], v[68:69], v[52:53]
	v_add_f64 v[38:39], v[80:81], v[38:39]
	s_delay_alu instid0(VALU_DEP_4) | instskip(NEXT) | instid1(VALU_DEP_4)
	v_add_f64 v[36:37], v[78:79], v[36:37]
	v_fma_f64 v[50:51], v[72:73], v[68:69], -v[50:51]
	s_delay_alu instid0(VALU_DEP_4) | instskip(NEXT) | instid1(VALU_DEP_2)
	v_add_f64 v[48:49], v[48:49], v[52:53]
	v_add_f64 v[50:51], v[2:3], v[50:51]
	s_cbranch_scc1 .LBB127_55
.LBB127_7:                              ;   Parent Loop BB127_4 Depth=1
                                        ; =>  This Inner Loop Header: Depth=2
	v_add_co_u32 v52, s5, v10, s34
	s_delay_alu instid0(VALU_DEP_1) | instskip(SKIP_1) | instid1(VALU_DEP_2)
	v_add_co_ci_u32_e64 v53, s5, s35, v11, s5
	v_cmp_eq_u64_e64 s7, s[34:35], v[16:17]
	v_cmp_lt_i64_e64 s5, v[52:53], v[14:15]
	v_cmp_le_i64_e64 s6, s[10:11], v[52:53]
	s_delay_alu instid0(VALU_DEP_3) | instskip(SKIP_1) | instid1(VALU_DEP_3)
	s_and_b32 s48, s38, s7
	v_add_co_u32 v54, s7, v22, v20
	s_or_b32 s8, s3, s5
	v_add_co_ci_u32_e64 v55, s7, v23, v21, s7
	s_delay_alu instid0(VALU_DEP_3) | instskip(NEXT) | instid1(SALU_CYCLE_1)
	s_or_b32 s8, s6, s8
	s_or_b32 s7, s8, s48
	s_delay_alu instid0(SALU_CYCLE_1) | instskip(NEXT) | instid1(SALU_CYCLE_1)
	s_xor_b32 s7, s7, -1
	s_and_saveexec_b32 s8, s7
	s_delay_alu instid0(SALU_CYCLE_1)
	s_xor_b32 s7, exec_lo, s8
	s_cbranch_execz .LBB127_9
; %bb.8:                                ;   in Loop: Header=BB127_7 Depth=2
	global_load_b128 v[68:71], v[54:55], off offset:-256
	s_waitcnt vmcnt(0)
	ds_store_2addr_b64 v58, v[68:69], v[70:71] offset1:1
.LBB127_9:                              ;   in Loop: Header=BB127_7 Depth=2
	s_or_saveexec_b32 s7, s7
	s_xor_b32 s43, s48, -1
	s_xor_b32 exec_lo, exec_lo, s7
	s_cbranch_execz .LBB127_15
; %bb.10:                               ;   in Loop: Header=BB127_7 Depth=2
	s_and_saveexec_b32 s8, s43
	s_delay_alu instid0(SALU_CYCLE_1)
	s_xor_b32 s8, exec_lo, s8
	s_cbranch_execz .LBB127_12
; %bb.11:                               ;   in Loop: Header=BB127_7 Depth=2
	v_mov_b32_e32 v68, v0
	v_mov_b32_e32 v69, v0
	;; [unrolled: 1-line block ×4, first 2 shown]
	ds_store_b128 v58, v[68:71]
.LBB127_12:                             ;   in Loop: Header=BB127_7 Depth=2
	s_and_not1_saveexec_b32 s8, s8
	s_cbranch_execz .LBB127_14
; %bb.13:                               ;   in Loop: Header=BB127_7 Depth=2
	v_mov_b32_e32 v2, v0
	v_mov_b32_e32 v3, v0
	ds_store_b128 v58, v[0:3]
.LBB127_14:                             ;   in Loop: Header=BB127_7 Depth=2
	s_or_b32 exec_lo, exec_lo, s8
.LBB127_15:                             ;   in Loop: Header=BB127_7 Depth=2
	s_delay_alu instid0(SALU_CYCLE_1) | instskip(SKIP_1) | instid1(VALU_DEP_1)
	s_or_b32 exec_lo, exec_lo, s7
	v_add_co_u32 v2, s7, v52, 16
	v_add_co_ci_u32_e64 v3, s7, 0, v53, s7
	v_cmp_eq_u64_e64 s9, s[34:35], v[32:33]
	s_delay_alu instid0(VALU_DEP_2) | instskip(SKIP_1) | instid1(VALU_DEP_3)
	v_cmp_lt_i64_e64 s8, v[2:3], v[14:15]
	v_cmp_le_i64_e64 s7, s[10:11], v[2:3]
	s_and_b32 s9, s38, s9
	s_delay_alu instid0(VALU_DEP_2)
	s_or_b32 s8, s3, s8
	s_delay_alu instid0(VALU_DEP_1) | instid1(SALU_CYCLE_1)
	s_or_b32 s8, s7, s8
	s_delay_alu instid0(SALU_CYCLE_1) | instskip(NEXT) | instid1(SALU_CYCLE_1)
	s_or_b32 s8, s8, s9
	s_xor_b32 s8, s8, -1
	s_delay_alu instid0(SALU_CYCLE_1) | instskip(NEXT) | instid1(SALU_CYCLE_1)
	s_and_saveexec_b32 s49, s8
	s_xor_b32 s49, exec_lo, s49
	s_cbranch_execz .LBB127_17
; %bb.16:                               ;   in Loop: Header=BB127_7 Depth=2
	v_add_co_u32 v2, s8, v24, v20
	s_delay_alu instid0(VALU_DEP_1)
	v_add_co_ci_u32_e64 v3, s8, v25, v21, s8
	global_load_b128 v[68:71], v[2:3], off
	s_waitcnt vmcnt(0)
	ds_store_2addr_b64 v60, v[68:69], v[70:71] offset1:1
.LBB127_17:                             ;   in Loop: Header=BB127_7 Depth=2
	s_and_not1_saveexec_b32 s8, s49
	s_cbranch_execz .LBB127_23
; %bb.18:                               ;   in Loop: Header=BB127_7 Depth=2
	s_xor_b32 s9, s9, -1
	s_delay_alu instid0(SALU_CYCLE_1) | instskip(NEXT) | instid1(SALU_CYCLE_1)
	s_and_saveexec_b32 s49, s9
	s_xor_b32 s9, exec_lo, s49
	s_cbranch_execz .LBB127_20
; %bb.19:                               ;   in Loop: Header=BB127_7 Depth=2
	v_mov_b32_e32 v68, v0
	v_mov_b32_e32 v69, v0
	;; [unrolled: 1-line block ×4, first 2 shown]
	ds_store_b128 v60, v[68:71]
.LBB127_20:                             ;   in Loop: Header=BB127_7 Depth=2
	s_and_not1_saveexec_b32 s9, s9
	s_cbranch_execz .LBB127_22
; %bb.21:                               ;   in Loop: Header=BB127_7 Depth=2
	v_mov_b32_e32 v2, v0
	v_mov_b32_e32 v3, v0
	ds_store_b128 v60, v[0:3]
.LBB127_22:                             ;   in Loop: Header=BB127_7 Depth=2
	s_or_b32 exec_lo, exec_lo, s9
.LBB127_23:                             ;   in Loop: Header=BB127_7 Depth=2
	s_delay_alu instid0(SALU_CYCLE_1) | instskip(SKIP_2) | instid1(VALU_DEP_2)
	s_or_b32 exec_lo, exec_lo, s8
	v_cmp_eq_u64_e64 s8, s[34:35], v[30:31]
	v_cmp_lt_i64_e64 s9, v[52:53], v[28:29]
	s_and_b32 s8, s38, s8
	s_delay_alu instid0(VALU_DEP_1) | instskip(NEXT) | instid1(SALU_CYCLE_1)
	s_or_b32 s9, s4, s9
	s_or_b32 s9, s9, s8
	s_delay_alu instid0(SALU_CYCLE_1) | instskip(NEXT) | instid1(SALU_CYCLE_1)
	s_or_b32 s6, s6, s9
	s_xor_b32 s6, s6, -1
	s_delay_alu instid0(SALU_CYCLE_1) | instskip(NEXT) | instid1(SALU_CYCLE_1)
	s_and_saveexec_b32 s9, s6
	s_xor_b32 s6, exec_lo, s9
	s_cbranch_execz .LBB127_25
; %bb.24:                               ;   in Loop: Header=BB127_7 Depth=2
	global_load_b128 v[52:55], v[54:55], off
	s_waitcnt vmcnt(0)
	ds_store_2addr_b64 v62, v[52:53], v[54:55] offset1:1
.LBB127_25:                             ;   in Loop: Header=BB127_7 Depth=2
	s_and_not1_saveexec_b32 s6, s6
	s_cbranch_execz .LBB127_31
; %bb.26:                               ;   in Loop: Header=BB127_7 Depth=2
	s_xor_b32 s8, s8, -1
	s_delay_alu instid0(SALU_CYCLE_1) | instskip(NEXT) | instid1(SALU_CYCLE_1)
	s_and_saveexec_b32 s9, s8
	s_xor_b32 s8, exec_lo, s9
	s_cbranch_execz .LBB127_28
; %bb.27:                               ;   in Loop: Header=BB127_7 Depth=2
	v_mov_b32_e32 v52, v0
	v_mov_b32_e32 v53, v0
	;; [unrolled: 1-line block ×4, first 2 shown]
	ds_store_b128 v62, v[52:55]
.LBB127_28:                             ;   in Loop: Header=BB127_7 Depth=2
	s_and_not1_saveexec_b32 s8, s8
	s_cbranch_execz .LBB127_30
; %bb.29:                               ;   in Loop: Header=BB127_7 Depth=2
	v_mov_b32_e32 v2, v0
	v_mov_b32_e32 v3, v0
	ds_store_b128 v62, v[0:3]
.LBB127_30:                             ;   in Loop: Header=BB127_7 Depth=2
	s_or_b32 exec_lo, exec_lo, s8
.LBB127_31:                             ;   in Loop: Header=BB127_7 Depth=2
	s_delay_alu instid0(SALU_CYCLE_1) | instskip(SKIP_1) | instid1(SALU_CYCLE_1)
	s_or_b32 exec_lo, exec_lo, s6
	s_or_b32 s5, s4, s5
	s_or_b32 s5, s7, s5
	s_delay_alu instid0(SALU_CYCLE_1) | instskip(NEXT) | instid1(SALU_CYCLE_1)
	s_or_b32 s5, s5, s48
	s_xor_b32 s5, s5, -1
	s_delay_alu instid0(SALU_CYCLE_1) | instskip(NEXT) | instid1(SALU_CYCLE_1)
	s_and_saveexec_b32 s6, s5
	s_xor_b32 s6, exec_lo, s6
	s_cbranch_execz .LBB127_33
; %bb.32:                               ;   in Loop: Header=BB127_7 Depth=2
	v_add_co_u32 v2, s5, v24, v20
	s_delay_alu instid0(VALU_DEP_1)
	v_add_co_ci_u32_e64 v3, s5, v25, v21, s5
	global_load_b128 v[52:55], v[2:3], off offset:256
	s_waitcnt vmcnt(0)
	ds_store_2addr_b64 v63, v[52:53], v[54:55] offset1:1
.LBB127_33:                             ;   in Loop: Header=BB127_7 Depth=2
	s_and_not1_saveexec_b32 s5, s6
	s_cbranch_execz .LBB127_39
; %bb.34:                               ;   in Loop: Header=BB127_7 Depth=2
	s_and_saveexec_b32 s6, s43
	s_delay_alu instid0(SALU_CYCLE_1)
	s_xor_b32 s6, exec_lo, s6
	s_cbranch_execz .LBB127_36
; %bb.35:                               ;   in Loop: Header=BB127_7 Depth=2
	v_mov_b32_e32 v52, v0
	v_mov_b32_e32 v53, v0
	;; [unrolled: 1-line block ×4, first 2 shown]
	ds_store_b128 v63, v[52:55]
.LBB127_36:                             ;   in Loop: Header=BB127_7 Depth=2
	s_and_not1_saveexec_b32 s6, s6
	s_cbranch_execz .LBB127_38
; %bb.37:                               ;   in Loop: Header=BB127_7 Depth=2
	v_mov_b32_e32 v2, v0
	v_mov_b32_e32 v3, v0
	ds_store_b128 v63, v[0:3]
.LBB127_38:                             ;   in Loop: Header=BB127_7 Depth=2
	s_or_b32 exec_lo, exec_lo, s6
.LBB127_39:                             ;   in Loop: Header=BB127_7 Depth=2
	s_delay_alu instid0(SALU_CYCLE_1) | instskip(SKIP_1) | instid1(VALU_DEP_1)
	s_or_b32 exec_lo, exec_lo, s5
	v_add_co_u32 v2, s5, v12, s34
	v_add_co_ci_u32_e64 v3, s5, s35, v13, s5
	v_add_co_u32 v52, s6, v34, v18
	s_delay_alu instid0(VALU_DEP_1) | instskip(NEXT) | instid1(VALU_DEP_3)
	v_add_co_ci_u32_e64 v53, s6, v35, v19, s6
	v_cmp_le_i64_e64 s5, s[10:11], v[2:3]
	s_delay_alu instid0(VALU_DEP_1) | instskip(NEXT) | instid1(SALU_CYCLE_1)
	s_or_b32 s6, s5, vcc_lo
	s_xor_b32 s6, s6, -1
	s_delay_alu instid0(SALU_CYCLE_1) | instskip(NEXT) | instid1(SALU_CYCLE_1)
	s_and_saveexec_b32 s7, s6
	s_xor_b32 s6, exec_lo, s7
	s_cbranch_execz .LBB127_41
; %bb.40:                               ;   in Loop: Header=BB127_7 Depth=2
	global_load_b128 v[68:71], v[52:53], off offset:-256
	s_waitcnt vmcnt(0)
	ds_store_2addr_b64 v61, v[68:69], v[70:71] offset1:1
.LBB127_41:                             ;   in Loop: Header=BB127_7 Depth=2
	s_and_not1_saveexec_b32 s6, s6
	s_cbranch_execz .LBB127_43
; %bb.42:                               ;   in Loop: Header=BB127_7 Depth=2
	v_mov_b32_e32 v68, v0
	v_mov_b32_e32 v69, v0
	;; [unrolled: 1-line block ×4, first 2 shown]
	ds_store_b128 v61, v[68:71]
.LBB127_43:                             ;   in Loop: Header=BB127_7 Depth=2
	s_or_b32 exec_lo, exec_lo, s6
	s_or_b32 s5, s5, s0
	s_delay_alu instid0(SALU_CYCLE_1) | instskip(NEXT) | instid1(SALU_CYCLE_1)
	s_xor_b32 s5, s5, -1
	s_and_saveexec_b32 s6, s5
	s_delay_alu instid0(SALU_CYCLE_1)
	s_xor_b32 s5, exec_lo, s6
	s_cbranch_execz .LBB127_45
; %bb.44:                               ;   in Loop: Header=BB127_7 Depth=2
	global_load_b128 v[52:55], v[52:53], off
	s_waitcnt vmcnt(0)
	ds_store_2addr_b64 v64, v[52:53], v[54:55] offset1:1
.LBB127_45:                             ;   in Loop: Header=BB127_7 Depth=2
	s_and_not1_saveexec_b32 s5, s5
	s_cbranch_execz .LBB127_47
; %bb.46:                               ;   in Loop: Header=BB127_7 Depth=2
	v_mov_b32_e32 v52, v0
	v_mov_b32_e32 v53, v0
	;; [unrolled: 1-line block ×4, first 2 shown]
	ds_store_b128 v64, v[52:55]
.LBB127_47:                             ;   in Loop: Header=BB127_7 Depth=2
	s_or_b32 exec_lo, exec_lo, s5
	v_cmp_le_i64_e64 s5, s[26:27], v[2:3]
	s_delay_alu instid0(VALU_DEP_1) | instskip(NEXT) | instid1(SALU_CYCLE_1)
	s_or_b32 s6, s5, vcc_lo
	s_xor_b32 s6, s6, -1
	s_delay_alu instid0(SALU_CYCLE_1) | instskip(NEXT) | instid1(SALU_CYCLE_1)
	s_and_saveexec_b32 s7, s6
	s_xor_b32 s7, exec_lo, s7
	s_cbranch_execz .LBB127_49
; %bb.48:                               ;   in Loop: Header=BB127_7 Depth=2
	v_add_co_u32 v2, s6, v34, v26
	s_delay_alu instid0(VALU_DEP_1)
	v_add_co_ci_u32_e64 v3, s6, v35, v27, s6
	global_load_b128 v[52:55], v[2:3], off offset:-256
	s_waitcnt vmcnt(0)
	ds_store_2addr_b64 v65, v[52:53], v[54:55] offset1:1
.LBB127_49:                             ;   in Loop: Header=BB127_7 Depth=2
	s_and_not1_saveexec_b32 s6, s7
	s_cbranch_execz .LBB127_51
; %bb.50:                               ;   in Loop: Header=BB127_7 Depth=2
	v_mov_b32_e32 v52, v0
	v_mov_b32_e32 v53, v0
	;; [unrolled: 1-line block ×4, first 2 shown]
	ds_store_b128 v65, v[52:55]
.LBB127_51:                             ;   in Loop: Header=BB127_7 Depth=2
	s_or_b32 exec_lo, exec_lo, s6
	s_or_b32 s5, s5, s0
	s_delay_alu instid0(SALU_CYCLE_1) | instskip(NEXT) | instid1(SALU_CYCLE_1)
	s_xor_b32 s5, s5, -1
	s_and_saveexec_b32 s6, s5
	s_delay_alu instid0(SALU_CYCLE_1)
	s_xor_b32 s6, exec_lo, s6
	s_cbranch_execz .LBB127_53
; %bb.52:                               ;   in Loop: Header=BB127_7 Depth=2
	v_add_co_u32 v2, s5, v34, v26
	s_delay_alu instid0(VALU_DEP_1)
	v_add_co_ci_u32_e64 v3, s5, v35, v27, s5
	global_load_b128 v[52:55], v[2:3], off
	s_waitcnt vmcnt(0)
	ds_store_2addr_b64 v66, v[52:53], v[54:55] offset1:1
.LBB127_53:                             ;   in Loop: Header=BB127_7 Depth=2
	s_and_not1_saveexec_b32 s5, s6
	s_cbranch_execz .LBB127_6
; %bb.54:                               ;   in Loop: Header=BB127_7 Depth=2
	v_mov_b32_e32 v52, v0
	v_mov_b32_e32 v53, v0
	;; [unrolled: 1-line block ×4, first 2 shown]
	ds_store_b128 v66, v[52:55]
	s_branch .LBB127_6
.LBB127_55:                             ;   in Loop: Header=BB127_4 Depth=1
	v_mul_lo_u32 v11, v15, s40
	v_mul_lo_u32 v13, v14, s41
	v_mad_u64_u32 v[2:3], null, v14, s40, 0
	v_cmp_gt_i32_e64 s3, s10, v14
	s_delay_alu instid0(VALU_DEP_2) | instskip(NEXT) | instid1(VALU_DEP_1)
	v_add3_u32 v3, v3, v13, v11
	v_lshlrev_b64 v[2:3], 4, v[2:3]
	s_delay_alu instid0(VALU_DEP_1) | instskip(NEXT) | instid1(VALU_DEP_1)
	v_add_co_u32 v2, s4, s36, v2
	v_add_co_ci_u32_e64 v3, s4, s37, v3, s4
	s_and_b32 s4, s1, s3
	s_delay_alu instid0(SALU_CYCLE_1)
	s_and_saveexec_b32 s5, s4
	s_cbranch_execz .LBB127_57
; %bb.56:                               ;   in Loop: Header=BB127_4 Depth=1
	v_add_co_u32 v19, s4, v2, v4
	s_delay_alu instid0(VALU_DEP_1)
	v_add_co_ci_u32_e64 v20, s4, v3, v5, s4
	v_mul_f64 v[21:22], s[46:47], v[46:47]
	v_mul_f64 v[23:24], s[44:45], v[46:47]
	global_load_b128 v[15:18], v[19:20], off
	v_fma_f64 v[21:22], s[44:45], v[44:45], -v[21:22]
	v_fma_f64 v[23:24], s[46:47], v[44:45], v[23:24]
	s_waitcnt vmcnt(0)
	s_delay_alu instid0(VALU_DEP_2) | instskip(NEXT) | instid1(VALU_DEP_2)
	v_add_f64 v[15:16], v[15:16], v[21:22]
	v_add_f64 v[17:18], v[17:18], v[23:24]
	global_store_b128 v[19:20], v[15:18], off
.LBB127_57:                             ;   in Loop: Header=BB127_4 Depth=1
	s_or_b32 exec_lo, exec_lo, s5
	s_and_b32 s3, s2, s3
	s_delay_alu instid0(SALU_CYCLE_1)
	s_and_saveexec_b32 s4, s3
	s_cbranch_execz .LBB127_59
; %bb.58:                               ;   in Loop: Header=BB127_4 Depth=1
	v_lshlrev_b64 v[15:16], 4, v[8:9]
	v_mul_f64 v[19:20], s[46:47], v[42:43]
	v_mul_f64 v[21:22], s[44:45], v[42:43]
	s_delay_alu instid0(VALU_DEP_3) | instskip(NEXT) | instid1(VALU_DEP_1)
	v_add_co_u32 v2, s3, v2, v15
	v_add_co_ci_u32_e64 v3, s3, v3, v16, s3
	global_load_b128 v[15:18], v[2:3], off
	v_fma_f64 v[19:20], s[44:45], v[40:41], -v[19:20]
	v_fma_f64 v[21:22], s[46:47], v[40:41], v[21:22]
	s_waitcnt vmcnt(0)
	s_delay_alu instid0(VALU_DEP_2) | instskip(NEXT) | instid1(VALU_DEP_2)
	v_add_f64 v[15:16], v[15:16], v[19:20]
	v_add_f64 v[17:18], v[17:18], v[21:22]
	global_store_b128 v[2:3], v[15:18], off
.LBB127_59:                             ;   in Loop: Header=BB127_4 Depth=1
	s_or_b32 exec_lo, exec_lo, s4
	v_add_nc_u32_e32 v11, 16, v14
	s_delay_alu instid0(VALU_DEP_1) | instskip(SKIP_3) | instid1(VALU_DEP_4)
	v_ashrrev_i32_e32 v13, 31, v11
	v_mul_lo_u32 v14, v11, s41
	v_mad_u64_u32 v[2:3], null, v11, s40, 0
	v_cmp_gt_i32_e64 s3, s10, v11
	v_mul_lo_u32 v13, v13, s40
	s_delay_alu instid0(VALU_DEP_1) | instskip(NEXT) | instid1(VALU_DEP_1)
	v_add3_u32 v3, v3, v14, v13
	v_lshlrev_b64 v[2:3], 4, v[2:3]
	s_delay_alu instid0(VALU_DEP_1) | instskip(NEXT) | instid1(VALU_DEP_1)
	v_add_co_u32 v2, s4, s36, v2
	v_add_co_ci_u32_e64 v3, s4, s37, v3, s4
	s_and_b32 s4, s1, s3
	s_delay_alu instid0(SALU_CYCLE_1)
	s_and_saveexec_b32 s5, s4
	s_cbranch_execz .LBB127_61
; %bb.60:                               ;   in Loop: Header=BB127_4 Depth=1
	v_add_co_u32 v17, s4, v2, v4
	s_delay_alu instid0(VALU_DEP_1)
	v_add_co_ci_u32_e64 v18, s4, v3, v5, s4
	v_mul_f64 v[19:20], s[46:47], v[38:39]
	v_mul_f64 v[21:22], s[44:45], v[38:39]
	global_load_b128 v[13:16], v[17:18], off
	v_fma_f64 v[19:20], s[44:45], v[36:37], -v[19:20]
	v_fma_f64 v[21:22], s[46:47], v[36:37], v[21:22]
	s_waitcnt vmcnt(0)
	s_delay_alu instid0(VALU_DEP_2) | instskip(NEXT) | instid1(VALU_DEP_2)
	v_add_f64 v[13:14], v[13:14], v[19:20]
	v_add_f64 v[15:16], v[15:16], v[21:22]
	global_store_b128 v[17:18], v[13:16], off
.LBB127_61:                             ;   in Loop: Header=BB127_4 Depth=1
	s_or_b32 exec_lo, exec_lo, s5
	s_and_b32 s3, s2, s3
	s_delay_alu instid0(SALU_CYCLE_1)
	s_and_saveexec_b32 s4, s3
	s_cbranch_execz .LBB127_3
; %bb.62:                               ;   in Loop: Header=BB127_4 Depth=1
	v_lshlrev_b64 v[13:14], 4, v[8:9]
	v_mul_f64 v[17:18], s[46:47], v[48:49]
	v_mul_f64 v[19:20], s[44:45], v[48:49]
	s_delay_alu instid0(VALU_DEP_3) | instskip(NEXT) | instid1(VALU_DEP_1)
	v_add_co_u32 v2, s3, v2, v13
	v_add_co_ci_u32_e64 v3, s3, v3, v14, s3
	global_load_b128 v[13:16], v[2:3], off
	v_fma_f64 v[17:18], s[44:45], v[50:51], -v[17:18]
	v_fma_f64 v[19:20], s[46:47], v[50:51], v[19:20]
	s_waitcnt vmcnt(0)
	s_delay_alu instid0(VALU_DEP_2) | instskip(NEXT) | instid1(VALU_DEP_2)
	v_add_f64 v[13:14], v[13:14], v[17:18]
	v_add_f64 v[15:16], v[15:16], v[19:20]
	global_store_b128 v[2:3], v[13:16], off
	s_branch .LBB127_3
.LBB127_63:
	s_nop 0
	s_sendmsg sendmsg(MSG_DEALLOC_VGPRS)
	s_endpgm
	.section	.rodata,"a",@progbits
	.p2align	6, 0x0
	.amdhsa_kernel _ZL30rocblas_trmm_outofplace_kernelI19rocblas_complex_numIdELi32ELi2ELb0ELb1ELb1ELb0ES1_KS1_S1_Ev17rocblas_diagonal_iiT6_lPT7_lllS6_lllPT8_llli
		.amdhsa_group_segment_fixed_size 32768
		.amdhsa_private_segment_fixed_size 0
		.amdhsa_kernarg_size 400
		.amdhsa_user_sgpr_count 13
		.amdhsa_user_sgpr_dispatch_ptr 0
		.amdhsa_user_sgpr_queue_ptr 0
		.amdhsa_user_sgpr_kernarg_segment_ptr 1
		.amdhsa_user_sgpr_dispatch_id 0
		.amdhsa_user_sgpr_private_segment_size 0
		.amdhsa_wavefront_size32 1
		.amdhsa_uses_dynamic_stack 0
		.amdhsa_enable_private_segment 0
		.amdhsa_system_sgpr_workgroup_id_x 1
		.amdhsa_system_sgpr_workgroup_id_y 1
		.amdhsa_system_sgpr_workgroup_id_z 1
		.amdhsa_system_sgpr_workgroup_info 0
		.amdhsa_system_vgpr_workitem_id 1
		.amdhsa_next_free_vgpr 88
		.amdhsa_next_free_sgpr 50
		.amdhsa_reserve_vcc 1
		.amdhsa_float_round_mode_32 0
		.amdhsa_float_round_mode_16_64 0
		.amdhsa_float_denorm_mode_32 3
		.amdhsa_float_denorm_mode_16_64 3
		.amdhsa_dx10_clamp 1
		.amdhsa_ieee_mode 1
		.amdhsa_fp16_overflow 0
		.amdhsa_workgroup_processor_mode 1
		.amdhsa_memory_ordered 1
		.amdhsa_forward_progress 0
		.amdhsa_shared_vgpr_count 0
		.amdhsa_exception_fp_ieee_invalid_op 0
		.amdhsa_exception_fp_denorm_src 0
		.amdhsa_exception_fp_ieee_div_zero 0
		.amdhsa_exception_fp_ieee_overflow 0
		.amdhsa_exception_fp_ieee_underflow 0
		.amdhsa_exception_fp_ieee_inexact 0
		.amdhsa_exception_int_div_zero 0
	.end_amdhsa_kernel
	.section	.text._ZL30rocblas_trmm_outofplace_kernelI19rocblas_complex_numIdELi32ELi2ELb0ELb1ELb1ELb0ES1_KS1_S1_Ev17rocblas_diagonal_iiT6_lPT7_lllS6_lllPT8_llli,"axG",@progbits,_ZL30rocblas_trmm_outofplace_kernelI19rocblas_complex_numIdELi32ELi2ELb0ELb1ELb1ELb0ES1_KS1_S1_Ev17rocblas_diagonal_iiT6_lPT7_lllS6_lllPT8_llli,comdat
.Lfunc_end127:
	.size	_ZL30rocblas_trmm_outofplace_kernelI19rocblas_complex_numIdELi32ELi2ELb0ELb1ELb1ELb0ES1_KS1_S1_Ev17rocblas_diagonal_iiT6_lPT7_lllS6_lllPT8_llli, .Lfunc_end127-_ZL30rocblas_trmm_outofplace_kernelI19rocblas_complex_numIdELi32ELi2ELb0ELb1ELb1ELb0ES1_KS1_S1_Ev17rocblas_diagonal_iiT6_lPT7_lllS6_lllPT8_llli
                                        ; -- End function
	.section	.AMDGPU.csdata,"",@progbits
; Kernel info:
; codeLenInByte = 11528
; NumSgprs: 52
; NumVgprs: 88
; ScratchSize: 0
; MemoryBound: 0
; FloatMode: 240
; IeeeMode: 1
; LDSByteSize: 32768 bytes/workgroup (compile time only)
; SGPRBlocks: 6
; VGPRBlocks: 10
; NumSGPRsForWavesPerEU: 52
; NumVGPRsForWavesPerEU: 88
; Occupancy: 16
; WaveLimiterHint : 0
; COMPUTE_PGM_RSRC2:SCRATCH_EN: 0
; COMPUTE_PGM_RSRC2:USER_SGPR: 13
; COMPUTE_PGM_RSRC2:TRAP_HANDLER: 0
; COMPUTE_PGM_RSRC2:TGID_X_EN: 1
; COMPUTE_PGM_RSRC2:TGID_Y_EN: 1
; COMPUTE_PGM_RSRC2:TGID_Z_EN: 1
; COMPUTE_PGM_RSRC2:TIDIG_COMP_CNT: 1
	.section	.text._ZL30rocblas_trmm_outofplace_kernelI19rocblas_complex_numIdELi32ELi2ELb0ELb0ELb1ELb1EPKS1_S2_S1_Ev17rocblas_diagonal_iiT6_lPT7_lllS7_lllPT8_llli,"axG",@progbits,_ZL30rocblas_trmm_outofplace_kernelI19rocblas_complex_numIdELi32ELi2ELb0ELb0ELb1ELb1EPKS1_S2_S1_Ev17rocblas_diagonal_iiT6_lPT7_lllS7_lllPT8_llli,comdat
	.globl	_ZL30rocblas_trmm_outofplace_kernelI19rocblas_complex_numIdELi32ELi2ELb0ELb0ELb1ELb1EPKS1_S2_S1_Ev17rocblas_diagonal_iiT6_lPT7_lllS7_lllPT8_llli ; -- Begin function _ZL30rocblas_trmm_outofplace_kernelI19rocblas_complex_numIdELi32ELi2ELb0ELb0ELb1ELb1EPKS1_S2_S1_Ev17rocblas_diagonal_iiT6_lPT7_lllS7_lllPT8_llli
	.p2align	8
	.type	_ZL30rocblas_trmm_outofplace_kernelI19rocblas_complex_numIdELi32ELi2ELb0ELb0ELb1ELb1EPKS1_S2_S1_Ev17rocblas_diagonal_iiT6_lPT7_lllS7_lllPT8_llli,@function
_ZL30rocblas_trmm_outofplace_kernelI19rocblas_complex_numIdELi32ELi2ELb0ELb0ELb1ELb1EPKS1_S2_S1_Ev17rocblas_diagonal_iiT6_lPT7_lllS7_lllPT8_llli: ; @_ZL30rocblas_trmm_outofplace_kernelI19rocblas_complex_numIdELi32ELi2ELb0ELb0ELb1ELb1EPKS1_S2_S1_Ev17rocblas_diagonal_iiT6_lPT7_lllS7_lllPT8_llli
; %bb.0:
	s_load_b512 s[16:31], s[0:1], 0x10
	s_waitcnt lgkmcnt(0)
	s_mul_i32 s3, s15, s19
	s_mul_hi_u32 s4, s15, s18
	s_mul_i32 s2, s15, s18
	s_add_i32 s3, s4, s3
	s_delay_alu instid0(SALU_CYCLE_1) | instskip(NEXT) | instid1(SALU_CYCLE_1)
	s_lshl_b64 s[2:3], s[2:3], 4
	s_add_u32 s2, s16, s2
	s_addc_u32 s3, s17, s3
	s_load_b128 s[16:19], s[2:3], 0x0
	s_waitcnt lgkmcnt(0)
	v_cmp_eq_f64_e64 s2, s[16:17], 0
	v_cmp_eq_f64_e64 s3, s[18:19], 0
	s_delay_alu instid0(VALU_DEP_1) | instskip(NEXT) | instid1(SALU_CYCLE_1)
	s_and_b32 s2, s2, s3
	s_and_b32 vcc_lo, exec_lo, s2
	s_cbranch_vccnz .LBB128_63
; %bb.1:
	s_load_b128 s[36:39], s[0:1], 0x0
	s_waitcnt lgkmcnt(0)
	s_add_i32 s2, s38, -1
	s_delay_alu instid0(SALU_CYCLE_1) | instskip(NEXT) | instid1(SALU_CYCLE_1)
	s_ashr_i32 s3, s2, 31
	s_lshr_b32 s3, s3, 27
	s_delay_alu instid0(SALU_CYCLE_1) | instskip(NEXT) | instid1(SALU_CYCLE_1)
	s_add_i32 s2, s2, s3
	s_ashr_i32 s33, s2, 5
	s_delay_alu instid0(SALU_CYCLE_1)
	s_cmp_gt_i32 s14, s33
	s_cbranch_scc1 .LBB128_63
; %bb.2:
	v_and_b32_e32 v58, 0x3ff, v0
	s_clause 0x2
	s_load_b128 s[40:43], s[0:1], 0x70
	s_load_b32 s44, s[0:1], 0x8c
	s_load_b256 s[4:11], s[0:1], 0x50
	s_mul_i32 s3, s15, s27
	v_mad_u64_u32 v[1:2], null, v58, s24, 0
	s_mul_hi_u32 s12, s15, s26
	v_bfe_u32 v59, v0, 10, 10
	s_mul_i32 s2, s15, s26
	s_add_i32 s3, s12, s3
	v_mov_b32_e32 v0, 0
	s_lshl_b64 s[26:27], s[2:3], 4
	s_delay_alu instid0(VALU_DEP_3)
	v_mad_u64_u32 v[3:4], null, v58, s25, v[2:3]
	s_add_u32 s2, s20, s26
	s_addc_u32 s3, s21, s27
	s_lshl_b64 s[34:35], s[22:23], 4
	v_lshlrev_b32_e32 v60, 9, v59
	s_add_u32 s2, s2, s34
	s_addc_u32 s3, s3, s35
	s_delay_alu instid0(VALU_DEP_2)
	v_dual_mov_b32 v2, v3 :: v_dual_lshlrev_b32 v3, 4, v58
	s_waitcnt lgkmcnt(0)
	s_mul_i32 s1, s15, s43
	s_mul_hi_u32 s12, s15, s42
	s_mul_i32 s0, s15, s42
	s_add_i32 s1, s12, s1
	v_add_nc_u32_e32 v63, v60, v3
	s_lshl_b64 s[0:1], s[0:1], 4
	v_lshlrev_b64 v[1:2], 4, v[1:2]
	v_lshl_add_u32 v13, s13, 5, v58
	s_add_u32 s8, s8, s0
	s_addc_u32 s9, s9, s1
	s_lshl_b64 s[0:1], s[10:11], 4
	v_add_nc_u32_e32 v17, 0x100, v3
	s_add_u32 s42, s8, s0
	v_ashrrev_i32_e32 v14, 31, v13
	s_addc_u32 s43, s9, s1
	v_add_co_u32 v4, vcc_lo, s2, v1
	s_cmpk_eq_i32 s36, 0x84
	v_add_co_ci_u32_e32 v5, vcc_lo, s3, v2, vcc_lo
	s_cselect_b32 s36, -1, 0
	s_ashr_i32 s0, s37, 31
	v_sub_co_u32 v1, vcc_lo, s37, v13
	v_sub_co_ci_u32_e32 v2, vcc_lo, s0, v14, vcc_lo
	s_ashr_i32 s39, s38, 31
	s_lshl_b64 s[10:11], s[24:25], 9
	s_lshl_b64 s[12:13], s[4:5], 9
	s_delay_alu instid0(VALU_DEP_1)
	v_cmp_gt_i64_e32 vcc_lo, 1, v[1:2]
	v_cmp_gt_i64_e64 s0, 17, v[1:2]
	v_mad_u64_u32 v[1:2], null, s4, v59, 0
	s_mul_i32 s3, s7, s15
	s_mul_hi_u32 s7, s6, s15
	s_add_u32 s22, s38, -16
	s_addc_u32 s23, s39, -1
	s_add_i32 s7, s7, s3
	s_mul_i32 s6, s6, s15
	s_lshl_b64 s[8:9], s[30:31], 4
	s_lshl_b64 s[6:7], s[6:7], 4
	v_mad_u64_u32 v[15:16], null, s5, v59, v[2:3]
	s_lshl_b32 s15, s44, 5
	v_lshl_add_u32 v16, v59, 4, 0x100
	s_add_u32 s3, s6, s8
	s_addc_u32 s6, s7, s9
	s_add_u32 s3, s28, s3
	s_addc_u32 s8, s29, s6
	v_mad_u64_u32 v[8:9], null, s4, v16, 0
	s_add_u32 s4, s20, s34
	s_addc_u32 s7, s21, s35
	s_add_u32 s6, s4, s26
	s_addc_u32 s7, s7, s27
	v_or_b32_e32 v61, 0x4000, v3
	v_mad_u64_u32 v[10:11], null, s24, v17, s[6:7]
	v_dual_mov_b32 v2, v15 :: v_dual_add_nc_u32 v67, 0x4100, v3
	v_mov_b32_e32 v3, v9
	v_lshlrev_b64 v[14:15], 4, v[13:14]
	v_add_nc_u32_e32 v6, 16, v13
	v_sub_co_u32 v68, s4, 0, v58
	v_mov_b32_e32 v9, v11
	v_mad_u64_u32 v[20:21], null, s5, v16, v[3:4]
	v_add_co_u32 v3, s3, s3, v14
	s_delay_alu instid0(VALU_DEP_3) | instskip(SKIP_2) | instid1(VALU_DEP_4)
	v_mad_u64_u32 v[21:22], null, s25, v17, v[9:10]
	v_add_nc_u32_e32 v62, v61, v60
	v_add_co_ci_u32_e64 v9, s3, s8, v15, s3
	v_add_co_u32 v18, s3, 0x100, v3
	v_lshlrev_b64 v[16:17], 4, v[1:2]
	v_cmp_gt_i32_e64 s1, s37, v13
	v_sub_co_ci_u32_e64 v69, null, 0, 0, s4
	v_lshl_add_u32 v12, s14, 5, v59
	v_add_co_ci_u32_e64 v19, s3, 0, v9, s3
	v_dual_mov_b32 v9, v20 :: v_dual_add_nc_u32 v64, 0x100, v62
	v_mov_b32_e32 v11, v21
	v_add_nc_u32_e32 v65, 0x2000, v62
	v_add_nc_u32_e32 v66, 0x2100, v62
	v_mov_b32_e32 v1, 0x3ff00000
	v_cmp_gt_i32_e64 s2, s37, v6
	v_ashrrev_i32_e32 v7, 31, v6
	s_branch .LBB128_4
.LBB128_3:                              ;   in Loop: Header=BB128_4 Depth=1
	s_or_b32 exec_lo, exec_lo, s4
	v_add_nc_u32_e32 v12, s15, v12
	s_add_i32 s14, s44, s14
	s_delay_alu instid0(SALU_CYCLE_1)
	s_cmp_le_i32 s14, s33
	s_cbranch_scc0 .LBB128_63
.LBB128_4:                              ; =>This Loop Header: Depth=1
                                        ;     Child Loop BB128_7 Depth 2
	s_lshl_b32 s24, s14, 5
	v_mov_b32_e32 v46, 0
	v_dual_mov_b32 v47, 0 :: v_dual_add_nc_u32 v20, s24, v59
	s_delay_alu instid0(VALU_DEP_2) | instskip(SKIP_1) | instid1(VALU_DEP_3)
	v_mov_b32_e32 v42, v46
	v_mov_b32_e32 v44, v46
	v_dual_mov_b32 v38, v46 :: v_dual_mov_b32 v39, v47
	v_dual_mov_b32 v49, v47 :: v_dual_mov_b32 v48, v46
	v_mov_b32_e32 v43, v47
	v_mov_b32_e32 v45, v47
	v_ashrrev_i32_e32 v21, 31, v20
	v_dual_mov_b32 v40, v46 :: v_dual_mov_b32 v41, v47
	v_dual_mov_b32 v53, v47 :: v_dual_mov_b32 v52, v46
	v_dual_mov_b32 v51, v47 :: v_dual_mov_b32 v50, v46
	s_cmp_lt_i32 s14, 0
	s_cbranch_scc1 .LBB128_55
; %bb.5:                                ;   in Loop: Header=BB128_4 Depth=1
	v_ashrrev_i32_e32 v13, 31, v12
	v_add_co_u32 v22, s3, v20, 16
	s_delay_alu instid0(VALU_DEP_1) | instskip(SKIP_1) | instid1(VALU_DEP_1)
	v_add_co_ci_u32_e64 v23, s3, 0, v21, s3
	v_add_co_u32 v24, s3, v68, v12
	v_add_co_ci_u32_e64 v25, s3, v69, v13, s3
	v_dual_mov_b32 v50, 0 :: v_dual_mov_b32 v33, v11
	s_delay_alu instid0(VALU_DEP_3) | instskip(SKIP_1) | instid1(VALU_DEP_4)
	v_add_co_u32 v28, s5, v24, 16
	v_dual_mov_b32 v51, 0 :: v_dual_mov_b32 v32, v10
	v_add_co_ci_u32_e64 v29, s5, 0, v25, s5
	v_add_co_u32 v30, s5, v24, -16
	v_lshlrev_b64 v[26:27], 4, v[12:13]
	v_cmp_le_i64_e64 s4, s[38:39], v[22:23]
	v_cmp_le_i32_e64 s3, s38, v20
	v_add_co_ci_u32_e64 v31, s5, -1, v25, s5
	v_dual_mov_b32 v35, v5 :: v_dual_mov_b32 v34, v4
	v_dual_mov_b32 v37, v19 :: v_dual_mov_b32 v36, v18
	;; [unrolled: 1-line block ×9, first 2 shown]
	s_mov_b64 s[20:21], 0
	s_branch .LBB128_7
.LBB128_6:                              ;   in Loop: Header=BB128_7 Depth=2
	s_or_b32 exec_lo, exec_lo, s5
	s_waitcnt lgkmcnt(0)
	s_waitcnt_vscnt null, 0x0
	s_barrier
	buffer_gl0_inv
	ds_load_b128 v[54:57], v60
	ds_load_b128 v[70:73], v60 offset:16
	ds_load_b128 v[74:77], v60 offset:32
	;; [unrolled: 1-line block ×3, first 2 shown]
	ds_load_b128 v[82:85], v61
	v_add_co_u32 v36, s5, v36, s12
	s_delay_alu instid0(VALU_DEP_1) | instskip(SKIP_1) | instid1(VALU_DEP_1)
	v_add_co_ci_u32_e64 v37, s5, s13, v37, s5
	v_add_co_u32 v34, s5, v34, s10
	v_add_co_ci_u32_e64 v35, s5, s11, v35, s5
	v_add_co_u32 v32, s5, v32, s10
	s_add_u32 s20, s20, 32
	v_add_co_ci_u32_e64 v33, s5, s11, v33, s5
	s_addc_u32 s21, s21, 0
	s_sub_i32 s6, s20, 32
	s_delay_alu instid0(SALU_CYCLE_1) | instskip(SKIP_3) | instid1(VALU_DEP_2)
	s_cmp_ge_i32 s6, s24
	s_waitcnt lgkmcnt(0)
	v_mul_f64 v[2:3], v[56:57], v[84:85]
	v_mul_f64 v[86:87], v[54:55], v[84:85]
	v_fma_f64 v[2:3], v[54:55], v[82:83], -v[2:3]
	s_delay_alu instid0(VALU_DEP_2) | instskip(NEXT) | instid1(VALU_DEP_2)
	v_fma_f64 v[86:87], v[56:57], v[82:83], v[86:87]
	v_add_f64 v[2:3], v[46:47], v[2:3]
	s_delay_alu instid0(VALU_DEP_2) | instskip(SKIP_3) | instid1(VALU_DEP_1)
	v_add_f64 v[86:87], v[48:49], v[86:87]
	ds_load_b128 v[46:49], v67
	s_waitcnt lgkmcnt(0)
	v_mul_f64 v[88:89], v[56:57], v[48:49]
	v_fma_f64 v[88:89], v[54:55], v[46:47], -v[88:89]
	v_mul_f64 v[54:55], v[54:55], v[48:49]
	s_delay_alu instid0(VALU_DEP_1) | instskip(NEXT) | instid1(VALU_DEP_3)
	v_fma_f64 v[54:55], v[56:57], v[46:47], v[54:55]
	v_add_f64 v[56:57], v[42:43], v[88:89]
	s_delay_alu instid0(VALU_DEP_2) | instskip(SKIP_4) | instid1(VALU_DEP_2)
	v_add_f64 v[54:55], v[44:45], v[54:55]
	ds_load_b128 v[42:45], v60 offset:8192
	s_waitcnt lgkmcnt(0)
	v_mul_f64 v[88:89], v[44:45], v[84:85]
	v_mul_f64 v[84:85], v[42:43], v[84:85]
	v_fma_f64 v[88:89], v[42:43], v[82:83], -v[88:89]
	s_delay_alu instid0(VALU_DEP_2) | instskip(NEXT) | instid1(VALU_DEP_2)
	v_fma_f64 v[82:83], v[44:45], v[82:83], v[84:85]
	v_add_f64 v[84:85], v[38:39], v[88:89]
	s_delay_alu instid0(VALU_DEP_2) | instskip(SKIP_2) | instid1(VALU_DEP_2)
	v_add_f64 v[82:83], v[40:41], v[82:83]
	v_mul_f64 v[38:39], v[44:45], v[48:49]
	v_mul_f64 v[40:41], v[42:43], v[48:49]
	v_fma_f64 v[38:39], v[42:43], v[46:47], -v[38:39]
	s_delay_alu instid0(VALU_DEP_2) | instskip(NEXT) | instid1(VALU_DEP_2)
	v_fma_f64 v[40:41], v[44:45], v[46:47], v[40:41]
	v_add_f64 v[52:53], v[52:53], v[38:39]
	s_delay_alu instid0(VALU_DEP_2) | instskip(SKIP_4) | instid1(VALU_DEP_2)
	v_add_f64 v[50:51], v[50:51], v[40:41]
	ds_load_b128 v[38:41], v61 offset:512
	s_waitcnt lgkmcnt(0)
	v_mul_f64 v[42:43], v[72:73], v[40:41]
	v_mul_f64 v[44:45], v[70:71], v[40:41]
	v_fma_f64 v[42:43], v[70:71], v[38:39], -v[42:43]
	s_delay_alu instid0(VALU_DEP_2) | instskip(NEXT) | instid1(VALU_DEP_2)
	v_fma_f64 v[44:45], v[72:73], v[38:39], v[44:45]
	v_add_f64 v[2:3], v[2:3], v[42:43]
	s_delay_alu instid0(VALU_DEP_2) | instskip(SKIP_4) | instid1(VALU_DEP_2)
	v_add_f64 v[86:87], v[86:87], v[44:45]
	ds_load_b128 v[42:45], v67 offset:512
	s_waitcnt lgkmcnt(0)
	;; [unrolled: 10-line block ×3, first 2 shown]
	v_mul_f64 v[70:71], v[48:49], v[40:41]
	v_mul_f64 v[40:41], v[46:47], v[40:41]
	v_fma_f64 v[70:71], v[46:47], v[38:39], -v[70:71]
	s_delay_alu instid0(VALU_DEP_2) | instskip(SKIP_1) | instid1(VALU_DEP_3)
	v_fma_f64 v[38:39], v[48:49], v[38:39], v[40:41]
	v_mul_f64 v[40:41], v[46:47], v[44:45]
	v_add_f64 v[70:71], v[84:85], v[70:71]
	s_delay_alu instid0(VALU_DEP_3) | instskip(SKIP_1) | instid1(VALU_DEP_4)
	v_add_f64 v[72:73], v[82:83], v[38:39]
	v_mul_f64 v[38:39], v[48:49], v[44:45]
	v_fma_f64 v[40:41], v[48:49], v[42:43], v[40:41]
	s_delay_alu instid0(VALU_DEP_2) | instskip(NEXT) | instid1(VALU_DEP_2)
	v_fma_f64 v[38:39], v[46:47], v[42:43], -v[38:39]
	v_add_f64 v[50:51], v[50:51], v[40:41]
	s_delay_alu instid0(VALU_DEP_2) | instskip(SKIP_4) | instid1(VALU_DEP_2)
	v_add_f64 v[52:53], v[52:53], v[38:39]
	ds_load_b128 v[38:41], v61 offset:1024
	s_waitcnt lgkmcnt(0)
	v_mul_f64 v[42:43], v[76:77], v[40:41]
	v_mul_f64 v[44:45], v[74:75], v[40:41]
	v_fma_f64 v[42:43], v[74:75], v[38:39], -v[42:43]
	s_delay_alu instid0(VALU_DEP_2) | instskip(NEXT) | instid1(VALU_DEP_2)
	v_fma_f64 v[44:45], v[76:77], v[38:39], v[44:45]
	v_add_f64 v[2:3], v[2:3], v[42:43]
	s_delay_alu instid0(VALU_DEP_2) | instskip(SKIP_4) | instid1(VALU_DEP_2)
	v_add_f64 v[82:83], v[86:87], v[44:45]
	ds_load_b128 v[42:45], v67 offset:1024
	s_waitcnt lgkmcnt(0)
	v_mul_f64 v[46:47], v[76:77], v[44:45]
	v_mul_f64 v[48:49], v[74:75], v[44:45]
	v_fma_f64 v[46:47], v[74:75], v[42:43], -v[46:47]
	s_delay_alu instid0(VALU_DEP_2) | instskip(NEXT) | instid1(VALU_DEP_2)
	v_fma_f64 v[48:49], v[76:77], v[42:43], v[48:49]
	v_add_f64 v[56:57], v[56:57], v[46:47]
	s_delay_alu instid0(VALU_DEP_2) | instskip(SKIP_4) | instid1(VALU_DEP_2)
	v_add_f64 v[54:55], v[54:55], v[48:49]
	ds_load_b128 v[46:49], v60 offset:8224
	s_waitcnt lgkmcnt(0)
	v_mul_f64 v[74:75], v[48:49], v[40:41]
	v_mul_f64 v[40:41], v[46:47], v[40:41]
	v_fma_f64 v[74:75], v[46:47], v[38:39], -v[74:75]
	s_delay_alu instid0(VALU_DEP_2) | instskip(SKIP_1) | instid1(VALU_DEP_3)
	v_fma_f64 v[38:39], v[48:49], v[38:39], v[40:41]
	v_mul_f64 v[40:41], v[46:47], v[44:45]
	v_add_f64 v[70:71], v[70:71], v[74:75]
	s_delay_alu instid0(VALU_DEP_3) | instskip(SKIP_1) | instid1(VALU_DEP_4)
	v_add_f64 v[72:73], v[72:73], v[38:39]
	v_mul_f64 v[38:39], v[48:49], v[44:45]
	v_fma_f64 v[40:41], v[48:49], v[42:43], v[40:41]
	s_delay_alu instid0(VALU_DEP_2) | instskip(NEXT) | instid1(VALU_DEP_2)
	v_fma_f64 v[38:39], v[46:47], v[42:43], -v[38:39]
	v_add_f64 v[50:51], v[50:51], v[40:41]
	s_delay_alu instid0(VALU_DEP_2) | instskip(SKIP_4) | instid1(VALU_DEP_2)
	v_add_f64 v[52:53], v[52:53], v[38:39]
	ds_load_b128 v[38:41], v61 offset:1536
	s_waitcnt lgkmcnt(0)
	v_mul_f64 v[42:43], v[80:81], v[40:41]
	v_mul_f64 v[44:45], v[78:79], v[40:41]
	v_fma_f64 v[42:43], v[78:79], v[38:39], -v[42:43]
	s_delay_alu instid0(VALU_DEP_2) | instskip(NEXT) | instid1(VALU_DEP_2)
	v_fma_f64 v[44:45], v[80:81], v[38:39], v[44:45]
	v_add_f64 v[2:3], v[2:3], v[42:43]
	s_delay_alu instid0(VALU_DEP_2) | instskip(SKIP_4) | instid1(VALU_DEP_2)
	v_add_f64 v[74:75], v[82:83], v[44:45]
	ds_load_b128 v[42:45], v67 offset:1536
	s_waitcnt lgkmcnt(0)
	v_mul_f64 v[46:47], v[80:81], v[44:45]
	v_mul_f64 v[48:49], v[78:79], v[44:45]
	v_fma_f64 v[46:47], v[78:79], v[42:43], -v[46:47]
	s_delay_alu instid0(VALU_DEP_2) | instskip(NEXT) | instid1(VALU_DEP_2)
	v_fma_f64 v[48:49], v[80:81], v[42:43], v[48:49]
	v_add_f64 v[56:57], v[56:57], v[46:47]
	s_delay_alu instid0(VALU_DEP_2) | instskip(SKIP_4) | instid1(VALU_DEP_2)
	v_add_f64 v[54:55], v[54:55], v[48:49]
	ds_load_b128 v[46:49], v60 offset:8240
	s_waitcnt lgkmcnt(0)
	v_mul_f64 v[76:77], v[48:49], v[40:41]
	v_mul_f64 v[40:41], v[46:47], v[40:41]
	v_fma_f64 v[76:77], v[46:47], v[38:39], -v[76:77]
	s_delay_alu instid0(VALU_DEP_2) | instskip(SKIP_1) | instid1(VALU_DEP_3)
	v_fma_f64 v[38:39], v[48:49], v[38:39], v[40:41]
	v_mul_f64 v[40:41], v[46:47], v[44:45]
	v_add_f64 v[70:71], v[70:71], v[76:77]
	s_delay_alu instid0(VALU_DEP_3) | instskip(SKIP_1) | instid1(VALU_DEP_4)
	v_add_f64 v[72:73], v[72:73], v[38:39]
	v_mul_f64 v[38:39], v[48:49], v[44:45]
	v_fma_f64 v[40:41], v[48:49], v[42:43], v[40:41]
	s_delay_alu instid0(VALU_DEP_2) | instskip(NEXT) | instid1(VALU_DEP_2)
	v_fma_f64 v[38:39], v[46:47], v[42:43], -v[38:39]
	v_add_f64 v[50:51], v[50:51], v[40:41]
	s_delay_alu instid0(VALU_DEP_2)
	v_add_f64 v[52:53], v[52:53], v[38:39]
	ds_load_b128 v[38:41], v60 offset:64
	ds_load_b128 v[42:45], v61 offset:2048
	s_waitcnt lgkmcnt(0)
	v_mul_f64 v[46:47], v[40:41], v[44:45]
	v_mul_f64 v[48:49], v[38:39], v[44:45]
	s_delay_alu instid0(VALU_DEP_2) | instskip(NEXT) | instid1(VALU_DEP_2)
	v_fma_f64 v[46:47], v[38:39], v[42:43], -v[46:47]
	v_fma_f64 v[48:49], v[40:41], v[42:43], v[48:49]
	s_delay_alu instid0(VALU_DEP_2) | instskip(NEXT) | instid1(VALU_DEP_2)
	v_add_f64 v[2:3], v[2:3], v[46:47]
	v_add_f64 v[74:75], v[74:75], v[48:49]
	ds_load_b128 v[46:49], v67 offset:2048
	s_waitcnt lgkmcnt(0)
	v_mul_f64 v[76:77], v[40:41], v[48:49]
	s_delay_alu instid0(VALU_DEP_1) | instskip(SKIP_1) | instid1(VALU_DEP_2)
	v_fma_f64 v[76:77], v[38:39], v[46:47], -v[76:77]
	v_mul_f64 v[38:39], v[38:39], v[48:49]
	v_add_f64 v[56:57], v[56:57], v[76:77]
	s_delay_alu instid0(VALU_DEP_2) | instskip(NEXT) | instid1(VALU_DEP_1)
	v_fma_f64 v[38:39], v[40:41], v[46:47], v[38:39]
	v_add_f64 v[54:55], v[54:55], v[38:39]
	ds_load_b128 v[38:41], v60 offset:8256
	s_waitcnt lgkmcnt(0)
	v_mul_f64 v[76:77], v[40:41], v[44:45]
	v_mul_f64 v[44:45], v[38:39], v[44:45]
	s_delay_alu instid0(VALU_DEP_2) | instskip(NEXT) | instid1(VALU_DEP_2)
	v_fma_f64 v[76:77], v[38:39], v[42:43], -v[76:77]
	v_fma_f64 v[42:43], v[40:41], v[42:43], v[44:45]
	s_delay_alu instid0(VALU_DEP_2) | instskip(NEXT) | instid1(VALU_DEP_2)
	v_add_f64 v[70:71], v[70:71], v[76:77]
	v_add_f64 v[72:73], v[72:73], v[42:43]
	v_mul_f64 v[42:43], v[40:41], v[48:49]
	s_delay_alu instid0(VALU_DEP_1) | instskip(SKIP_1) | instid1(VALU_DEP_2)
	v_fma_f64 v[42:43], v[38:39], v[46:47], -v[42:43]
	v_mul_f64 v[38:39], v[38:39], v[48:49]
	v_add_f64 v[52:53], v[52:53], v[42:43]
	s_delay_alu instid0(VALU_DEP_2) | instskip(NEXT) | instid1(VALU_DEP_1)
	v_fma_f64 v[38:39], v[40:41], v[46:47], v[38:39]
	v_add_f64 v[50:51], v[50:51], v[38:39]
	ds_load_b128 v[38:41], v60 offset:80
	ds_load_b128 v[42:45], v61 offset:2560
	s_waitcnt lgkmcnt(0)
	v_mul_f64 v[46:47], v[40:41], v[44:45]
	v_mul_f64 v[48:49], v[38:39], v[44:45]
	s_delay_alu instid0(VALU_DEP_2) | instskip(NEXT) | instid1(VALU_DEP_2)
	v_fma_f64 v[46:47], v[38:39], v[42:43], -v[46:47]
	v_fma_f64 v[48:49], v[40:41], v[42:43], v[48:49]
	s_delay_alu instid0(VALU_DEP_2) | instskip(NEXT) | instid1(VALU_DEP_2)
	v_add_f64 v[2:3], v[2:3], v[46:47]
	v_add_f64 v[74:75], v[74:75], v[48:49]
	ds_load_b128 v[46:49], v67 offset:2560
	s_waitcnt lgkmcnt(0)
	v_mul_f64 v[76:77], v[40:41], v[48:49]
	s_delay_alu instid0(VALU_DEP_1) | instskip(SKIP_1) | instid1(VALU_DEP_2)
	v_fma_f64 v[76:77], v[38:39], v[46:47], -v[76:77]
	v_mul_f64 v[38:39], v[38:39], v[48:49]
	v_add_f64 v[56:57], v[56:57], v[76:77]
	s_delay_alu instid0(VALU_DEP_2) | instskip(NEXT) | instid1(VALU_DEP_1)
	v_fma_f64 v[38:39], v[40:41], v[46:47], v[38:39]
	v_add_f64 v[54:55], v[54:55], v[38:39]
	ds_load_b128 v[38:41], v60 offset:8272
	s_waitcnt lgkmcnt(0)
	v_mul_f64 v[76:77], v[40:41], v[44:45]
	v_mul_f64 v[44:45], v[38:39], v[44:45]
	s_delay_alu instid0(VALU_DEP_2) | instskip(NEXT) | instid1(VALU_DEP_2)
	v_fma_f64 v[76:77], v[38:39], v[42:43], -v[76:77]
	v_fma_f64 v[42:43], v[40:41], v[42:43], v[44:45]
	s_delay_alu instid0(VALU_DEP_2) | instskip(NEXT) | instid1(VALU_DEP_2)
	v_add_f64 v[70:71], v[70:71], v[76:77]
	v_add_f64 v[72:73], v[72:73], v[42:43]
	v_mul_f64 v[42:43], v[40:41], v[48:49]
	s_delay_alu instid0(VALU_DEP_1) | instskip(SKIP_1) | instid1(VALU_DEP_2)
	v_fma_f64 v[42:43], v[38:39], v[46:47], -v[42:43]
	v_mul_f64 v[38:39], v[38:39], v[48:49]
	v_add_f64 v[52:53], v[52:53], v[42:43]
	s_delay_alu instid0(VALU_DEP_2) | instskip(NEXT) | instid1(VALU_DEP_1)
	v_fma_f64 v[38:39], v[40:41], v[46:47], v[38:39]
	;; [unrolled: 39-line block ×26, first 2 shown]
	v_add_f64 v[50:51], v[50:51], v[38:39]
	ds_load_b128 v[38:41], v60 offset:480
	ds_load_b128 v[42:45], v61 offset:15360
	s_waitcnt lgkmcnt(0)
	v_mul_f64 v[46:47], v[40:41], v[44:45]
	v_mul_f64 v[48:49], v[38:39], v[44:45]
	s_delay_alu instid0(VALU_DEP_2) | instskip(NEXT) | instid1(VALU_DEP_2)
	v_fma_f64 v[46:47], v[38:39], v[42:43], -v[46:47]
	v_fma_f64 v[48:49], v[40:41], v[42:43], v[48:49]
	s_delay_alu instid0(VALU_DEP_2) | instskip(NEXT) | instid1(VALU_DEP_2)
	v_add_f64 v[76:77], v[2:3], v[46:47]
	v_add_f64 v[74:75], v[74:75], v[48:49]
	ds_load_b128 v[46:49], v67 offset:15360
	s_waitcnt lgkmcnt(0)
	v_mul_f64 v[2:3], v[40:41], v[48:49]
	s_delay_alu instid0(VALU_DEP_1) | instskip(SKIP_1) | instid1(VALU_DEP_2)
	v_fma_f64 v[2:3], v[38:39], v[46:47], -v[2:3]
	v_mul_f64 v[38:39], v[38:39], v[48:49]
	v_add_f64 v[56:57], v[56:57], v[2:3]
	s_delay_alu instid0(VALU_DEP_2) | instskip(NEXT) | instid1(VALU_DEP_1)
	v_fma_f64 v[38:39], v[40:41], v[46:47], v[38:39]
	v_add_f64 v[78:79], v[54:55], v[38:39]
	ds_load_b128 v[38:41], v60 offset:8672
	s_waitcnt lgkmcnt(0)
	v_mul_f64 v[2:3], v[40:41], v[44:45]
	v_mul_f64 v[44:45], v[38:39], v[44:45]
	s_delay_alu instid0(VALU_DEP_2) | instskip(NEXT) | instid1(VALU_DEP_2)
	v_fma_f64 v[2:3], v[38:39], v[42:43], -v[2:3]
	v_fma_f64 v[42:43], v[40:41], v[42:43], v[44:45]
	s_delay_alu instid0(VALU_DEP_2) | instskip(SKIP_1) | instid1(VALU_DEP_3)
	v_add_f64 v[80:81], v[70:71], v[2:3]
	v_mul_f64 v[2:3], v[40:41], v[48:49]
	v_add_f64 v[82:83], v[72:73], v[42:43]
	s_delay_alu instid0(VALU_DEP_2) | instskip(SKIP_1) | instid1(VALU_DEP_2)
	v_fma_f64 v[2:3], v[38:39], v[46:47], -v[2:3]
	v_mul_f64 v[38:39], v[38:39], v[48:49]
	v_add_f64 v[2:3], v[52:53], v[2:3]
	s_delay_alu instid0(VALU_DEP_2) | instskip(NEXT) | instid1(VALU_DEP_1)
	v_fma_f64 v[38:39], v[40:41], v[46:47], v[38:39]
	v_add_f64 v[50:51], v[50:51], v[38:39]
	ds_load_b128 v[38:41], v60 offset:496
	ds_load_b128 v[52:55], v61 offset:15872
	;; [unrolled: 1-line block ×3, first 2 shown]
	s_waitcnt lgkmcnt(1)
	v_mul_f64 v[42:43], v[40:41], v[54:55]
	v_mul_f64 v[44:45], v[38:39], v[54:55]
	s_delay_alu instid0(VALU_DEP_2) | instskip(NEXT) | instid1(VALU_DEP_2)
	v_fma_f64 v[42:43], v[38:39], v[52:53], -v[42:43]
	v_fma_f64 v[44:45], v[40:41], v[52:53], v[44:45]
	s_delay_alu instid0(VALU_DEP_2) | instskip(NEXT) | instid1(VALU_DEP_2)
	v_add_f64 v[46:47], v[76:77], v[42:43]
	v_add_f64 v[48:49], v[74:75], v[44:45]
	ds_load_b128 v[74:77], v60 offset:8688
	s_waitcnt lgkmcnt(1)
	v_mul_f64 v[42:43], v[40:41], v[72:73]
	s_waitcnt lgkmcnt(0)
	s_barrier
	buffer_gl0_inv
	v_fma_f64 v[42:43], v[38:39], v[70:71], -v[42:43]
	v_mul_f64 v[38:39], v[38:39], v[72:73]
	s_delay_alu instid0(VALU_DEP_2) | instskip(NEXT) | instid1(VALU_DEP_2)
	v_add_f64 v[42:43], v[56:57], v[42:43]
	v_fma_f64 v[38:39], v[40:41], v[70:71], v[38:39]
	v_mul_f64 v[40:41], v[74:75], v[54:55]
	s_delay_alu instid0(VALU_DEP_2) | instskip(SKIP_1) | instid1(VALU_DEP_3)
	v_add_f64 v[44:45], v[78:79], v[38:39]
	v_mul_f64 v[38:39], v[76:77], v[54:55]
	v_fma_f64 v[40:41], v[76:77], v[52:53], v[40:41]
	v_mul_f64 v[54:55], v[74:75], v[72:73]
	s_delay_alu instid0(VALU_DEP_3) | instskip(SKIP_1) | instid1(VALU_DEP_3)
	v_fma_f64 v[38:39], v[74:75], v[52:53], -v[38:39]
	v_mul_f64 v[52:53], v[76:77], v[72:73]
	v_fma_f64 v[54:55], v[76:77], v[70:71], v[54:55]
	v_add_f64 v[40:41], v[82:83], v[40:41]
	s_delay_alu instid0(VALU_DEP_4) | instskip(NEXT) | instid1(VALU_DEP_4)
	v_add_f64 v[38:39], v[80:81], v[38:39]
	v_fma_f64 v[52:53], v[74:75], v[70:71], -v[52:53]
	s_delay_alu instid0(VALU_DEP_4) | instskip(NEXT) | instid1(VALU_DEP_2)
	v_add_f64 v[50:51], v[50:51], v[54:55]
	v_add_f64 v[52:53], v[2:3], v[52:53]
	s_cbranch_scc1 .LBB128_55
.LBB128_7:                              ;   Parent Loop BB128_4 Depth=1
                                        ; =>  This Inner Loop Header: Depth=2
	v_add_co_u32 v54, s5, v58, s20
	s_delay_alu instid0(VALU_DEP_1) | instskip(SKIP_1) | instid1(VALU_DEP_2)
	v_add_co_ci_u32_e64 v55, null, 0, s21, s5
	v_cmp_eq_u64_e64 s6, s[20:21], v[24:25]
	v_cmp_gt_i64_e64 s5, v[54:55], v[20:21]
	s_delay_alu instid0(VALU_DEP_2) | instskip(SKIP_1) | instid1(VALU_DEP_2)
	s_and_b32 s26, s36, s6
	v_cmp_le_i64_e64 s6, s[38:39], v[54:55]
	s_or_b32 s7, s3, s5
	s_delay_alu instid0(SALU_CYCLE_1) | instskip(SKIP_1) | instid1(VALU_DEP_1)
	s_or_b32 s8, s7, s26
	v_add_co_u32 v56, s7, v34, v26
	v_add_co_ci_u32_e64 v57, s7, v35, v27, s7
	s_delay_alu instid0(VALU_DEP_3) | instskip(NEXT) | instid1(SALU_CYCLE_1)
	s_or_b32 s7, s6, s8
	s_xor_b32 s7, s7, -1
	s_delay_alu instid0(SALU_CYCLE_1) | instskip(NEXT) | instid1(SALU_CYCLE_1)
	s_and_saveexec_b32 s8, s7
	s_xor_b32 s7, exec_lo, s8
	s_cbranch_execz .LBB128_9
; %bb.8:                                ;   in Loop: Header=BB128_7 Depth=2
	global_load_b128 v[70:73], v[56:57], off
	s_waitcnt vmcnt(0)
	v_xor_b32_e32 v73, 0x80000000, v73
	ds_store_b128 v63, v[70:73]
.LBB128_9:                              ;   in Loop: Header=BB128_7 Depth=2
	s_or_saveexec_b32 s7, s7
	s_xor_b32 s25, s26, -1
	s_xor_b32 exec_lo, exec_lo, s7
	s_cbranch_execz .LBB128_15
; %bb.10:                               ;   in Loop: Header=BB128_7 Depth=2
	s_and_saveexec_b32 s8, s25
	s_delay_alu instid0(SALU_CYCLE_1)
	s_xor_b32 s8, exec_lo, s8
	s_cbranch_execz .LBB128_12
; %bb.11:                               ;   in Loop: Header=BB128_7 Depth=2
	v_mov_b32_e32 v70, v0
	v_mov_b32_e32 v71, v0
	;; [unrolled: 1-line block ×4, first 2 shown]
	ds_store_b128 v63, v[70:73]
.LBB128_12:                             ;   in Loop: Header=BB128_7 Depth=2
	s_and_not1_saveexec_b32 s8, s8
	s_cbranch_execz .LBB128_14
; %bb.13:                               ;   in Loop: Header=BB128_7 Depth=2
	v_mov_b32_e32 v2, v0
	v_mov_b32_e32 v3, v0
	ds_store_b128 v63, v[0:3]
.LBB128_14:                             ;   in Loop: Header=BB128_7 Depth=2
	s_or_b32 exec_lo, exec_lo, s8
.LBB128_15:                             ;   in Loop: Header=BB128_7 Depth=2
	s_delay_alu instid0(SALU_CYCLE_1) | instskip(SKIP_1) | instid1(VALU_DEP_1)
	s_or_b32 exec_lo, exec_lo, s7
	v_add_co_u32 v2, s7, v54, 16
	v_add_co_ci_u32_e64 v3, s7, 0, v55, s7
	v_cmp_eq_u64_e64 s8, s[20:21], v[30:31]
	s_delay_alu instid0(VALU_DEP_2) | instskip(SKIP_1) | instid1(VALU_DEP_3)
	v_cmp_gt_i64_e64 s9, v[2:3], v[20:21]
	v_cmp_le_i64_e64 s7, s[38:39], v[2:3]
	s_and_b32 s27, s36, s8
	s_delay_alu instid0(VALU_DEP_2) | instskip(NEXT) | instid1(SALU_CYCLE_1)
	s_or_b32 s8, s3, s9
	s_or_b32 s8, s8, s27
	s_delay_alu instid0(VALU_DEP_1) | instid1(SALU_CYCLE_1)
	s_or_b32 s8, s7, s8
	s_delay_alu instid0(SALU_CYCLE_1) | instskip(NEXT) | instid1(SALU_CYCLE_1)
	s_xor_b32 s8, s8, -1
	s_and_saveexec_b32 s9, s8
	s_delay_alu instid0(SALU_CYCLE_1)
	s_xor_b32 s9, exec_lo, s9
	s_cbranch_execz .LBB128_17
; %bb.16:                               ;   in Loop: Header=BB128_7 Depth=2
	v_add_co_u32 v2, s8, v32, v26
	s_delay_alu instid0(VALU_DEP_1)
	v_add_co_ci_u32_e64 v3, s8, v33, v27, s8
	global_load_b128 v[70:73], v[2:3], off
	s_waitcnt vmcnt(0)
	v_xor_b32_e32 v73, 0x80000000, v73
	ds_store_b128 v63, v[70:73] offset:256
.LBB128_17:                             ;   in Loop: Header=BB128_7 Depth=2
	s_and_not1_saveexec_b32 s8, s9
	s_cbranch_execz .LBB128_23
; %bb.18:                               ;   in Loop: Header=BB128_7 Depth=2
	s_xor_b32 s9, s27, -1
	s_delay_alu instid0(SALU_CYCLE_1) | instskip(NEXT) | instid1(SALU_CYCLE_1)
	s_and_saveexec_b32 s27, s9
	s_xor_b32 s9, exec_lo, s27
	s_cbranch_execz .LBB128_20
; %bb.19:                               ;   in Loop: Header=BB128_7 Depth=2
	v_mov_b32_e32 v70, v0
	v_mov_b32_e32 v71, v0
	;; [unrolled: 1-line block ×4, first 2 shown]
	ds_store_b128 v63, v[70:73] offset:256
.LBB128_20:                             ;   in Loop: Header=BB128_7 Depth=2
	s_and_not1_saveexec_b32 s9, s9
	s_cbranch_execz .LBB128_22
; %bb.21:                               ;   in Loop: Header=BB128_7 Depth=2
	v_mov_b32_e32 v2, v0
	v_mov_b32_e32 v3, v0
	ds_store_b128 v63, v[0:3] offset:256
.LBB128_22:                             ;   in Loop: Header=BB128_7 Depth=2
	s_or_b32 exec_lo, exec_lo, s9
.LBB128_23:                             ;   in Loop: Header=BB128_7 Depth=2
	s_delay_alu instid0(SALU_CYCLE_1) | instskip(SKIP_2) | instid1(VALU_DEP_2)
	s_or_b32 exec_lo, exec_lo, s8
	v_cmp_eq_u64_e64 s8, s[20:21], v[28:29]
	v_cmp_gt_i64_e64 s9, v[54:55], v[22:23]
	s_and_b32 s8, s36, s8
	s_delay_alu instid0(VALU_DEP_1) | instskip(NEXT) | instid1(SALU_CYCLE_1)
	s_or_b32 s9, s4, s9
	s_or_b32 s9, s9, s8
	s_delay_alu instid0(SALU_CYCLE_1) | instskip(NEXT) | instid1(SALU_CYCLE_1)
	s_or_b32 s6, s6, s9
	s_xor_b32 s6, s6, -1
	s_delay_alu instid0(SALU_CYCLE_1) | instskip(NEXT) | instid1(SALU_CYCLE_1)
	s_and_saveexec_b32 s9, s6
	s_xor_b32 s6, exec_lo, s9
	s_cbranch_execz .LBB128_25
; %bb.24:                               ;   in Loop: Header=BB128_7 Depth=2
	global_load_b128 v[54:57], v[56:57], off offset:256
	s_waitcnt vmcnt(0)
	v_xor_b32_e32 v57, 0x80000000, v57
	ds_store_b128 v63, v[54:57] offset:8192
.LBB128_25:                             ;   in Loop: Header=BB128_7 Depth=2
	s_and_not1_saveexec_b32 s6, s6
	s_cbranch_execz .LBB128_31
; %bb.26:                               ;   in Loop: Header=BB128_7 Depth=2
	s_xor_b32 s8, s8, -1
	s_delay_alu instid0(SALU_CYCLE_1) | instskip(NEXT) | instid1(SALU_CYCLE_1)
	s_and_saveexec_b32 s9, s8
	s_xor_b32 s8, exec_lo, s9
	s_cbranch_execz .LBB128_28
; %bb.27:                               ;   in Loop: Header=BB128_7 Depth=2
	v_mov_b32_e32 v54, v0
	v_mov_b32_e32 v55, v0
	;; [unrolled: 1-line block ×4, first 2 shown]
	ds_store_b128 v63, v[54:57] offset:8192
.LBB128_28:                             ;   in Loop: Header=BB128_7 Depth=2
	s_and_not1_saveexec_b32 s8, s8
	s_cbranch_execz .LBB128_30
; %bb.29:                               ;   in Loop: Header=BB128_7 Depth=2
	v_mov_b32_e32 v2, v0
	v_mov_b32_e32 v3, v0
	ds_store_b128 v63, v[0:3] offset:8192
.LBB128_30:                             ;   in Loop: Header=BB128_7 Depth=2
	s_or_b32 exec_lo, exec_lo, s8
.LBB128_31:                             ;   in Loop: Header=BB128_7 Depth=2
	s_delay_alu instid0(SALU_CYCLE_1) | instskip(SKIP_1) | instid1(SALU_CYCLE_1)
	s_or_b32 exec_lo, exec_lo, s6
	s_or_b32 s5, s4, s5
	s_or_b32 s5, s5, s26
	s_delay_alu instid0(SALU_CYCLE_1) | instskip(NEXT) | instid1(SALU_CYCLE_1)
	s_or_b32 s5, s7, s5
	s_xor_b32 s5, s5, -1
	s_delay_alu instid0(SALU_CYCLE_1) | instskip(NEXT) | instid1(SALU_CYCLE_1)
	s_and_saveexec_b32 s6, s5
	s_xor_b32 s6, exec_lo, s6
	s_cbranch_execz .LBB128_33
; %bb.32:                               ;   in Loop: Header=BB128_7 Depth=2
	v_add_co_u32 v2, s5, v32, v26
	s_delay_alu instid0(VALU_DEP_1)
	v_add_co_ci_u32_e64 v3, s5, v33, v27, s5
	global_load_b128 v[54:57], v[2:3], off offset:256
	s_waitcnt vmcnt(0)
	v_xor_b32_e32 v57, 0x80000000, v57
	ds_store_b128 v63, v[54:57] offset:8448
.LBB128_33:                             ;   in Loop: Header=BB128_7 Depth=2
	s_and_not1_saveexec_b32 s5, s6
	s_cbranch_execz .LBB128_39
; %bb.34:                               ;   in Loop: Header=BB128_7 Depth=2
	s_and_saveexec_b32 s6, s25
	s_delay_alu instid0(SALU_CYCLE_1)
	s_xor_b32 s6, exec_lo, s6
	s_cbranch_execz .LBB128_36
; %bb.35:                               ;   in Loop: Header=BB128_7 Depth=2
	v_mov_b32_e32 v54, v0
	v_mov_b32_e32 v55, v0
	;; [unrolled: 1-line block ×4, first 2 shown]
	ds_store_b128 v63, v[54:57] offset:8448
.LBB128_36:                             ;   in Loop: Header=BB128_7 Depth=2
	s_and_not1_saveexec_b32 s6, s6
	s_cbranch_execz .LBB128_38
; %bb.37:                               ;   in Loop: Header=BB128_7 Depth=2
	v_mov_b32_e32 v2, v0
	v_mov_b32_e32 v3, v0
	ds_store_b128 v63, v[0:3] offset:8448
.LBB128_38:                             ;   in Loop: Header=BB128_7 Depth=2
	s_or_b32 exec_lo, exec_lo, s6
.LBB128_39:                             ;   in Loop: Header=BB128_7 Depth=2
	s_delay_alu instid0(SALU_CYCLE_1) | instskip(SKIP_1) | instid1(VALU_DEP_1)
	s_or_b32 exec_lo, exec_lo, s5
	v_add_co_u32 v2, s5, v59, s20
	v_add_co_ci_u32_e64 v3, null, 0, s21, s5
	v_add_co_u32 v54, s6, v36, v16
	s_delay_alu instid0(VALU_DEP_1) | instskip(NEXT) | instid1(VALU_DEP_3)
	v_add_co_ci_u32_e64 v55, s6, v37, v17, s6
	v_cmp_le_i64_e64 s5, s[38:39], v[2:3]
	s_delay_alu instid0(VALU_DEP_1) | instskip(NEXT) | instid1(SALU_CYCLE_1)
	s_or_b32 s6, s5, vcc_lo
	s_xor_b32 s6, s6, -1
	s_delay_alu instid0(SALU_CYCLE_1) | instskip(NEXT) | instid1(SALU_CYCLE_1)
	s_and_saveexec_b32 s7, s6
	s_xor_b32 s6, exec_lo, s7
	s_cbranch_execz .LBB128_41
; %bb.40:                               ;   in Loop: Header=BB128_7 Depth=2
	global_load_b128 v[70:73], v[54:55], off offset:-256
	s_waitcnt vmcnt(0)
	ds_store_2addr_b64 v62, v[70:71], v[72:73] offset1:1
.LBB128_41:                             ;   in Loop: Header=BB128_7 Depth=2
	s_and_not1_saveexec_b32 s6, s6
	s_cbranch_execz .LBB128_43
; %bb.42:                               ;   in Loop: Header=BB128_7 Depth=2
	v_mov_b32_e32 v70, v0
	v_mov_b32_e32 v71, v0
	;; [unrolled: 1-line block ×4, first 2 shown]
	ds_store_b128 v62, v[70:73]
.LBB128_43:                             ;   in Loop: Header=BB128_7 Depth=2
	s_or_b32 exec_lo, exec_lo, s6
	s_or_b32 s5, s5, s0
	s_delay_alu instid0(SALU_CYCLE_1) | instskip(NEXT) | instid1(SALU_CYCLE_1)
	s_xor_b32 s5, s5, -1
	s_and_saveexec_b32 s6, s5
	s_delay_alu instid0(SALU_CYCLE_1)
	s_xor_b32 s5, exec_lo, s6
	s_cbranch_execz .LBB128_45
; %bb.44:                               ;   in Loop: Header=BB128_7 Depth=2
	global_load_b128 v[54:57], v[54:55], off
	s_waitcnt vmcnt(0)
	ds_store_2addr_b64 v64, v[54:55], v[56:57] offset1:1
.LBB128_45:                             ;   in Loop: Header=BB128_7 Depth=2
	s_and_not1_saveexec_b32 s5, s5
	s_cbranch_execz .LBB128_47
; %bb.46:                               ;   in Loop: Header=BB128_7 Depth=2
	v_mov_b32_e32 v54, v0
	v_mov_b32_e32 v55, v0
	;; [unrolled: 1-line block ×4, first 2 shown]
	ds_store_b128 v64, v[54:57]
.LBB128_47:                             ;   in Loop: Header=BB128_7 Depth=2
	s_or_b32 exec_lo, exec_lo, s5
	v_cmp_le_i64_e64 s5, s[22:23], v[2:3]
	s_delay_alu instid0(VALU_DEP_1) | instskip(NEXT) | instid1(SALU_CYCLE_1)
	s_or_b32 s6, s5, vcc_lo
	s_xor_b32 s6, s6, -1
	s_delay_alu instid0(SALU_CYCLE_1) | instskip(NEXT) | instid1(SALU_CYCLE_1)
	s_and_saveexec_b32 s7, s6
	s_xor_b32 s7, exec_lo, s7
	s_cbranch_execz .LBB128_49
; %bb.48:                               ;   in Loop: Header=BB128_7 Depth=2
	v_add_co_u32 v2, s6, v36, v8
	s_delay_alu instid0(VALU_DEP_1)
	v_add_co_ci_u32_e64 v3, s6, v37, v9, s6
	global_load_b128 v[54:57], v[2:3], off offset:-256
	s_waitcnt vmcnt(0)
	ds_store_2addr_b64 v65, v[54:55], v[56:57] offset1:1
.LBB128_49:                             ;   in Loop: Header=BB128_7 Depth=2
	s_and_not1_saveexec_b32 s6, s7
	s_cbranch_execz .LBB128_51
; %bb.50:                               ;   in Loop: Header=BB128_7 Depth=2
	v_mov_b32_e32 v54, v0
	v_mov_b32_e32 v55, v0
	;; [unrolled: 1-line block ×4, first 2 shown]
	ds_store_b128 v65, v[54:57]
.LBB128_51:                             ;   in Loop: Header=BB128_7 Depth=2
	s_or_b32 exec_lo, exec_lo, s6
	s_or_b32 s5, s5, s0
	s_delay_alu instid0(SALU_CYCLE_1) | instskip(NEXT) | instid1(SALU_CYCLE_1)
	s_xor_b32 s5, s5, -1
	s_and_saveexec_b32 s6, s5
	s_delay_alu instid0(SALU_CYCLE_1)
	s_xor_b32 s6, exec_lo, s6
	s_cbranch_execz .LBB128_53
; %bb.52:                               ;   in Loop: Header=BB128_7 Depth=2
	v_add_co_u32 v2, s5, v36, v8
	s_delay_alu instid0(VALU_DEP_1)
	v_add_co_ci_u32_e64 v3, s5, v37, v9, s5
	global_load_b128 v[54:57], v[2:3], off
	s_waitcnt vmcnt(0)
	ds_store_2addr_b64 v66, v[54:55], v[56:57] offset1:1
.LBB128_53:                             ;   in Loop: Header=BB128_7 Depth=2
	s_and_not1_saveexec_b32 s5, s6
	s_cbranch_execz .LBB128_6
; %bb.54:                               ;   in Loop: Header=BB128_7 Depth=2
	v_mov_b32_e32 v54, v0
	v_mov_b32_e32 v55, v0
	;; [unrolled: 1-line block ×4, first 2 shown]
	ds_store_b128 v66, v[54:57]
	s_branch .LBB128_6
.LBB128_55:                             ;   in Loop: Header=BB128_4 Depth=1
	v_mul_lo_u32 v13, v21, s40
	v_mul_lo_u32 v21, v20, s41
	v_mad_u64_u32 v[2:3], null, v20, s40, 0
	v_cmp_gt_i32_e64 s3, s38, v20
	s_delay_alu instid0(VALU_DEP_2) | instskip(NEXT) | instid1(VALU_DEP_1)
	v_add3_u32 v3, v3, v21, v13
	v_lshlrev_b64 v[2:3], 4, v[2:3]
	s_delay_alu instid0(VALU_DEP_1) | instskip(NEXT) | instid1(VALU_DEP_1)
	v_add_co_u32 v2, s4, s42, v2
	v_add_co_ci_u32_e64 v3, s4, s43, v3, s4
	s_and_b32 s4, s1, s3
	s_delay_alu instid0(SALU_CYCLE_1)
	s_and_saveexec_b32 s5, s4
	s_cbranch_execz .LBB128_57
; %bb.56:                               ;   in Loop: Header=BB128_4 Depth=1
	v_add_co_u32 v25, s4, v2, v14
	s_delay_alu instid0(VALU_DEP_1)
	v_add_co_ci_u32_e64 v26, s4, v3, v15, s4
	v_mul_f64 v[27:28], s[18:19], v[48:49]
	v_mul_f64 v[29:30], s[16:17], v[48:49]
	global_load_b128 v[21:24], v[25:26], off
	v_fma_f64 v[27:28], s[16:17], v[46:47], -v[27:28]
	v_fma_f64 v[29:30], s[18:19], v[46:47], v[29:30]
	s_waitcnt vmcnt(0)
	s_delay_alu instid0(VALU_DEP_2) | instskip(NEXT) | instid1(VALU_DEP_2)
	v_add_f64 v[21:22], v[21:22], v[27:28]
	v_add_f64 v[23:24], v[23:24], v[29:30]
	global_store_b128 v[25:26], v[21:24], off
.LBB128_57:                             ;   in Loop: Header=BB128_4 Depth=1
	s_or_b32 exec_lo, exec_lo, s5
	s_and_b32 s3, s2, s3
	s_delay_alu instid0(SALU_CYCLE_1)
	s_and_saveexec_b32 s4, s3
	s_cbranch_execz .LBB128_59
; %bb.58:                               ;   in Loop: Header=BB128_4 Depth=1
	v_lshlrev_b64 v[21:22], 4, v[6:7]
	v_mul_f64 v[25:26], s[18:19], v[44:45]
	v_mul_f64 v[27:28], s[16:17], v[44:45]
	s_delay_alu instid0(VALU_DEP_3) | instskip(NEXT) | instid1(VALU_DEP_1)
	v_add_co_u32 v2, s3, v2, v21
	v_add_co_ci_u32_e64 v3, s3, v3, v22, s3
	global_load_b128 v[21:24], v[2:3], off
	v_fma_f64 v[25:26], s[16:17], v[42:43], -v[25:26]
	v_fma_f64 v[27:28], s[18:19], v[42:43], v[27:28]
	s_waitcnt vmcnt(0)
	s_delay_alu instid0(VALU_DEP_2) | instskip(NEXT) | instid1(VALU_DEP_2)
	v_add_f64 v[21:22], v[21:22], v[25:26]
	v_add_f64 v[23:24], v[23:24], v[27:28]
	global_store_b128 v[2:3], v[21:24], off
.LBB128_59:                             ;   in Loop: Header=BB128_4 Depth=1
	s_or_b32 exec_lo, exec_lo, s4
	v_add_nc_u32_e32 v13, 16, v20
	s_delay_alu instid0(VALU_DEP_1) | instskip(SKIP_3) | instid1(VALU_DEP_4)
	v_ashrrev_i32_e32 v20, 31, v13
	v_mul_lo_u32 v21, v13, s41
	v_mad_u64_u32 v[2:3], null, v13, s40, 0
	v_cmp_gt_i32_e64 s3, s38, v13
	v_mul_lo_u32 v20, v20, s40
	s_delay_alu instid0(VALU_DEP_1) | instskip(NEXT) | instid1(VALU_DEP_1)
	v_add3_u32 v3, v3, v21, v20
	v_lshlrev_b64 v[2:3], 4, v[2:3]
	s_delay_alu instid0(VALU_DEP_1) | instskip(NEXT) | instid1(VALU_DEP_1)
	v_add_co_u32 v2, s4, s42, v2
	v_add_co_ci_u32_e64 v3, s4, s43, v3, s4
	s_and_b32 s4, s1, s3
	s_delay_alu instid0(SALU_CYCLE_1)
	s_and_saveexec_b32 s5, s4
	s_cbranch_execz .LBB128_61
; %bb.60:                               ;   in Loop: Header=BB128_4 Depth=1
	v_add_co_u32 v24, s4, v2, v14
	s_delay_alu instid0(VALU_DEP_1)
	v_add_co_ci_u32_e64 v25, s4, v3, v15, s4
	v_mul_f64 v[26:27], s[18:19], v[40:41]
	v_mul_f64 v[28:29], s[16:17], v[40:41]
	global_load_b128 v[20:23], v[24:25], off
	v_fma_f64 v[26:27], s[16:17], v[38:39], -v[26:27]
	v_fma_f64 v[28:29], s[18:19], v[38:39], v[28:29]
	s_waitcnt vmcnt(0)
	s_delay_alu instid0(VALU_DEP_2) | instskip(NEXT) | instid1(VALU_DEP_2)
	v_add_f64 v[20:21], v[20:21], v[26:27]
	v_add_f64 v[22:23], v[22:23], v[28:29]
	global_store_b128 v[24:25], v[20:23], off
.LBB128_61:                             ;   in Loop: Header=BB128_4 Depth=1
	s_or_b32 exec_lo, exec_lo, s5
	s_and_b32 s3, s2, s3
	s_delay_alu instid0(SALU_CYCLE_1)
	s_and_saveexec_b32 s4, s3
	s_cbranch_execz .LBB128_3
; %bb.62:                               ;   in Loop: Header=BB128_4 Depth=1
	v_lshlrev_b64 v[20:21], 4, v[6:7]
	v_mul_f64 v[24:25], s[18:19], v[50:51]
	v_mul_f64 v[26:27], s[16:17], v[50:51]
	s_delay_alu instid0(VALU_DEP_3) | instskip(NEXT) | instid1(VALU_DEP_1)
	v_add_co_u32 v2, s3, v2, v20
	v_add_co_ci_u32_e64 v3, s3, v3, v21, s3
	global_load_b128 v[20:23], v[2:3], off
	v_fma_f64 v[24:25], s[16:17], v[52:53], -v[24:25]
	v_fma_f64 v[26:27], s[18:19], v[52:53], v[26:27]
	s_waitcnt vmcnt(0)
	s_delay_alu instid0(VALU_DEP_2) | instskip(NEXT) | instid1(VALU_DEP_2)
	v_add_f64 v[20:21], v[20:21], v[24:25]
	v_add_f64 v[22:23], v[22:23], v[26:27]
	global_store_b128 v[2:3], v[20:23], off
	s_branch .LBB128_3
.LBB128_63:
	s_nop 0
	s_sendmsg sendmsg(MSG_DEALLOC_VGPRS)
	s_endpgm
	.section	.rodata,"a",@progbits
	.p2align	6, 0x0
	.amdhsa_kernel _ZL30rocblas_trmm_outofplace_kernelI19rocblas_complex_numIdELi32ELi2ELb0ELb0ELb1ELb1EPKS1_S2_S1_Ev17rocblas_diagonal_iiT6_lPT7_lllS7_lllPT8_llli
		.amdhsa_group_segment_fixed_size 32768
		.amdhsa_private_segment_fixed_size 0
		.amdhsa_kernarg_size 392
		.amdhsa_user_sgpr_count 13
		.amdhsa_user_sgpr_dispatch_ptr 0
		.amdhsa_user_sgpr_queue_ptr 0
		.amdhsa_user_sgpr_kernarg_segment_ptr 1
		.amdhsa_user_sgpr_dispatch_id 0
		.amdhsa_user_sgpr_private_segment_size 0
		.amdhsa_wavefront_size32 1
		.amdhsa_uses_dynamic_stack 0
		.amdhsa_enable_private_segment 0
		.amdhsa_system_sgpr_workgroup_id_x 1
		.amdhsa_system_sgpr_workgroup_id_y 1
		.amdhsa_system_sgpr_workgroup_id_z 1
		.amdhsa_system_sgpr_workgroup_info 0
		.amdhsa_system_vgpr_workitem_id 1
		.amdhsa_next_free_vgpr 90
		.amdhsa_next_free_sgpr 45
		.amdhsa_reserve_vcc 1
		.amdhsa_float_round_mode_32 0
		.amdhsa_float_round_mode_16_64 0
		.amdhsa_float_denorm_mode_32 3
		.amdhsa_float_denorm_mode_16_64 3
		.amdhsa_dx10_clamp 1
		.amdhsa_ieee_mode 1
		.amdhsa_fp16_overflow 0
		.amdhsa_workgroup_processor_mode 1
		.amdhsa_memory_ordered 1
		.amdhsa_forward_progress 0
		.amdhsa_shared_vgpr_count 0
		.amdhsa_exception_fp_ieee_invalid_op 0
		.amdhsa_exception_fp_denorm_src 0
		.amdhsa_exception_fp_ieee_div_zero 0
		.amdhsa_exception_fp_ieee_overflow 0
		.amdhsa_exception_fp_ieee_underflow 0
		.amdhsa_exception_fp_ieee_inexact 0
		.amdhsa_exception_int_div_zero 0
	.end_amdhsa_kernel
	.section	.text._ZL30rocblas_trmm_outofplace_kernelI19rocblas_complex_numIdELi32ELi2ELb0ELb0ELb1ELb1EPKS1_S2_S1_Ev17rocblas_diagonal_iiT6_lPT7_lllS7_lllPT8_llli,"axG",@progbits,_ZL30rocblas_trmm_outofplace_kernelI19rocblas_complex_numIdELi32ELi2ELb0ELb0ELb1ELb1EPKS1_S2_S1_Ev17rocblas_diagonal_iiT6_lPT7_lllS7_lllPT8_llli,comdat
.Lfunc_end128:
	.size	_ZL30rocblas_trmm_outofplace_kernelI19rocblas_complex_numIdELi32ELi2ELb0ELb0ELb1ELb1EPKS1_S2_S1_Ev17rocblas_diagonal_iiT6_lPT7_lllS7_lllPT8_llli, .Lfunc_end128-_ZL30rocblas_trmm_outofplace_kernelI19rocblas_complex_numIdELi32ELi2ELb0ELb0ELb1ELb1EPKS1_S2_S1_Ev17rocblas_diagonal_iiT6_lPT7_lllS7_lllPT8_llli
                                        ; -- End function
	.section	.AMDGPU.csdata,"",@progbits
; Kernel info:
; codeLenInByte = 11564
; NumSgprs: 47
; NumVgprs: 90
; ScratchSize: 0
; MemoryBound: 0
; FloatMode: 240
; IeeeMode: 1
; LDSByteSize: 32768 bytes/workgroup (compile time only)
; SGPRBlocks: 5
; VGPRBlocks: 11
; NumSGPRsForWavesPerEU: 47
; NumVGPRsForWavesPerEU: 90
; Occupancy: 16
; WaveLimiterHint : 0
; COMPUTE_PGM_RSRC2:SCRATCH_EN: 0
; COMPUTE_PGM_RSRC2:USER_SGPR: 13
; COMPUTE_PGM_RSRC2:TRAP_HANDLER: 0
; COMPUTE_PGM_RSRC2:TGID_X_EN: 1
; COMPUTE_PGM_RSRC2:TGID_Y_EN: 1
; COMPUTE_PGM_RSRC2:TGID_Z_EN: 1
; COMPUTE_PGM_RSRC2:TIDIG_COMP_CNT: 1
	.section	.text._ZL30rocblas_trmm_outofplace_kernelI19rocblas_complex_numIdELi32ELi2ELb0ELb0ELb1ELb1ES1_KS1_S1_Ev17rocblas_diagonal_iiT6_lPT7_lllS6_lllPT8_llli,"axG",@progbits,_ZL30rocblas_trmm_outofplace_kernelI19rocblas_complex_numIdELi32ELi2ELb0ELb0ELb1ELb1ES1_KS1_S1_Ev17rocblas_diagonal_iiT6_lPT7_lllS6_lllPT8_llli,comdat
	.globl	_ZL30rocblas_trmm_outofplace_kernelI19rocblas_complex_numIdELi32ELi2ELb0ELb0ELb1ELb1ES1_KS1_S1_Ev17rocblas_diagonal_iiT6_lPT7_lllS6_lllPT8_llli ; -- Begin function _ZL30rocblas_trmm_outofplace_kernelI19rocblas_complex_numIdELi32ELi2ELb0ELb0ELb1ELb1ES1_KS1_S1_Ev17rocblas_diagonal_iiT6_lPT7_lllS6_lllPT8_llli
	.p2align	8
	.type	_ZL30rocblas_trmm_outofplace_kernelI19rocblas_complex_numIdELi32ELi2ELb0ELb0ELb1ELb1ES1_KS1_S1_Ev17rocblas_diagonal_iiT6_lPT7_lllS6_lllPT8_llli,@function
_ZL30rocblas_trmm_outofplace_kernelI19rocblas_complex_numIdELi32ELi2ELb0ELb0ELb1ELb1ES1_KS1_S1_Ev17rocblas_diagonal_iiT6_lPT7_lllS6_lllPT8_llli: ; @_ZL30rocblas_trmm_outofplace_kernelI19rocblas_complex_numIdELi32ELi2ELb0ELb0ELb1ELb1ES1_KS1_S1_Ev17rocblas_diagonal_iiT6_lPT7_lllS6_lllPT8_llli
; %bb.0:
	s_load_b128 s[44:47], s[0:1], 0x10
	s_waitcnt lgkmcnt(0)
	v_cmp_eq_f64_e64 s2, s[44:45], 0
	v_cmp_eq_f64_e64 s3, s[46:47], 0
	s_delay_alu instid0(VALU_DEP_1) | instskip(NEXT) | instid1(SALU_CYCLE_1)
	s_and_b32 s2, s2, s3
	s_and_b32 vcc_lo, exec_lo, s2
	s_cbranch_vccnz .LBB129_63
; %bb.1:
	s_load_b128 s[8:11], s[0:1], 0x0
	s_waitcnt lgkmcnt(0)
	s_add_i32 s2, s10, -1
	s_delay_alu instid0(SALU_CYCLE_1) | instskip(NEXT) | instid1(SALU_CYCLE_1)
	s_ashr_i32 s3, s2, 31
	s_lshr_b32 s3, s3, 27
	s_delay_alu instid0(SALU_CYCLE_1) | instskip(NEXT) | instid1(SALU_CYCLE_1)
	s_add_i32 s2, s2, s3
	s_ashr_i32 s33, s2, 5
	s_delay_alu instid0(SALU_CYCLE_1)
	s_cmp_gt_i32 s14, s33
	s_cbranch_scc1 .LBB129_63
; %bb.2:
	s_clause 0x1
	s_load_b512 s[16:31], s[0:1], 0x28
	s_load_b256 s[36:43], s[0:1], 0x68
	v_bfe_u32 v59, v0, 10, 10
	s_load_b32 s34, s[0:1], 0x94
	s_delay_alu instid0(VALU_DEP_1)
	v_lshl_add_u32 v18, v59, 4, 0x100
	v_lshl_add_u32 v12, s14, 5, v59
	s_waitcnt lgkmcnt(0)
	v_mad_u64_u32 v[16:17], null, s28, v59, 0
	v_and_b32_e32 v58, 0x3ff, v0
	s_mul_i32 s1, s15, s23
	s_mul_hi_u32 s2, s15, s22
	s_mul_i32 s0, s15, s22
	s_add_i32 s1, s2, s1
	v_mad_u64_u32 v[3:4], null, v58, s20, 0
	s_lshl_b64 s[4:5], s[0:1], 4
	s_mul_i32 s3, s15, s43
	s_add_u32 s1, s16, s4
	s_addc_u32 s11, s17, s5
	s_lshl_b64 s[6:7], s[18:19], 4
	s_mul_hi_u32 s2, s15, s42
	s_delay_alu instid0(VALU_DEP_1)
	v_mad_u64_u32 v[5:6], null, v58, s21, v[4:5]
	s_add_u32 s22, s1, s6
	s_mul_i32 s0, s15, s42
	s_addc_u32 s23, s11, s7
	s_add_i32 s1, s2, s3
	v_mad_u64_u32 v[8:9], null, s28, v18, 0
	s_delay_alu instid0(VALU_DEP_2) | instskip(SKIP_1) | instid1(SALU_CYCLE_1)
	v_mov_b32_e32 v4, v5
	s_lshl_b64 s[0:1], s[0:1], 4
	s_add_u32 s2, s36, s0
	s_addc_u32 s3, s37, s1
	s_delay_alu instid0(VALU_DEP_1)
	v_lshlrev_b64 v[4:5], 4, v[3:4]
	v_mov_b32_e32 v3, v17
	v_lshl_add_u32 v1, s13, 5, v58
	s_lshl_b64 s[0:1], s[38:39], 4
	v_lshlrev_b32_e32 v10, 4, v58
	s_add_u32 s35, s2, s0
	s_addc_u32 s36, s3, s1
	v_ashrrev_i32_e32 v2, 31, v1
	s_cmpk_eq_i32 s8, 0x84
	v_sub_co_u32 v6, vcc_lo, s9, v1
	s_cselect_b32 s37, -1, 0
	s_ashr_i32 s0, s9, 31
	s_ashr_i32 s11, s10, 31
	v_sub_co_ci_u32_e32 v7, vcc_lo, s0, v2, vcc_lo
	v_add_co_u32 v4, vcc_lo, s22, v4
	v_add_co_ci_u32_e32 v5, vcc_lo, s23, v5, vcc_lo
	s_delay_alu instid0(VALU_DEP_3)
	v_cmp_gt_i64_e32 vcc_lo, 1, v[6:7]
	v_cmp_gt_i64_e64 s0, 17, v[6:7]
	v_add_nc_u32_e32 v6, 16, v1
	s_lshl_b64 s[12:13], s[20:21], 9
	s_lshl_b64 s[18:19], s[28:29], 9
	s_mul_i32 s3, s31, s15
	s_mul_hi_u32 s8, s30, s15
	s_add_u32 s22, s10, -16
	s_addc_u32 s23, s11, -1
	v_cmp_gt_i32_e64 s1, s9, v1
	v_cmp_gt_i32_e64 s2, s9, v6
	s_add_i32 s9, s8, s3
	s_mul_i32 s8, s30, s15
	s_lshl_b64 s[26:27], s[26:27], 4
	s_lshl_b64 s[8:9], s[8:9], 4
	s_lshl_b32 s15, s34, 5
	s_add_u32 s3, s8, s26
	v_mad_u64_u32 v[13:14], null, s29, v59, v[3:4]
	s_addc_u32 s8, s9, s27
	s_add_u32 s3, s24, s3
	s_addc_u32 s8, s25, s8
	v_lshlrev_b32_e32 v60, 9, v59
	s_add_u32 s6, s16, s6
	v_mov_b32_e32 v3, v9
	s_delay_alu instid0(VALU_DEP_3)
	v_mov_b32_e32 v17, v13
	v_add_nc_u32_e32 v19, 0x100, v10
	s_addc_u32 s7, s17, s7
	s_add_u32 s4, s6, s4
	s_addc_u32 s5, s7, s5
	v_dual_mov_b32 v0, 0 :: v_dual_add_nc_u32 v63, v60, v10
	v_or_b32_e32 v61, 0x4000, v10
	v_add_nc_u32_e32 v67, 0x4100, v10
	v_mad_u64_u32 v[10:11], null, s20, v19, s[4:5]
	v_lshlrev_b64 v[14:15], 4, v[1:2]
	s_delay_alu instid0(VALU_DEP_4)
	v_add_nc_u32_e32 v62, v61, v60
	v_mad_u64_u32 v[1:2], null, s29, v18, v[3:4]
	v_sub_co_u32 v68, s4, 0, v58
	v_mov_b32_e32 v9, v11
	v_lshlrev_b64 v[16:17], 4, v[16:17]
	v_add_nc_u32_e32 v64, 0x100, v62
	v_add_nc_u32_e32 v65, 0x2000, v62
	;; [unrolled: 1-line block ×3, first 2 shown]
	v_mad_u64_u32 v[2:3], null, s21, v19, v[9:10]
	v_add_co_u32 v3, s3, s3, v14
	s_delay_alu instid0(VALU_DEP_1) | instskip(SKIP_1) | instid1(VALU_DEP_3)
	v_add_co_ci_u32_e64 v9, s3, s8, v15, s3
	v_sub_co_ci_u32_e64 v69, null, 0, 0, s4
	v_add_co_u32 v18, s3, 0x100, v3
	s_delay_alu instid0(VALU_DEP_1)
	v_add_co_ci_u32_e64 v19, s3, 0, v9, s3
	v_mov_b32_e32 v9, v1
	v_mov_b32_e32 v11, v2
	v_ashrrev_i32_e32 v7, 31, v6
	v_mov_b32_e32 v1, 0x3ff00000
	s_branch .LBB129_4
.LBB129_3:                              ;   in Loop: Header=BB129_4 Depth=1
	s_or_b32 exec_lo, exec_lo, s4
	v_add_nc_u32_e32 v12, s15, v12
	s_add_i32 s14, s34, s14
	s_delay_alu instid0(SALU_CYCLE_1)
	s_cmp_le_i32 s14, s33
	s_cbranch_scc0 .LBB129_63
.LBB129_4:                              ; =>This Loop Header: Depth=1
                                        ;     Child Loop BB129_7 Depth 2
	s_lshl_b32 s20, s14, 5
	v_mov_b32_e32 v46, 0
	v_dual_mov_b32 v47, 0 :: v_dual_add_nc_u32 v20, s20, v59
	s_delay_alu instid0(VALU_DEP_2) | instskip(SKIP_1) | instid1(VALU_DEP_3)
	v_mov_b32_e32 v42, v46
	v_mov_b32_e32 v44, v46
	v_dual_mov_b32 v38, v46 :: v_dual_mov_b32 v39, v47
	v_dual_mov_b32 v49, v47 :: v_dual_mov_b32 v48, v46
	v_mov_b32_e32 v43, v47
	v_mov_b32_e32 v45, v47
	v_ashrrev_i32_e32 v21, 31, v20
	v_dual_mov_b32 v40, v46 :: v_dual_mov_b32 v41, v47
	v_dual_mov_b32 v53, v47 :: v_dual_mov_b32 v52, v46
	;; [unrolled: 1-line block ×3, first 2 shown]
	s_cmp_lt_i32 s14, 0
	s_cbranch_scc1 .LBB129_55
; %bb.5:                                ;   in Loop: Header=BB129_4 Depth=1
	v_ashrrev_i32_e32 v13, 31, v12
	v_add_co_u32 v22, s3, v20, 16
	s_delay_alu instid0(VALU_DEP_1) | instskip(SKIP_1) | instid1(VALU_DEP_1)
	v_add_co_ci_u32_e64 v23, s3, 0, v21, s3
	v_add_co_u32 v24, s3, v68, v12
	v_add_co_ci_u32_e64 v25, s3, v69, v13, s3
	v_dual_mov_b32 v50, 0 :: v_dual_mov_b32 v33, v11
	s_delay_alu instid0(VALU_DEP_3) | instskip(SKIP_1) | instid1(VALU_DEP_4)
	v_add_co_u32 v28, s5, v24, 16
	v_dual_mov_b32 v51, 0 :: v_dual_mov_b32 v32, v10
	v_add_co_ci_u32_e64 v29, s5, 0, v25, s5
	v_add_co_u32 v30, s5, v24, -16
	v_lshlrev_b64 v[26:27], 4, v[12:13]
	v_cmp_le_i64_e64 s4, s[10:11], v[22:23]
	v_cmp_le_i32_e64 s3, s10, v20
	v_add_co_ci_u32_e64 v31, s5, -1, v25, s5
	v_dual_mov_b32 v35, v5 :: v_dual_mov_b32 v34, v4
	v_dual_mov_b32 v37, v19 :: v_dual_mov_b32 v36, v18
	;; [unrolled: 1-line block ×9, first 2 shown]
	s_mov_b64 s[16:17], 0
	s_branch .LBB129_7
.LBB129_6:                              ;   in Loop: Header=BB129_7 Depth=2
	s_or_b32 exec_lo, exec_lo, s5
	s_waitcnt lgkmcnt(0)
	s_waitcnt_vscnt null, 0x0
	s_barrier
	buffer_gl0_inv
	ds_load_b128 v[54:57], v60
	ds_load_b128 v[70:73], v60 offset:16
	ds_load_b128 v[74:77], v60 offset:32
	;; [unrolled: 1-line block ×3, first 2 shown]
	ds_load_b128 v[82:85], v61
	v_add_co_u32 v36, s5, v36, s18
	s_delay_alu instid0(VALU_DEP_1) | instskip(SKIP_1) | instid1(VALU_DEP_1)
	v_add_co_ci_u32_e64 v37, s5, s19, v37, s5
	v_add_co_u32 v34, s5, v34, s12
	v_add_co_ci_u32_e64 v35, s5, s13, v35, s5
	v_add_co_u32 v32, s5, v32, s12
	s_add_u32 s16, s16, 32
	v_add_co_ci_u32_e64 v33, s5, s13, v33, s5
	s_addc_u32 s17, s17, 0
	s_sub_i32 s6, s16, 32
	s_delay_alu instid0(SALU_CYCLE_1) | instskip(SKIP_3) | instid1(VALU_DEP_2)
	s_cmp_ge_i32 s6, s20
	s_waitcnt lgkmcnt(0)
	v_mul_f64 v[2:3], v[56:57], v[84:85]
	v_mul_f64 v[86:87], v[54:55], v[84:85]
	v_fma_f64 v[2:3], v[54:55], v[82:83], -v[2:3]
	s_delay_alu instid0(VALU_DEP_2) | instskip(NEXT) | instid1(VALU_DEP_2)
	v_fma_f64 v[86:87], v[56:57], v[82:83], v[86:87]
	v_add_f64 v[2:3], v[46:47], v[2:3]
	s_delay_alu instid0(VALU_DEP_2) | instskip(SKIP_3) | instid1(VALU_DEP_1)
	v_add_f64 v[86:87], v[48:49], v[86:87]
	ds_load_b128 v[46:49], v67
	s_waitcnt lgkmcnt(0)
	v_mul_f64 v[88:89], v[56:57], v[48:49]
	v_fma_f64 v[88:89], v[54:55], v[46:47], -v[88:89]
	v_mul_f64 v[54:55], v[54:55], v[48:49]
	s_delay_alu instid0(VALU_DEP_1) | instskip(NEXT) | instid1(VALU_DEP_3)
	v_fma_f64 v[54:55], v[56:57], v[46:47], v[54:55]
	v_add_f64 v[56:57], v[42:43], v[88:89]
	s_delay_alu instid0(VALU_DEP_2) | instskip(SKIP_4) | instid1(VALU_DEP_2)
	v_add_f64 v[54:55], v[44:45], v[54:55]
	ds_load_b128 v[42:45], v60 offset:8192
	s_waitcnt lgkmcnt(0)
	v_mul_f64 v[88:89], v[44:45], v[84:85]
	v_mul_f64 v[84:85], v[42:43], v[84:85]
	v_fma_f64 v[88:89], v[42:43], v[82:83], -v[88:89]
	s_delay_alu instid0(VALU_DEP_2) | instskip(NEXT) | instid1(VALU_DEP_2)
	v_fma_f64 v[82:83], v[44:45], v[82:83], v[84:85]
	v_add_f64 v[84:85], v[38:39], v[88:89]
	s_delay_alu instid0(VALU_DEP_2) | instskip(SKIP_2) | instid1(VALU_DEP_2)
	v_add_f64 v[82:83], v[40:41], v[82:83]
	v_mul_f64 v[38:39], v[44:45], v[48:49]
	v_mul_f64 v[40:41], v[42:43], v[48:49]
	v_fma_f64 v[38:39], v[42:43], v[46:47], -v[38:39]
	s_delay_alu instid0(VALU_DEP_2) | instskip(NEXT) | instid1(VALU_DEP_2)
	v_fma_f64 v[40:41], v[44:45], v[46:47], v[40:41]
	v_add_f64 v[52:53], v[52:53], v[38:39]
	s_delay_alu instid0(VALU_DEP_2) | instskip(SKIP_4) | instid1(VALU_DEP_2)
	v_add_f64 v[50:51], v[50:51], v[40:41]
	ds_load_b128 v[38:41], v61 offset:512
	s_waitcnt lgkmcnt(0)
	v_mul_f64 v[42:43], v[72:73], v[40:41]
	v_mul_f64 v[44:45], v[70:71], v[40:41]
	v_fma_f64 v[42:43], v[70:71], v[38:39], -v[42:43]
	s_delay_alu instid0(VALU_DEP_2) | instskip(NEXT) | instid1(VALU_DEP_2)
	v_fma_f64 v[44:45], v[72:73], v[38:39], v[44:45]
	v_add_f64 v[2:3], v[2:3], v[42:43]
	s_delay_alu instid0(VALU_DEP_2) | instskip(SKIP_4) | instid1(VALU_DEP_2)
	v_add_f64 v[86:87], v[86:87], v[44:45]
	ds_load_b128 v[42:45], v67 offset:512
	s_waitcnt lgkmcnt(0)
	;; [unrolled: 10-line block ×3, first 2 shown]
	v_mul_f64 v[70:71], v[48:49], v[40:41]
	v_mul_f64 v[40:41], v[46:47], v[40:41]
	v_fma_f64 v[70:71], v[46:47], v[38:39], -v[70:71]
	s_delay_alu instid0(VALU_DEP_2) | instskip(SKIP_1) | instid1(VALU_DEP_3)
	v_fma_f64 v[38:39], v[48:49], v[38:39], v[40:41]
	v_mul_f64 v[40:41], v[46:47], v[44:45]
	v_add_f64 v[70:71], v[84:85], v[70:71]
	s_delay_alu instid0(VALU_DEP_3) | instskip(SKIP_1) | instid1(VALU_DEP_4)
	v_add_f64 v[72:73], v[82:83], v[38:39]
	v_mul_f64 v[38:39], v[48:49], v[44:45]
	v_fma_f64 v[40:41], v[48:49], v[42:43], v[40:41]
	s_delay_alu instid0(VALU_DEP_2) | instskip(NEXT) | instid1(VALU_DEP_2)
	v_fma_f64 v[38:39], v[46:47], v[42:43], -v[38:39]
	v_add_f64 v[50:51], v[50:51], v[40:41]
	s_delay_alu instid0(VALU_DEP_2) | instskip(SKIP_4) | instid1(VALU_DEP_2)
	v_add_f64 v[52:53], v[52:53], v[38:39]
	ds_load_b128 v[38:41], v61 offset:1024
	s_waitcnt lgkmcnt(0)
	v_mul_f64 v[42:43], v[76:77], v[40:41]
	v_mul_f64 v[44:45], v[74:75], v[40:41]
	v_fma_f64 v[42:43], v[74:75], v[38:39], -v[42:43]
	s_delay_alu instid0(VALU_DEP_2) | instskip(NEXT) | instid1(VALU_DEP_2)
	v_fma_f64 v[44:45], v[76:77], v[38:39], v[44:45]
	v_add_f64 v[2:3], v[2:3], v[42:43]
	s_delay_alu instid0(VALU_DEP_2) | instskip(SKIP_4) | instid1(VALU_DEP_2)
	v_add_f64 v[82:83], v[86:87], v[44:45]
	ds_load_b128 v[42:45], v67 offset:1024
	s_waitcnt lgkmcnt(0)
	v_mul_f64 v[46:47], v[76:77], v[44:45]
	v_mul_f64 v[48:49], v[74:75], v[44:45]
	v_fma_f64 v[46:47], v[74:75], v[42:43], -v[46:47]
	s_delay_alu instid0(VALU_DEP_2) | instskip(NEXT) | instid1(VALU_DEP_2)
	v_fma_f64 v[48:49], v[76:77], v[42:43], v[48:49]
	v_add_f64 v[56:57], v[56:57], v[46:47]
	s_delay_alu instid0(VALU_DEP_2) | instskip(SKIP_4) | instid1(VALU_DEP_2)
	v_add_f64 v[54:55], v[54:55], v[48:49]
	ds_load_b128 v[46:49], v60 offset:8224
	s_waitcnt lgkmcnt(0)
	v_mul_f64 v[74:75], v[48:49], v[40:41]
	v_mul_f64 v[40:41], v[46:47], v[40:41]
	v_fma_f64 v[74:75], v[46:47], v[38:39], -v[74:75]
	s_delay_alu instid0(VALU_DEP_2) | instskip(SKIP_1) | instid1(VALU_DEP_3)
	v_fma_f64 v[38:39], v[48:49], v[38:39], v[40:41]
	v_mul_f64 v[40:41], v[46:47], v[44:45]
	v_add_f64 v[70:71], v[70:71], v[74:75]
	s_delay_alu instid0(VALU_DEP_3) | instskip(SKIP_1) | instid1(VALU_DEP_4)
	v_add_f64 v[72:73], v[72:73], v[38:39]
	v_mul_f64 v[38:39], v[48:49], v[44:45]
	v_fma_f64 v[40:41], v[48:49], v[42:43], v[40:41]
	s_delay_alu instid0(VALU_DEP_2) | instskip(NEXT) | instid1(VALU_DEP_2)
	v_fma_f64 v[38:39], v[46:47], v[42:43], -v[38:39]
	v_add_f64 v[50:51], v[50:51], v[40:41]
	s_delay_alu instid0(VALU_DEP_2) | instskip(SKIP_4) | instid1(VALU_DEP_2)
	v_add_f64 v[52:53], v[52:53], v[38:39]
	ds_load_b128 v[38:41], v61 offset:1536
	s_waitcnt lgkmcnt(0)
	v_mul_f64 v[42:43], v[80:81], v[40:41]
	v_mul_f64 v[44:45], v[78:79], v[40:41]
	v_fma_f64 v[42:43], v[78:79], v[38:39], -v[42:43]
	s_delay_alu instid0(VALU_DEP_2) | instskip(NEXT) | instid1(VALU_DEP_2)
	v_fma_f64 v[44:45], v[80:81], v[38:39], v[44:45]
	v_add_f64 v[2:3], v[2:3], v[42:43]
	s_delay_alu instid0(VALU_DEP_2) | instskip(SKIP_4) | instid1(VALU_DEP_2)
	v_add_f64 v[74:75], v[82:83], v[44:45]
	ds_load_b128 v[42:45], v67 offset:1536
	s_waitcnt lgkmcnt(0)
	v_mul_f64 v[46:47], v[80:81], v[44:45]
	v_mul_f64 v[48:49], v[78:79], v[44:45]
	v_fma_f64 v[46:47], v[78:79], v[42:43], -v[46:47]
	s_delay_alu instid0(VALU_DEP_2) | instskip(NEXT) | instid1(VALU_DEP_2)
	v_fma_f64 v[48:49], v[80:81], v[42:43], v[48:49]
	v_add_f64 v[56:57], v[56:57], v[46:47]
	s_delay_alu instid0(VALU_DEP_2) | instskip(SKIP_4) | instid1(VALU_DEP_2)
	v_add_f64 v[54:55], v[54:55], v[48:49]
	ds_load_b128 v[46:49], v60 offset:8240
	s_waitcnt lgkmcnt(0)
	v_mul_f64 v[76:77], v[48:49], v[40:41]
	v_mul_f64 v[40:41], v[46:47], v[40:41]
	v_fma_f64 v[76:77], v[46:47], v[38:39], -v[76:77]
	s_delay_alu instid0(VALU_DEP_2) | instskip(SKIP_1) | instid1(VALU_DEP_3)
	v_fma_f64 v[38:39], v[48:49], v[38:39], v[40:41]
	v_mul_f64 v[40:41], v[46:47], v[44:45]
	v_add_f64 v[70:71], v[70:71], v[76:77]
	s_delay_alu instid0(VALU_DEP_3) | instskip(SKIP_1) | instid1(VALU_DEP_4)
	v_add_f64 v[72:73], v[72:73], v[38:39]
	v_mul_f64 v[38:39], v[48:49], v[44:45]
	v_fma_f64 v[40:41], v[48:49], v[42:43], v[40:41]
	s_delay_alu instid0(VALU_DEP_2) | instskip(NEXT) | instid1(VALU_DEP_2)
	v_fma_f64 v[38:39], v[46:47], v[42:43], -v[38:39]
	v_add_f64 v[50:51], v[50:51], v[40:41]
	s_delay_alu instid0(VALU_DEP_2)
	v_add_f64 v[52:53], v[52:53], v[38:39]
	ds_load_b128 v[38:41], v60 offset:64
	ds_load_b128 v[42:45], v61 offset:2048
	s_waitcnt lgkmcnt(0)
	v_mul_f64 v[46:47], v[40:41], v[44:45]
	v_mul_f64 v[48:49], v[38:39], v[44:45]
	s_delay_alu instid0(VALU_DEP_2) | instskip(NEXT) | instid1(VALU_DEP_2)
	v_fma_f64 v[46:47], v[38:39], v[42:43], -v[46:47]
	v_fma_f64 v[48:49], v[40:41], v[42:43], v[48:49]
	s_delay_alu instid0(VALU_DEP_2) | instskip(NEXT) | instid1(VALU_DEP_2)
	v_add_f64 v[2:3], v[2:3], v[46:47]
	v_add_f64 v[74:75], v[74:75], v[48:49]
	ds_load_b128 v[46:49], v67 offset:2048
	s_waitcnt lgkmcnt(0)
	v_mul_f64 v[76:77], v[40:41], v[48:49]
	s_delay_alu instid0(VALU_DEP_1) | instskip(SKIP_1) | instid1(VALU_DEP_2)
	v_fma_f64 v[76:77], v[38:39], v[46:47], -v[76:77]
	v_mul_f64 v[38:39], v[38:39], v[48:49]
	v_add_f64 v[56:57], v[56:57], v[76:77]
	s_delay_alu instid0(VALU_DEP_2) | instskip(NEXT) | instid1(VALU_DEP_1)
	v_fma_f64 v[38:39], v[40:41], v[46:47], v[38:39]
	v_add_f64 v[54:55], v[54:55], v[38:39]
	ds_load_b128 v[38:41], v60 offset:8256
	s_waitcnt lgkmcnt(0)
	v_mul_f64 v[76:77], v[40:41], v[44:45]
	v_mul_f64 v[44:45], v[38:39], v[44:45]
	s_delay_alu instid0(VALU_DEP_2) | instskip(NEXT) | instid1(VALU_DEP_2)
	v_fma_f64 v[76:77], v[38:39], v[42:43], -v[76:77]
	v_fma_f64 v[42:43], v[40:41], v[42:43], v[44:45]
	s_delay_alu instid0(VALU_DEP_2) | instskip(NEXT) | instid1(VALU_DEP_2)
	v_add_f64 v[70:71], v[70:71], v[76:77]
	v_add_f64 v[72:73], v[72:73], v[42:43]
	v_mul_f64 v[42:43], v[40:41], v[48:49]
	s_delay_alu instid0(VALU_DEP_1) | instskip(SKIP_1) | instid1(VALU_DEP_2)
	v_fma_f64 v[42:43], v[38:39], v[46:47], -v[42:43]
	v_mul_f64 v[38:39], v[38:39], v[48:49]
	v_add_f64 v[52:53], v[52:53], v[42:43]
	s_delay_alu instid0(VALU_DEP_2) | instskip(NEXT) | instid1(VALU_DEP_1)
	v_fma_f64 v[38:39], v[40:41], v[46:47], v[38:39]
	v_add_f64 v[50:51], v[50:51], v[38:39]
	ds_load_b128 v[38:41], v60 offset:80
	ds_load_b128 v[42:45], v61 offset:2560
	s_waitcnt lgkmcnt(0)
	v_mul_f64 v[46:47], v[40:41], v[44:45]
	v_mul_f64 v[48:49], v[38:39], v[44:45]
	s_delay_alu instid0(VALU_DEP_2) | instskip(NEXT) | instid1(VALU_DEP_2)
	v_fma_f64 v[46:47], v[38:39], v[42:43], -v[46:47]
	v_fma_f64 v[48:49], v[40:41], v[42:43], v[48:49]
	s_delay_alu instid0(VALU_DEP_2) | instskip(NEXT) | instid1(VALU_DEP_2)
	v_add_f64 v[2:3], v[2:3], v[46:47]
	v_add_f64 v[74:75], v[74:75], v[48:49]
	ds_load_b128 v[46:49], v67 offset:2560
	s_waitcnt lgkmcnt(0)
	v_mul_f64 v[76:77], v[40:41], v[48:49]
	s_delay_alu instid0(VALU_DEP_1) | instskip(SKIP_1) | instid1(VALU_DEP_2)
	v_fma_f64 v[76:77], v[38:39], v[46:47], -v[76:77]
	v_mul_f64 v[38:39], v[38:39], v[48:49]
	v_add_f64 v[56:57], v[56:57], v[76:77]
	s_delay_alu instid0(VALU_DEP_2) | instskip(NEXT) | instid1(VALU_DEP_1)
	v_fma_f64 v[38:39], v[40:41], v[46:47], v[38:39]
	v_add_f64 v[54:55], v[54:55], v[38:39]
	ds_load_b128 v[38:41], v60 offset:8272
	s_waitcnt lgkmcnt(0)
	v_mul_f64 v[76:77], v[40:41], v[44:45]
	v_mul_f64 v[44:45], v[38:39], v[44:45]
	s_delay_alu instid0(VALU_DEP_2) | instskip(NEXT) | instid1(VALU_DEP_2)
	v_fma_f64 v[76:77], v[38:39], v[42:43], -v[76:77]
	v_fma_f64 v[42:43], v[40:41], v[42:43], v[44:45]
	s_delay_alu instid0(VALU_DEP_2) | instskip(NEXT) | instid1(VALU_DEP_2)
	v_add_f64 v[70:71], v[70:71], v[76:77]
	v_add_f64 v[72:73], v[72:73], v[42:43]
	v_mul_f64 v[42:43], v[40:41], v[48:49]
	s_delay_alu instid0(VALU_DEP_1) | instskip(SKIP_1) | instid1(VALU_DEP_2)
	v_fma_f64 v[42:43], v[38:39], v[46:47], -v[42:43]
	v_mul_f64 v[38:39], v[38:39], v[48:49]
	v_add_f64 v[52:53], v[52:53], v[42:43]
	s_delay_alu instid0(VALU_DEP_2) | instskip(NEXT) | instid1(VALU_DEP_1)
	v_fma_f64 v[38:39], v[40:41], v[46:47], v[38:39]
	;; [unrolled: 39-line block ×26, first 2 shown]
	v_add_f64 v[50:51], v[50:51], v[38:39]
	ds_load_b128 v[38:41], v60 offset:480
	ds_load_b128 v[42:45], v61 offset:15360
	s_waitcnt lgkmcnt(0)
	v_mul_f64 v[46:47], v[40:41], v[44:45]
	v_mul_f64 v[48:49], v[38:39], v[44:45]
	s_delay_alu instid0(VALU_DEP_2) | instskip(NEXT) | instid1(VALU_DEP_2)
	v_fma_f64 v[46:47], v[38:39], v[42:43], -v[46:47]
	v_fma_f64 v[48:49], v[40:41], v[42:43], v[48:49]
	s_delay_alu instid0(VALU_DEP_2) | instskip(NEXT) | instid1(VALU_DEP_2)
	v_add_f64 v[76:77], v[2:3], v[46:47]
	v_add_f64 v[74:75], v[74:75], v[48:49]
	ds_load_b128 v[46:49], v67 offset:15360
	s_waitcnt lgkmcnt(0)
	v_mul_f64 v[2:3], v[40:41], v[48:49]
	s_delay_alu instid0(VALU_DEP_1) | instskip(SKIP_1) | instid1(VALU_DEP_2)
	v_fma_f64 v[2:3], v[38:39], v[46:47], -v[2:3]
	v_mul_f64 v[38:39], v[38:39], v[48:49]
	v_add_f64 v[56:57], v[56:57], v[2:3]
	s_delay_alu instid0(VALU_DEP_2) | instskip(NEXT) | instid1(VALU_DEP_1)
	v_fma_f64 v[38:39], v[40:41], v[46:47], v[38:39]
	v_add_f64 v[78:79], v[54:55], v[38:39]
	ds_load_b128 v[38:41], v60 offset:8672
	s_waitcnt lgkmcnt(0)
	v_mul_f64 v[2:3], v[40:41], v[44:45]
	v_mul_f64 v[44:45], v[38:39], v[44:45]
	s_delay_alu instid0(VALU_DEP_2) | instskip(NEXT) | instid1(VALU_DEP_2)
	v_fma_f64 v[2:3], v[38:39], v[42:43], -v[2:3]
	v_fma_f64 v[42:43], v[40:41], v[42:43], v[44:45]
	s_delay_alu instid0(VALU_DEP_2) | instskip(SKIP_1) | instid1(VALU_DEP_3)
	v_add_f64 v[80:81], v[70:71], v[2:3]
	v_mul_f64 v[2:3], v[40:41], v[48:49]
	v_add_f64 v[82:83], v[72:73], v[42:43]
	s_delay_alu instid0(VALU_DEP_2) | instskip(SKIP_1) | instid1(VALU_DEP_2)
	v_fma_f64 v[2:3], v[38:39], v[46:47], -v[2:3]
	v_mul_f64 v[38:39], v[38:39], v[48:49]
	v_add_f64 v[2:3], v[52:53], v[2:3]
	s_delay_alu instid0(VALU_DEP_2) | instskip(NEXT) | instid1(VALU_DEP_1)
	v_fma_f64 v[38:39], v[40:41], v[46:47], v[38:39]
	v_add_f64 v[50:51], v[50:51], v[38:39]
	ds_load_b128 v[38:41], v60 offset:496
	ds_load_b128 v[52:55], v61 offset:15872
	;; [unrolled: 1-line block ×3, first 2 shown]
	s_waitcnt lgkmcnt(1)
	v_mul_f64 v[42:43], v[40:41], v[54:55]
	v_mul_f64 v[44:45], v[38:39], v[54:55]
	s_delay_alu instid0(VALU_DEP_2) | instskip(NEXT) | instid1(VALU_DEP_2)
	v_fma_f64 v[42:43], v[38:39], v[52:53], -v[42:43]
	v_fma_f64 v[44:45], v[40:41], v[52:53], v[44:45]
	s_delay_alu instid0(VALU_DEP_2) | instskip(NEXT) | instid1(VALU_DEP_2)
	v_add_f64 v[46:47], v[76:77], v[42:43]
	v_add_f64 v[48:49], v[74:75], v[44:45]
	ds_load_b128 v[74:77], v60 offset:8688
	s_waitcnt lgkmcnt(1)
	v_mul_f64 v[42:43], v[40:41], v[72:73]
	s_waitcnt lgkmcnt(0)
	s_barrier
	buffer_gl0_inv
	v_fma_f64 v[42:43], v[38:39], v[70:71], -v[42:43]
	v_mul_f64 v[38:39], v[38:39], v[72:73]
	s_delay_alu instid0(VALU_DEP_2) | instskip(NEXT) | instid1(VALU_DEP_2)
	v_add_f64 v[42:43], v[56:57], v[42:43]
	v_fma_f64 v[38:39], v[40:41], v[70:71], v[38:39]
	v_mul_f64 v[40:41], v[74:75], v[54:55]
	s_delay_alu instid0(VALU_DEP_2) | instskip(SKIP_1) | instid1(VALU_DEP_3)
	v_add_f64 v[44:45], v[78:79], v[38:39]
	v_mul_f64 v[38:39], v[76:77], v[54:55]
	v_fma_f64 v[40:41], v[76:77], v[52:53], v[40:41]
	v_mul_f64 v[54:55], v[74:75], v[72:73]
	s_delay_alu instid0(VALU_DEP_3) | instskip(SKIP_1) | instid1(VALU_DEP_3)
	v_fma_f64 v[38:39], v[74:75], v[52:53], -v[38:39]
	v_mul_f64 v[52:53], v[76:77], v[72:73]
	v_fma_f64 v[54:55], v[76:77], v[70:71], v[54:55]
	v_add_f64 v[40:41], v[82:83], v[40:41]
	s_delay_alu instid0(VALU_DEP_4) | instskip(NEXT) | instid1(VALU_DEP_4)
	v_add_f64 v[38:39], v[80:81], v[38:39]
	v_fma_f64 v[52:53], v[74:75], v[70:71], -v[52:53]
	s_delay_alu instid0(VALU_DEP_4) | instskip(NEXT) | instid1(VALU_DEP_2)
	v_add_f64 v[50:51], v[50:51], v[54:55]
	v_add_f64 v[52:53], v[2:3], v[52:53]
	s_cbranch_scc1 .LBB129_55
.LBB129_7:                              ;   Parent Loop BB129_4 Depth=1
                                        ; =>  This Inner Loop Header: Depth=2
	v_add_co_u32 v54, s5, v58, s16
	s_delay_alu instid0(VALU_DEP_1) | instskip(SKIP_1) | instid1(VALU_DEP_2)
	v_add_co_ci_u32_e64 v55, null, 0, s17, s5
	v_cmp_eq_u64_e64 s6, s[16:17], v[24:25]
	v_cmp_gt_i64_e64 s5, v[54:55], v[20:21]
	s_delay_alu instid0(VALU_DEP_2) | instskip(SKIP_1) | instid1(VALU_DEP_2)
	s_and_b32 s24, s37, s6
	v_cmp_le_i64_e64 s6, s[10:11], v[54:55]
	s_or_b32 s7, s3, s5
	s_delay_alu instid0(SALU_CYCLE_1) | instskip(SKIP_1) | instid1(VALU_DEP_1)
	s_or_b32 s8, s7, s24
	v_add_co_u32 v56, s7, v34, v26
	v_add_co_ci_u32_e64 v57, s7, v35, v27, s7
	s_delay_alu instid0(VALU_DEP_3) | instskip(NEXT) | instid1(SALU_CYCLE_1)
	s_or_b32 s7, s6, s8
	s_xor_b32 s7, s7, -1
	s_delay_alu instid0(SALU_CYCLE_1) | instskip(NEXT) | instid1(SALU_CYCLE_1)
	s_and_saveexec_b32 s8, s7
	s_xor_b32 s7, exec_lo, s8
	s_cbranch_execz .LBB129_9
; %bb.8:                                ;   in Loop: Header=BB129_7 Depth=2
	global_load_b128 v[70:73], v[56:57], off
	s_waitcnt vmcnt(0)
	v_xor_b32_e32 v73, 0x80000000, v73
	ds_store_b128 v63, v[70:73]
.LBB129_9:                              ;   in Loop: Header=BB129_7 Depth=2
	s_or_saveexec_b32 s7, s7
	s_xor_b32 s21, s24, -1
	s_xor_b32 exec_lo, exec_lo, s7
	s_cbranch_execz .LBB129_15
; %bb.10:                               ;   in Loop: Header=BB129_7 Depth=2
	s_and_saveexec_b32 s8, s21
	s_delay_alu instid0(SALU_CYCLE_1)
	s_xor_b32 s8, exec_lo, s8
	s_cbranch_execz .LBB129_12
; %bb.11:                               ;   in Loop: Header=BB129_7 Depth=2
	v_mov_b32_e32 v70, v0
	v_mov_b32_e32 v71, v0
	;; [unrolled: 1-line block ×4, first 2 shown]
	ds_store_b128 v63, v[70:73]
.LBB129_12:                             ;   in Loop: Header=BB129_7 Depth=2
	s_and_not1_saveexec_b32 s8, s8
	s_cbranch_execz .LBB129_14
; %bb.13:                               ;   in Loop: Header=BB129_7 Depth=2
	v_mov_b32_e32 v2, v0
	v_mov_b32_e32 v3, v0
	ds_store_b128 v63, v[0:3]
.LBB129_14:                             ;   in Loop: Header=BB129_7 Depth=2
	s_or_b32 exec_lo, exec_lo, s8
.LBB129_15:                             ;   in Loop: Header=BB129_7 Depth=2
	s_delay_alu instid0(SALU_CYCLE_1) | instskip(SKIP_1) | instid1(VALU_DEP_1)
	s_or_b32 exec_lo, exec_lo, s7
	v_add_co_u32 v2, s7, v54, 16
	v_add_co_ci_u32_e64 v3, s7, 0, v55, s7
	v_cmp_eq_u64_e64 s8, s[16:17], v[30:31]
	s_delay_alu instid0(VALU_DEP_2) | instskip(SKIP_1) | instid1(VALU_DEP_3)
	v_cmp_gt_i64_e64 s9, v[2:3], v[20:21]
	v_cmp_le_i64_e64 s7, s[10:11], v[2:3]
	s_and_b32 s25, s37, s8
	s_delay_alu instid0(VALU_DEP_2) | instskip(NEXT) | instid1(SALU_CYCLE_1)
	s_or_b32 s8, s3, s9
	s_or_b32 s8, s8, s25
	s_delay_alu instid0(VALU_DEP_1) | instid1(SALU_CYCLE_1)
	s_or_b32 s8, s7, s8
	s_delay_alu instid0(SALU_CYCLE_1) | instskip(NEXT) | instid1(SALU_CYCLE_1)
	s_xor_b32 s8, s8, -1
	s_and_saveexec_b32 s9, s8
	s_delay_alu instid0(SALU_CYCLE_1)
	s_xor_b32 s9, exec_lo, s9
	s_cbranch_execz .LBB129_17
; %bb.16:                               ;   in Loop: Header=BB129_7 Depth=2
	v_add_co_u32 v2, s8, v32, v26
	s_delay_alu instid0(VALU_DEP_1)
	v_add_co_ci_u32_e64 v3, s8, v33, v27, s8
	global_load_b128 v[70:73], v[2:3], off
	s_waitcnt vmcnt(0)
	v_xor_b32_e32 v73, 0x80000000, v73
	ds_store_b128 v63, v[70:73] offset:256
.LBB129_17:                             ;   in Loop: Header=BB129_7 Depth=2
	s_and_not1_saveexec_b32 s8, s9
	s_cbranch_execz .LBB129_23
; %bb.18:                               ;   in Loop: Header=BB129_7 Depth=2
	s_xor_b32 s9, s25, -1
	s_delay_alu instid0(SALU_CYCLE_1) | instskip(NEXT) | instid1(SALU_CYCLE_1)
	s_and_saveexec_b32 s25, s9
	s_xor_b32 s9, exec_lo, s25
	s_cbranch_execz .LBB129_20
; %bb.19:                               ;   in Loop: Header=BB129_7 Depth=2
	v_mov_b32_e32 v70, v0
	v_mov_b32_e32 v71, v0
	;; [unrolled: 1-line block ×4, first 2 shown]
	ds_store_b128 v63, v[70:73] offset:256
.LBB129_20:                             ;   in Loop: Header=BB129_7 Depth=2
	s_and_not1_saveexec_b32 s9, s9
	s_cbranch_execz .LBB129_22
; %bb.21:                               ;   in Loop: Header=BB129_7 Depth=2
	v_mov_b32_e32 v2, v0
	v_mov_b32_e32 v3, v0
	ds_store_b128 v63, v[0:3] offset:256
.LBB129_22:                             ;   in Loop: Header=BB129_7 Depth=2
	s_or_b32 exec_lo, exec_lo, s9
.LBB129_23:                             ;   in Loop: Header=BB129_7 Depth=2
	s_delay_alu instid0(SALU_CYCLE_1) | instskip(SKIP_2) | instid1(VALU_DEP_2)
	s_or_b32 exec_lo, exec_lo, s8
	v_cmp_eq_u64_e64 s8, s[16:17], v[28:29]
	v_cmp_gt_i64_e64 s9, v[54:55], v[22:23]
	s_and_b32 s8, s37, s8
	s_delay_alu instid0(VALU_DEP_1) | instskip(NEXT) | instid1(SALU_CYCLE_1)
	s_or_b32 s9, s4, s9
	s_or_b32 s9, s9, s8
	s_delay_alu instid0(SALU_CYCLE_1) | instskip(NEXT) | instid1(SALU_CYCLE_1)
	s_or_b32 s6, s6, s9
	s_xor_b32 s6, s6, -1
	s_delay_alu instid0(SALU_CYCLE_1) | instskip(NEXT) | instid1(SALU_CYCLE_1)
	s_and_saveexec_b32 s9, s6
	s_xor_b32 s6, exec_lo, s9
	s_cbranch_execz .LBB129_25
; %bb.24:                               ;   in Loop: Header=BB129_7 Depth=2
	global_load_b128 v[54:57], v[56:57], off offset:256
	s_waitcnt vmcnt(0)
	v_xor_b32_e32 v57, 0x80000000, v57
	ds_store_b128 v63, v[54:57] offset:8192
.LBB129_25:                             ;   in Loop: Header=BB129_7 Depth=2
	s_and_not1_saveexec_b32 s6, s6
	s_cbranch_execz .LBB129_31
; %bb.26:                               ;   in Loop: Header=BB129_7 Depth=2
	s_xor_b32 s8, s8, -1
	s_delay_alu instid0(SALU_CYCLE_1) | instskip(NEXT) | instid1(SALU_CYCLE_1)
	s_and_saveexec_b32 s9, s8
	s_xor_b32 s8, exec_lo, s9
	s_cbranch_execz .LBB129_28
; %bb.27:                               ;   in Loop: Header=BB129_7 Depth=2
	v_mov_b32_e32 v54, v0
	v_mov_b32_e32 v55, v0
	;; [unrolled: 1-line block ×4, first 2 shown]
	ds_store_b128 v63, v[54:57] offset:8192
.LBB129_28:                             ;   in Loop: Header=BB129_7 Depth=2
	s_and_not1_saveexec_b32 s8, s8
	s_cbranch_execz .LBB129_30
; %bb.29:                               ;   in Loop: Header=BB129_7 Depth=2
	v_mov_b32_e32 v2, v0
	v_mov_b32_e32 v3, v0
	ds_store_b128 v63, v[0:3] offset:8192
.LBB129_30:                             ;   in Loop: Header=BB129_7 Depth=2
	s_or_b32 exec_lo, exec_lo, s8
.LBB129_31:                             ;   in Loop: Header=BB129_7 Depth=2
	s_delay_alu instid0(SALU_CYCLE_1) | instskip(SKIP_1) | instid1(SALU_CYCLE_1)
	s_or_b32 exec_lo, exec_lo, s6
	s_or_b32 s5, s4, s5
	s_or_b32 s5, s5, s24
	s_delay_alu instid0(SALU_CYCLE_1) | instskip(NEXT) | instid1(SALU_CYCLE_1)
	s_or_b32 s5, s7, s5
	s_xor_b32 s5, s5, -1
	s_delay_alu instid0(SALU_CYCLE_1) | instskip(NEXT) | instid1(SALU_CYCLE_1)
	s_and_saveexec_b32 s6, s5
	s_xor_b32 s6, exec_lo, s6
	s_cbranch_execz .LBB129_33
; %bb.32:                               ;   in Loop: Header=BB129_7 Depth=2
	v_add_co_u32 v2, s5, v32, v26
	s_delay_alu instid0(VALU_DEP_1)
	v_add_co_ci_u32_e64 v3, s5, v33, v27, s5
	global_load_b128 v[54:57], v[2:3], off offset:256
	s_waitcnt vmcnt(0)
	v_xor_b32_e32 v57, 0x80000000, v57
	ds_store_b128 v63, v[54:57] offset:8448
.LBB129_33:                             ;   in Loop: Header=BB129_7 Depth=2
	s_and_not1_saveexec_b32 s5, s6
	s_cbranch_execz .LBB129_39
; %bb.34:                               ;   in Loop: Header=BB129_7 Depth=2
	s_and_saveexec_b32 s6, s21
	s_delay_alu instid0(SALU_CYCLE_1)
	s_xor_b32 s6, exec_lo, s6
	s_cbranch_execz .LBB129_36
; %bb.35:                               ;   in Loop: Header=BB129_7 Depth=2
	v_mov_b32_e32 v54, v0
	v_mov_b32_e32 v55, v0
	;; [unrolled: 1-line block ×4, first 2 shown]
	ds_store_b128 v63, v[54:57] offset:8448
.LBB129_36:                             ;   in Loop: Header=BB129_7 Depth=2
	s_and_not1_saveexec_b32 s6, s6
	s_cbranch_execz .LBB129_38
; %bb.37:                               ;   in Loop: Header=BB129_7 Depth=2
	v_mov_b32_e32 v2, v0
	v_mov_b32_e32 v3, v0
	ds_store_b128 v63, v[0:3] offset:8448
.LBB129_38:                             ;   in Loop: Header=BB129_7 Depth=2
	s_or_b32 exec_lo, exec_lo, s6
.LBB129_39:                             ;   in Loop: Header=BB129_7 Depth=2
	s_delay_alu instid0(SALU_CYCLE_1) | instskip(SKIP_1) | instid1(VALU_DEP_1)
	s_or_b32 exec_lo, exec_lo, s5
	v_add_co_u32 v2, s5, v59, s16
	v_add_co_ci_u32_e64 v3, null, 0, s17, s5
	v_add_co_u32 v54, s6, v36, v16
	s_delay_alu instid0(VALU_DEP_1) | instskip(NEXT) | instid1(VALU_DEP_3)
	v_add_co_ci_u32_e64 v55, s6, v37, v17, s6
	v_cmp_le_i64_e64 s5, s[10:11], v[2:3]
	s_delay_alu instid0(VALU_DEP_1) | instskip(NEXT) | instid1(SALU_CYCLE_1)
	s_or_b32 s6, s5, vcc_lo
	s_xor_b32 s6, s6, -1
	s_delay_alu instid0(SALU_CYCLE_1) | instskip(NEXT) | instid1(SALU_CYCLE_1)
	s_and_saveexec_b32 s7, s6
	s_xor_b32 s6, exec_lo, s7
	s_cbranch_execz .LBB129_41
; %bb.40:                               ;   in Loop: Header=BB129_7 Depth=2
	global_load_b128 v[70:73], v[54:55], off offset:-256
	s_waitcnt vmcnt(0)
	ds_store_2addr_b64 v62, v[70:71], v[72:73] offset1:1
.LBB129_41:                             ;   in Loop: Header=BB129_7 Depth=2
	s_and_not1_saveexec_b32 s6, s6
	s_cbranch_execz .LBB129_43
; %bb.42:                               ;   in Loop: Header=BB129_7 Depth=2
	v_mov_b32_e32 v70, v0
	v_mov_b32_e32 v71, v0
	v_mov_b32_e32 v72, v0
	v_mov_b32_e32 v73, v0
	ds_store_b128 v62, v[70:73]
.LBB129_43:                             ;   in Loop: Header=BB129_7 Depth=2
	s_or_b32 exec_lo, exec_lo, s6
	s_or_b32 s5, s5, s0
	s_delay_alu instid0(SALU_CYCLE_1) | instskip(NEXT) | instid1(SALU_CYCLE_1)
	s_xor_b32 s5, s5, -1
	s_and_saveexec_b32 s6, s5
	s_delay_alu instid0(SALU_CYCLE_1)
	s_xor_b32 s5, exec_lo, s6
	s_cbranch_execz .LBB129_45
; %bb.44:                               ;   in Loop: Header=BB129_7 Depth=2
	global_load_b128 v[54:57], v[54:55], off
	s_waitcnt vmcnt(0)
	ds_store_2addr_b64 v64, v[54:55], v[56:57] offset1:1
.LBB129_45:                             ;   in Loop: Header=BB129_7 Depth=2
	s_and_not1_saveexec_b32 s5, s5
	s_cbranch_execz .LBB129_47
; %bb.46:                               ;   in Loop: Header=BB129_7 Depth=2
	v_mov_b32_e32 v54, v0
	v_mov_b32_e32 v55, v0
	;; [unrolled: 1-line block ×4, first 2 shown]
	ds_store_b128 v64, v[54:57]
.LBB129_47:                             ;   in Loop: Header=BB129_7 Depth=2
	s_or_b32 exec_lo, exec_lo, s5
	v_cmp_le_i64_e64 s5, s[22:23], v[2:3]
	s_delay_alu instid0(VALU_DEP_1) | instskip(NEXT) | instid1(SALU_CYCLE_1)
	s_or_b32 s6, s5, vcc_lo
	s_xor_b32 s6, s6, -1
	s_delay_alu instid0(SALU_CYCLE_1) | instskip(NEXT) | instid1(SALU_CYCLE_1)
	s_and_saveexec_b32 s7, s6
	s_xor_b32 s7, exec_lo, s7
	s_cbranch_execz .LBB129_49
; %bb.48:                               ;   in Loop: Header=BB129_7 Depth=2
	v_add_co_u32 v2, s6, v36, v8
	s_delay_alu instid0(VALU_DEP_1)
	v_add_co_ci_u32_e64 v3, s6, v37, v9, s6
	global_load_b128 v[54:57], v[2:3], off offset:-256
	s_waitcnt vmcnt(0)
	ds_store_2addr_b64 v65, v[54:55], v[56:57] offset1:1
.LBB129_49:                             ;   in Loop: Header=BB129_7 Depth=2
	s_and_not1_saveexec_b32 s6, s7
	s_cbranch_execz .LBB129_51
; %bb.50:                               ;   in Loop: Header=BB129_7 Depth=2
	v_mov_b32_e32 v54, v0
	v_mov_b32_e32 v55, v0
	;; [unrolled: 1-line block ×4, first 2 shown]
	ds_store_b128 v65, v[54:57]
.LBB129_51:                             ;   in Loop: Header=BB129_7 Depth=2
	s_or_b32 exec_lo, exec_lo, s6
	s_or_b32 s5, s5, s0
	s_delay_alu instid0(SALU_CYCLE_1) | instskip(NEXT) | instid1(SALU_CYCLE_1)
	s_xor_b32 s5, s5, -1
	s_and_saveexec_b32 s6, s5
	s_delay_alu instid0(SALU_CYCLE_1)
	s_xor_b32 s6, exec_lo, s6
	s_cbranch_execz .LBB129_53
; %bb.52:                               ;   in Loop: Header=BB129_7 Depth=2
	v_add_co_u32 v2, s5, v36, v8
	s_delay_alu instid0(VALU_DEP_1)
	v_add_co_ci_u32_e64 v3, s5, v37, v9, s5
	global_load_b128 v[54:57], v[2:3], off
	s_waitcnt vmcnt(0)
	ds_store_2addr_b64 v66, v[54:55], v[56:57] offset1:1
.LBB129_53:                             ;   in Loop: Header=BB129_7 Depth=2
	s_and_not1_saveexec_b32 s5, s6
	s_cbranch_execz .LBB129_6
; %bb.54:                               ;   in Loop: Header=BB129_7 Depth=2
	v_mov_b32_e32 v54, v0
	v_mov_b32_e32 v55, v0
	;; [unrolled: 1-line block ×4, first 2 shown]
	ds_store_b128 v66, v[54:57]
	s_branch .LBB129_6
.LBB129_55:                             ;   in Loop: Header=BB129_4 Depth=1
	v_mul_lo_u32 v13, v21, s40
	v_mul_lo_u32 v21, v20, s41
	v_mad_u64_u32 v[2:3], null, v20, s40, 0
	v_cmp_gt_i32_e64 s3, s10, v20
	s_delay_alu instid0(VALU_DEP_2) | instskip(NEXT) | instid1(VALU_DEP_1)
	v_add3_u32 v3, v3, v21, v13
	v_lshlrev_b64 v[2:3], 4, v[2:3]
	s_delay_alu instid0(VALU_DEP_1) | instskip(NEXT) | instid1(VALU_DEP_1)
	v_add_co_u32 v2, s4, s35, v2
	v_add_co_ci_u32_e64 v3, s4, s36, v3, s4
	s_and_b32 s4, s1, s3
	s_delay_alu instid0(SALU_CYCLE_1)
	s_and_saveexec_b32 s5, s4
	s_cbranch_execz .LBB129_57
; %bb.56:                               ;   in Loop: Header=BB129_4 Depth=1
	v_add_co_u32 v25, s4, v2, v14
	s_delay_alu instid0(VALU_DEP_1)
	v_add_co_ci_u32_e64 v26, s4, v3, v15, s4
	v_mul_f64 v[27:28], s[46:47], v[48:49]
	v_mul_f64 v[29:30], s[44:45], v[48:49]
	global_load_b128 v[21:24], v[25:26], off
	v_fma_f64 v[27:28], s[44:45], v[46:47], -v[27:28]
	v_fma_f64 v[29:30], s[46:47], v[46:47], v[29:30]
	s_waitcnt vmcnt(0)
	s_delay_alu instid0(VALU_DEP_2) | instskip(NEXT) | instid1(VALU_DEP_2)
	v_add_f64 v[21:22], v[21:22], v[27:28]
	v_add_f64 v[23:24], v[23:24], v[29:30]
	global_store_b128 v[25:26], v[21:24], off
.LBB129_57:                             ;   in Loop: Header=BB129_4 Depth=1
	s_or_b32 exec_lo, exec_lo, s5
	s_and_b32 s3, s2, s3
	s_delay_alu instid0(SALU_CYCLE_1)
	s_and_saveexec_b32 s4, s3
	s_cbranch_execz .LBB129_59
; %bb.58:                               ;   in Loop: Header=BB129_4 Depth=1
	v_lshlrev_b64 v[21:22], 4, v[6:7]
	v_mul_f64 v[25:26], s[46:47], v[44:45]
	v_mul_f64 v[27:28], s[44:45], v[44:45]
	s_delay_alu instid0(VALU_DEP_3) | instskip(NEXT) | instid1(VALU_DEP_1)
	v_add_co_u32 v2, s3, v2, v21
	v_add_co_ci_u32_e64 v3, s3, v3, v22, s3
	global_load_b128 v[21:24], v[2:3], off
	v_fma_f64 v[25:26], s[44:45], v[42:43], -v[25:26]
	v_fma_f64 v[27:28], s[46:47], v[42:43], v[27:28]
	s_waitcnt vmcnt(0)
	s_delay_alu instid0(VALU_DEP_2) | instskip(NEXT) | instid1(VALU_DEP_2)
	v_add_f64 v[21:22], v[21:22], v[25:26]
	v_add_f64 v[23:24], v[23:24], v[27:28]
	global_store_b128 v[2:3], v[21:24], off
.LBB129_59:                             ;   in Loop: Header=BB129_4 Depth=1
	s_or_b32 exec_lo, exec_lo, s4
	v_add_nc_u32_e32 v13, 16, v20
	s_delay_alu instid0(VALU_DEP_1) | instskip(SKIP_3) | instid1(VALU_DEP_4)
	v_ashrrev_i32_e32 v20, 31, v13
	v_mul_lo_u32 v21, v13, s41
	v_mad_u64_u32 v[2:3], null, v13, s40, 0
	v_cmp_gt_i32_e64 s3, s10, v13
	v_mul_lo_u32 v20, v20, s40
	s_delay_alu instid0(VALU_DEP_1) | instskip(NEXT) | instid1(VALU_DEP_1)
	v_add3_u32 v3, v3, v21, v20
	v_lshlrev_b64 v[2:3], 4, v[2:3]
	s_delay_alu instid0(VALU_DEP_1) | instskip(NEXT) | instid1(VALU_DEP_1)
	v_add_co_u32 v2, s4, s35, v2
	v_add_co_ci_u32_e64 v3, s4, s36, v3, s4
	s_and_b32 s4, s1, s3
	s_delay_alu instid0(SALU_CYCLE_1)
	s_and_saveexec_b32 s5, s4
	s_cbranch_execz .LBB129_61
; %bb.60:                               ;   in Loop: Header=BB129_4 Depth=1
	v_add_co_u32 v24, s4, v2, v14
	s_delay_alu instid0(VALU_DEP_1)
	v_add_co_ci_u32_e64 v25, s4, v3, v15, s4
	v_mul_f64 v[26:27], s[46:47], v[40:41]
	v_mul_f64 v[28:29], s[44:45], v[40:41]
	global_load_b128 v[20:23], v[24:25], off
	v_fma_f64 v[26:27], s[44:45], v[38:39], -v[26:27]
	v_fma_f64 v[28:29], s[46:47], v[38:39], v[28:29]
	s_waitcnt vmcnt(0)
	s_delay_alu instid0(VALU_DEP_2) | instskip(NEXT) | instid1(VALU_DEP_2)
	v_add_f64 v[20:21], v[20:21], v[26:27]
	v_add_f64 v[22:23], v[22:23], v[28:29]
	global_store_b128 v[24:25], v[20:23], off
.LBB129_61:                             ;   in Loop: Header=BB129_4 Depth=1
	s_or_b32 exec_lo, exec_lo, s5
	s_and_b32 s3, s2, s3
	s_delay_alu instid0(SALU_CYCLE_1)
	s_and_saveexec_b32 s4, s3
	s_cbranch_execz .LBB129_3
; %bb.62:                               ;   in Loop: Header=BB129_4 Depth=1
	v_lshlrev_b64 v[20:21], 4, v[6:7]
	v_mul_f64 v[24:25], s[46:47], v[50:51]
	v_mul_f64 v[26:27], s[44:45], v[50:51]
	s_delay_alu instid0(VALU_DEP_3) | instskip(NEXT) | instid1(VALU_DEP_1)
	v_add_co_u32 v2, s3, v2, v20
	v_add_co_ci_u32_e64 v3, s3, v3, v21, s3
	global_load_b128 v[20:23], v[2:3], off
	v_fma_f64 v[24:25], s[44:45], v[52:53], -v[24:25]
	v_fma_f64 v[26:27], s[46:47], v[52:53], v[26:27]
	s_waitcnt vmcnt(0)
	s_delay_alu instid0(VALU_DEP_2) | instskip(NEXT) | instid1(VALU_DEP_2)
	v_add_f64 v[20:21], v[20:21], v[24:25]
	v_add_f64 v[22:23], v[22:23], v[26:27]
	global_store_b128 v[2:3], v[20:23], off
	s_branch .LBB129_3
.LBB129_63:
	s_nop 0
	s_sendmsg sendmsg(MSG_DEALLOC_VGPRS)
	s_endpgm
	.section	.rodata,"a",@progbits
	.p2align	6, 0x0
	.amdhsa_kernel _ZL30rocblas_trmm_outofplace_kernelI19rocblas_complex_numIdELi32ELi2ELb0ELb0ELb1ELb1ES1_KS1_S1_Ev17rocblas_diagonal_iiT6_lPT7_lllS6_lllPT8_llli
		.amdhsa_group_segment_fixed_size 32768
		.amdhsa_private_segment_fixed_size 0
		.amdhsa_kernarg_size 400
		.amdhsa_user_sgpr_count 13
		.amdhsa_user_sgpr_dispatch_ptr 0
		.amdhsa_user_sgpr_queue_ptr 0
		.amdhsa_user_sgpr_kernarg_segment_ptr 1
		.amdhsa_user_sgpr_dispatch_id 0
		.amdhsa_user_sgpr_private_segment_size 0
		.amdhsa_wavefront_size32 1
		.amdhsa_uses_dynamic_stack 0
		.amdhsa_enable_private_segment 0
		.amdhsa_system_sgpr_workgroup_id_x 1
		.amdhsa_system_sgpr_workgroup_id_y 1
		.amdhsa_system_sgpr_workgroup_id_z 1
		.amdhsa_system_sgpr_workgroup_info 0
		.amdhsa_system_vgpr_workitem_id 1
		.amdhsa_next_free_vgpr 90
		.amdhsa_next_free_sgpr 48
		.amdhsa_reserve_vcc 1
		.amdhsa_float_round_mode_32 0
		.amdhsa_float_round_mode_16_64 0
		.amdhsa_float_denorm_mode_32 3
		.amdhsa_float_denorm_mode_16_64 3
		.amdhsa_dx10_clamp 1
		.amdhsa_ieee_mode 1
		.amdhsa_fp16_overflow 0
		.amdhsa_workgroup_processor_mode 1
		.amdhsa_memory_ordered 1
		.amdhsa_forward_progress 0
		.amdhsa_shared_vgpr_count 0
		.amdhsa_exception_fp_ieee_invalid_op 0
		.amdhsa_exception_fp_denorm_src 0
		.amdhsa_exception_fp_ieee_div_zero 0
		.amdhsa_exception_fp_ieee_overflow 0
		.amdhsa_exception_fp_ieee_underflow 0
		.amdhsa_exception_fp_ieee_inexact 0
		.amdhsa_exception_int_div_zero 0
	.end_amdhsa_kernel
	.section	.text._ZL30rocblas_trmm_outofplace_kernelI19rocblas_complex_numIdELi32ELi2ELb0ELb0ELb1ELb1ES1_KS1_S1_Ev17rocblas_diagonal_iiT6_lPT7_lllS6_lllPT8_llli,"axG",@progbits,_ZL30rocblas_trmm_outofplace_kernelI19rocblas_complex_numIdELi32ELi2ELb0ELb0ELb1ELb1ES1_KS1_S1_Ev17rocblas_diagonal_iiT6_lPT7_lllS6_lllPT8_llli,comdat
.Lfunc_end129:
	.size	_ZL30rocblas_trmm_outofplace_kernelI19rocblas_complex_numIdELi32ELi2ELb0ELb0ELb1ELb1ES1_KS1_S1_Ev17rocblas_diagonal_iiT6_lPT7_lllS6_lllPT8_llli, .Lfunc_end129-_ZL30rocblas_trmm_outofplace_kernelI19rocblas_complex_numIdELi32ELi2ELb0ELb0ELb1ELb1ES1_KS1_S1_Ev17rocblas_diagonal_iiT6_lPT7_lllS6_lllPT8_llli
                                        ; -- End function
	.section	.AMDGPU.csdata,"",@progbits
; Kernel info:
; codeLenInByte = 11544
; NumSgprs: 50
; NumVgprs: 90
; ScratchSize: 0
; MemoryBound: 0
; FloatMode: 240
; IeeeMode: 1
; LDSByteSize: 32768 bytes/workgroup (compile time only)
; SGPRBlocks: 6
; VGPRBlocks: 11
; NumSGPRsForWavesPerEU: 50
; NumVGPRsForWavesPerEU: 90
; Occupancy: 16
; WaveLimiterHint : 0
; COMPUTE_PGM_RSRC2:SCRATCH_EN: 0
; COMPUTE_PGM_RSRC2:USER_SGPR: 13
; COMPUTE_PGM_RSRC2:TRAP_HANDLER: 0
; COMPUTE_PGM_RSRC2:TGID_X_EN: 1
; COMPUTE_PGM_RSRC2:TGID_Y_EN: 1
; COMPUTE_PGM_RSRC2:TGID_Z_EN: 1
; COMPUTE_PGM_RSRC2:TIDIG_COMP_CNT: 1
	.section	.text._ZL30rocblas_trmm_outofplace_kernelI19rocblas_complex_numIdELi32ELi2ELb0ELb1ELb1ELb1EPKS1_S2_S1_Ev17rocblas_diagonal_iiT6_lPT7_lllS7_lllPT8_llli,"axG",@progbits,_ZL30rocblas_trmm_outofplace_kernelI19rocblas_complex_numIdELi32ELi2ELb0ELb1ELb1ELb1EPKS1_S2_S1_Ev17rocblas_diagonal_iiT6_lPT7_lllS7_lllPT8_llli,comdat
	.globl	_ZL30rocblas_trmm_outofplace_kernelI19rocblas_complex_numIdELi32ELi2ELb0ELb1ELb1ELb1EPKS1_S2_S1_Ev17rocblas_diagonal_iiT6_lPT7_lllS7_lllPT8_llli ; -- Begin function _ZL30rocblas_trmm_outofplace_kernelI19rocblas_complex_numIdELi32ELi2ELb0ELb1ELb1ELb1EPKS1_S2_S1_Ev17rocblas_diagonal_iiT6_lPT7_lllS7_lllPT8_llli
	.p2align	8
	.type	_ZL30rocblas_trmm_outofplace_kernelI19rocblas_complex_numIdELi32ELi2ELb0ELb1ELb1ELb1EPKS1_S2_S1_Ev17rocblas_diagonal_iiT6_lPT7_lllS7_lllPT8_llli,@function
_ZL30rocblas_trmm_outofplace_kernelI19rocblas_complex_numIdELi32ELi2ELb0ELb1ELb1ELb1EPKS1_S2_S1_Ev17rocblas_diagonal_iiT6_lPT7_lllS7_lllPT8_llli: ; @_ZL30rocblas_trmm_outofplace_kernelI19rocblas_complex_numIdELi32ELi2ELb0ELb1ELb1ELb1EPKS1_S2_S1_Ev17rocblas_diagonal_iiT6_lPT7_lllS7_lllPT8_llli
; %bb.0:
	s_load_b512 s[16:31], s[0:1], 0x10
	s_waitcnt lgkmcnt(0)
	s_mul_i32 s3, s15, s19
	s_mul_hi_u32 s4, s15, s18
	s_mul_i32 s2, s15, s18
	s_add_i32 s3, s4, s3
	s_delay_alu instid0(SALU_CYCLE_1) | instskip(NEXT) | instid1(SALU_CYCLE_1)
	s_lshl_b64 s[2:3], s[2:3], 4
	s_add_u32 s2, s16, s2
	s_addc_u32 s3, s17, s3
	s_load_b128 s[16:19], s[2:3], 0x0
	s_waitcnt lgkmcnt(0)
	v_cmp_eq_f64_e64 s2, s[16:17], 0
	v_cmp_eq_f64_e64 s3, s[18:19], 0
	s_delay_alu instid0(VALU_DEP_1) | instskip(NEXT) | instid1(SALU_CYCLE_1)
	s_and_b32 s2, s2, s3
	s_and_b32 vcc_lo, exec_lo, s2
	s_cbranch_vccnz .LBB130_63
; %bb.1:
	s_load_b128 s[8:11], s[0:1], 0x0
	s_waitcnt lgkmcnt(0)
	s_add_i32 s2, s10, -1
	s_delay_alu instid0(SALU_CYCLE_1) | instskip(NEXT) | instid1(SALU_CYCLE_1)
	s_ashr_i32 s3, s2, 31
	s_lshr_b32 s3, s3, 27
	s_delay_alu instid0(SALU_CYCLE_1) | instskip(NEXT) | instid1(SALU_CYCLE_1)
	s_add_i32 s2, s2, s3
	s_ashr_i32 s33, s2, 5
	s_delay_alu instid0(SALU_CYCLE_1)
	s_cmp_gt_i32 s14, s33
	s_cbranch_scc1 .LBB130_63
; %bb.2:
	s_clause 0x2
	s_load_b256 s[36:43], s[0:1], 0x50
	s_load_b128 s[44:47], s[0:1], 0x70
	s_load_b32 s48, s[0:1], 0x8c
	v_and_b32_e32 v10, 0x3ff, v0
	v_bfe_u32 v56, v0, 10, 10
	s_delay_alu instid0(VALU_DEP_2) | instskip(SKIP_1) | instid1(VALU_DEP_3)
	v_lshl_add_u32 v0, s13, 5, v10
	v_lshlrev_b32_e32 v11, 4, v10
	v_lshlrev_b32_e32 v57, 9, v56
	s_delay_alu instid0(VALU_DEP_3) | instskip(SKIP_2) | instid1(VALU_DEP_3)
	v_ashrrev_i32_e32 v1, 31, v0
	v_sub_co_u32 v2, vcc_lo, s9, v0
	v_add_nc_u32_e32 v8, 16, v0
	v_lshlrev_b64 v[4:5], 4, v[0:1]
	s_waitcnt lgkmcnt(0)
	s_mul_i32 s1, s15, s39
	s_mul_hi_u32 s2, s15, s38
	s_mul_i32 s0, s15, s38
	s_add_i32 s1, s2, s1
	s_mul_i32 s3, s15, s47
	s_lshl_b64 s[0:1], s[0:1], 4
	s_mul_hi_u32 s4, s15, s46
	s_add_u32 s5, s28, s0
	s_addc_u32 s6, s29, s1
	s_lshl_b64 s[0:1], s[30:31], 4
	s_mul_i32 s2, s15, s46
	s_add_u32 s5, s5, s0
	s_addc_u32 s6, s6, s1
	s_add_i32 s3, s4, s3
	s_mul_i32 s4, s27, s15
	s_lshl_b64 s[0:1], s[2:3], 4
	v_ashrrev_i32_e32 v9, 31, v8
	s_add_u32 s2, s40, s0
	s_addc_u32 s3, s41, s1
	s_lshl_b64 s[0:1], s[42:43], 4
	s_delay_alu instid0(SALU_CYCLE_1)
	s_add_u32 s38, s2, s0
	s_addc_u32 s39, s3, s1
	s_cmpk_eq_i32 s8, 0x84
	v_cmp_gt_i32_e64 s1, s9, v0
	v_mov_b32_e32 v0, 0
	v_or_b32_e32 v59, 0x4000, v11
	s_cselect_b32 s40, -1, 0
	s_ashr_i32 s0, s9, 31
	s_ashr_i32 s11, s10, 31
	v_sub_co_ci_u32_e32 v3, vcc_lo, s0, v1, vcc_lo
	v_add_co_u32 v6, vcc_lo, s5, v4
	s_lshl_b64 s[12:13], s[24:25], 9
	s_lshl_b64 s[28:29], s[36:37], 9
	s_mul_hi_u32 s5, s26, s15
	v_add_nc_u32_e32 v60, v59, v57
	s_add_u32 s30, s10, -16
	s_addc_u32 s31, s11, -1
	s_add_i32 s5, s5, s4
	s_mul_i32 s4, s26, s15
	v_add_co_ci_u32_e32 v7, vcc_lo, s6, v5, vcc_lo
	s_lshl_b32 s3, s14, 5
	s_lshl_b64 s[4:5], s[4:5], 4
	s_lshl_b64 s[6:7], s[22:23], 4
	v_cmp_gt_i64_e32 vcc_lo, 1, v[2:3]
	v_cmp_gt_i64_e64 s0, 17, v[2:3]
	s_lshl_b32 s41, s48, 5
	s_lshl_b64 s[22:23], s[36:37], 4
	v_dual_mov_b32 v1, 0x3ff00000 :: v_dual_add_nc_u32 v58, v57, v11
	v_add_nc_u32_e32 v61, 0x100, v60
	v_add_nc_u32_e32 v62, 0x2000, v60
	;; [unrolled: 1-line block ×3, first 2 shown]
	v_cmp_gt_i32_e64 s2, s9, v8
	v_add_nc_u32_e32 v64, 0x4100, v11
	v_add_nc_u32_e32 v10, s3, v10
	;; [unrolled: 1-line block ×3, first 2 shown]
	s_add_u32 s3, s4, s6
	s_addc_u32 s4, s5, s7
	s_add_u32 s20, s20, s3
	s_addc_u32 s21, s21, s4
	s_lshl_b64 s[26:27], s[24:25], 4
	s_branch .LBB130_4
.LBB130_3:                              ;   in Loop: Header=BB130_4 Depth=1
	s_or_b32 exec_lo, exec_lo, s4
	v_add_nc_u32_e32 v10, s41, v10
	v_add_nc_u32_e32 v12, s41, v12
	s_add_i32 s14, s48, s14
	s_delay_alu instid0(SALU_CYCLE_1)
	s_cmp_le_i32 s14, s33
	s_cbranch_scc0 .LBB130_63
.LBB130_4:                              ; =>This Loop Header: Depth=1
                                        ;     Child Loop BB130_7 Depth 2
	s_lshl_b32 s3, s14, 5
	v_mov_b32_e32 v44, 0
	v_dual_mov_b32 v45, 0 :: v_dual_add_nc_u32 v14, s3, v56
	v_ashrrev_i32_e32 v11, 31, v10
	v_ashrrev_i32_e32 v13, 31, v12
	s_delay_alu instid0(VALU_DEP_3)
	v_dual_mov_b32 v40, v44 :: v_dual_mov_b32 v41, v45
	v_dual_mov_b32 v47, v45 :: v_dual_mov_b32 v46, v44
	v_ashrrev_i32_e32 v15, 31, v14
	v_dual_mov_b32 v42, v44 :: v_dual_mov_b32 v43, v45
	v_dual_mov_b32 v36, v44 :: v_dual_mov_b32 v37, v45
	v_dual_mov_b32 v38, v44 :: v_dual_mov_b32 v39, v45
	v_dual_mov_b32 v51, v45 :: v_dual_mov_b32 v50, v44
	v_dual_mov_b32 v49, v45 :: v_dual_mov_b32 v48, v44
	s_sub_i32 s15, s10, s3
	s_delay_alu instid0(SALU_CYCLE_1)
	s_cmp_lt_i32 s15, 1
	s_cbranch_scc1 .LBB130_55
; %bb.5:                                ;   in Loop: Header=BB130_4 Depth=1
	v_lshlrev_b64 v[16:17], 4, v[12:13]
	v_sub_co_u32 v18, s3, v12, v10
	v_lshlrev_b64 v[2:3], 4, v[10:11]
	v_sub_co_ci_u32_e64 v19, s3, v13, v11, s3
	s_delay_alu instid0(VALU_DEP_4) | instskip(NEXT) | instid1(VALU_DEP_1)
	v_add_co_u32 v24, s3, 0x100, v16
	v_add_co_ci_u32_e64 v22, s3, 0, v17, s3
	v_mad_u64_u32 v[20:21], null, s22, v12, 0x100
	v_mul_lo_u32 v28, s22, v13
	v_mul_lo_u32 v29, s23, v12
	v_add_co_u32 v2, s3, 0x100, v2
	s_delay_alu instid0(VALU_DEP_1)
	v_add_co_ci_u32_e64 v3, s3, 0, v3, s3
	v_mul_lo_u32 v30, s36, v22
	v_mul_lo_u32 v31, s37, v24
	v_mad_u64_u32 v[22:23], null, s36, v24, 0x100
	v_mad_u64_u32 v[24:25], null, s26, v10, s[20:21]
	v_mul_lo_u32 v32, s26, v11
	v_mul_lo_u32 v33, s27, v10
	;; [unrolled: 1-line block ×4, first 2 shown]
	v_mad_u64_u32 v[26:27], null, s24, v2, s[20:21]
	v_add3_u32 v21, v29, v21, v28
	v_add_co_u32 v28, s3, v14, 16
	s_delay_alu instid0(VALU_DEP_1)
	v_add_co_ci_u32_e64 v29, s3, 0, v15, s3
	v_mov_b32_e32 v48, 0
	v_add3_u32 v23, v31, v23, v30
	v_add_co_u32 v30, s5, v18, 16
	v_mov_b32_e32 v49, 0
	v_add_co_ci_u32_e64 v31, s5, 0, v19, s5
	v_add3_u32 v25, v33, v25, v32
	v_add_co_u32 v32, s5, v18, -16
	v_add3_u32 v27, v34, v27, v3
	v_cmp_le_i64_e64 s4, s[10:11], v[28:29]
	v_dual_mov_b32 v35, v7 :: v_dual_mov_b32 v34, v6
	v_cmp_le_i32_e64 s3, s10, v14
	v_add_co_ci_u32_e64 v33, s5, -1, v19, s5
	v_dual_mov_b32 v51, v49 :: v_dual_mov_b32 v50, v48
	v_dual_mov_b32 v38, v48 :: v_dual_mov_b32 v39, v49
	;; [unrolled: 1-line block ×7, first 2 shown]
	s_mov_b64 s[34:35], 0
	s_branch .LBB130_7
.LBB130_6:                              ;   in Loop: Header=BB130_7 Depth=2
	s_or_b32 exec_lo, exec_lo, s5
	s_waitcnt lgkmcnt(0)
	s_waitcnt_vscnt null, 0x0
	s_barrier
	buffer_gl0_inv
	ds_load_b128 v[52:55], v57
	ds_load_b128 v[65:68], v57 offset:16
	ds_load_b128 v[69:72], v57 offset:32
	;; [unrolled: 1-line block ×3, first 2 shown]
	ds_load_b128 v[77:80], v59
	v_add_co_u32 v34, s5, v34, s28
	s_delay_alu instid0(VALU_DEP_1) | instskip(SKIP_1) | instid1(VALU_DEP_1)
	v_add_co_ci_u32_e64 v35, s5, s29, v35, s5
	v_add_co_u32 v24, s5, v24, s12
	v_add_co_ci_u32_e64 v25, s5, s13, v25, s5
	v_add_co_u32 v26, s5, v26, s12
	s_delay_alu instid0(VALU_DEP_1)
	v_add_co_ci_u32_e64 v27, s5, s13, v27, s5
	s_add_u32 s34, s34, 32
	s_addc_u32 s35, s35, 0
	s_cmp_ge_i32 s34, s15
	s_waitcnt lgkmcnt(0)
	v_mul_f64 v[2:3], v[54:55], v[79:80]
	v_mul_f64 v[81:82], v[52:53], v[79:80]
	s_delay_alu instid0(VALU_DEP_2) | instskip(NEXT) | instid1(VALU_DEP_2)
	v_fma_f64 v[2:3], v[52:53], v[77:78], -v[2:3]
	v_fma_f64 v[81:82], v[54:55], v[77:78], v[81:82]
	s_delay_alu instid0(VALU_DEP_2) | instskip(NEXT) | instid1(VALU_DEP_2)
	v_add_f64 v[2:3], v[44:45], v[2:3]
	v_add_f64 v[81:82], v[46:47], v[81:82]
	ds_load_b128 v[44:47], v64
	s_waitcnt lgkmcnt(0)
	v_mul_f64 v[83:84], v[54:55], v[46:47]
	s_delay_alu instid0(VALU_DEP_1) | instskip(SKIP_1) | instid1(VALU_DEP_1)
	v_fma_f64 v[83:84], v[52:53], v[44:45], -v[83:84]
	v_mul_f64 v[52:53], v[52:53], v[46:47]
	v_fma_f64 v[52:53], v[54:55], v[44:45], v[52:53]
	s_delay_alu instid0(VALU_DEP_3) | instskip(NEXT) | instid1(VALU_DEP_2)
	v_add_f64 v[54:55], v[40:41], v[83:84]
	v_add_f64 v[52:53], v[42:43], v[52:53]
	ds_load_b128 v[40:43], v57 offset:8192
	s_waitcnt lgkmcnt(0)
	v_mul_f64 v[83:84], v[42:43], v[79:80]
	v_mul_f64 v[79:80], v[40:41], v[79:80]
	s_delay_alu instid0(VALU_DEP_2) | instskip(NEXT) | instid1(VALU_DEP_2)
	v_fma_f64 v[83:84], v[40:41], v[77:78], -v[83:84]
	v_fma_f64 v[77:78], v[42:43], v[77:78], v[79:80]
	s_delay_alu instid0(VALU_DEP_2) | instskip(NEXT) | instid1(VALU_DEP_2)
	v_add_f64 v[79:80], v[36:37], v[83:84]
	v_add_f64 v[77:78], v[38:39], v[77:78]
	v_mul_f64 v[36:37], v[42:43], v[46:47]
	v_mul_f64 v[38:39], v[40:41], v[46:47]
	s_delay_alu instid0(VALU_DEP_2) | instskip(NEXT) | instid1(VALU_DEP_2)
	v_fma_f64 v[36:37], v[40:41], v[44:45], -v[36:37]
	v_fma_f64 v[38:39], v[42:43], v[44:45], v[38:39]
	s_delay_alu instid0(VALU_DEP_2) | instskip(NEXT) | instid1(VALU_DEP_2)
	v_add_f64 v[50:51], v[50:51], v[36:37]
	v_add_f64 v[48:49], v[48:49], v[38:39]
	ds_load_b128 v[36:39], v59 offset:512
	s_waitcnt lgkmcnt(0)
	v_mul_f64 v[40:41], v[67:68], v[38:39]
	v_mul_f64 v[42:43], v[65:66], v[38:39]
	s_delay_alu instid0(VALU_DEP_2) | instskip(NEXT) | instid1(VALU_DEP_2)
	v_fma_f64 v[40:41], v[65:66], v[36:37], -v[40:41]
	v_fma_f64 v[42:43], v[67:68], v[36:37], v[42:43]
	s_delay_alu instid0(VALU_DEP_2) | instskip(NEXT) | instid1(VALU_DEP_2)
	v_add_f64 v[2:3], v[2:3], v[40:41]
	v_add_f64 v[81:82], v[81:82], v[42:43]
	ds_load_b128 v[40:43], v64 offset:512
	s_waitcnt lgkmcnt(0)
	;; [unrolled: 10-line block ×3, first 2 shown]
	v_mul_f64 v[65:66], v[46:47], v[38:39]
	v_mul_f64 v[38:39], v[44:45], v[38:39]
	s_delay_alu instid0(VALU_DEP_2) | instskip(NEXT) | instid1(VALU_DEP_2)
	v_fma_f64 v[65:66], v[44:45], v[36:37], -v[65:66]
	v_fma_f64 v[36:37], v[46:47], v[36:37], v[38:39]
	v_mul_f64 v[38:39], v[44:45], v[42:43]
	s_delay_alu instid0(VALU_DEP_3) | instskip(NEXT) | instid1(VALU_DEP_3)
	v_add_f64 v[65:66], v[79:80], v[65:66]
	v_add_f64 v[67:68], v[77:78], v[36:37]
	v_mul_f64 v[36:37], v[46:47], v[42:43]
	s_delay_alu instid0(VALU_DEP_4) | instskip(NEXT) | instid1(VALU_DEP_2)
	v_fma_f64 v[38:39], v[46:47], v[40:41], v[38:39]
	v_fma_f64 v[36:37], v[44:45], v[40:41], -v[36:37]
	s_delay_alu instid0(VALU_DEP_2) | instskip(NEXT) | instid1(VALU_DEP_2)
	v_add_f64 v[48:49], v[48:49], v[38:39]
	v_add_f64 v[50:51], v[50:51], v[36:37]
	ds_load_b128 v[36:39], v59 offset:1024
	s_waitcnt lgkmcnt(0)
	v_mul_f64 v[40:41], v[71:72], v[38:39]
	v_mul_f64 v[42:43], v[69:70], v[38:39]
	s_delay_alu instid0(VALU_DEP_2) | instskip(NEXT) | instid1(VALU_DEP_2)
	v_fma_f64 v[40:41], v[69:70], v[36:37], -v[40:41]
	v_fma_f64 v[42:43], v[71:72], v[36:37], v[42:43]
	s_delay_alu instid0(VALU_DEP_2) | instskip(NEXT) | instid1(VALU_DEP_2)
	v_add_f64 v[2:3], v[2:3], v[40:41]
	v_add_f64 v[77:78], v[81:82], v[42:43]
	ds_load_b128 v[40:43], v64 offset:1024
	s_waitcnt lgkmcnt(0)
	v_mul_f64 v[44:45], v[71:72], v[42:43]
	v_mul_f64 v[46:47], v[69:70], v[42:43]
	s_delay_alu instid0(VALU_DEP_2) | instskip(NEXT) | instid1(VALU_DEP_2)
	v_fma_f64 v[44:45], v[69:70], v[40:41], -v[44:45]
	v_fma_f64 v[46:47], v[71:72], v[40:41], v[46:47]
	;; [unrolled: 10-line block ×3, first 2 shown]
	v_mul_f64 v[38:39], v[44:45], v[42:43]
	s_delay_alu instid0(VALU_DEP_3) | instskip(NEXT) | instid1(VALU_DEP_3)
	v_add_f64 v[65:66], v[65:66], v[69:70]
	v_add_f64 v[67:68], v[67:68], v[36:37]
	v_mul_f64 v[36:37], v[46:47], v[42:43]
	s_delay_alu instid0(VALU_DEP_4) | instskip(NEXT) | instid1(VALU_DEP_2)
	v_fma_f64 v[38:39], v[46:47], v[40:41], v[38:39]
	v_fma_f64 v[36:37], v[44:45], v[40:41], -v[36:37]
	s_delay_alu instid0(VALU_DEP_2) | instskip(NEXT) | instid1(VALU_DEP_2)
	v_add_f64 v[48:49], v[48:49], v[38:39]
	v_add_f64 v[50:51], v[50:51], v[36:37]
	ds_load_b128 v[36:39], v59 offset:1536
	s_waitcnt lgkmcnt(0)
	v_mul_f64 v[40:41], v[75:76], v[38:39]
	v_mul_f64 v[42:43], v[73:74], v[38:39]
	s_delay_alu instid0(VALU_DEP_2) | instskip(NEXT) | instid1(VALU_DEP_2)
	v_fma_f64 v[40:41], v[73:74], v[36:37], -v[40:41]
	v_fma_f64 v[42:43], v[75:76], v[36:37], v[42:43]
	s_delay_alu instid0(VALU_DEP_2) | instskip(NEXT) | instid1(VALU_DEP_2)
	v_add_f64 v[2:3], v[2:3], v[40:41]
	v_add_f64 v[69:70], v[77:78], v[42:43]
	ds_load_b128 v[40:43], v64 offset:1536
	s_waitcnt lgkmcnt(0)
	v_mul_f64 v[44:45], v[75:76], v[42:43]
	v_mul_f64 v[46:47], v[73:74], v[42:43]
	s_delay_alu instid0(VALU_DEP_2) | instskip(NEXT) | instid1(VALU_DEP_2)
	v_fma_f64 v[44:45], v[73:74], v[40:41], -v[44:45]
	v_fma_f64 v[46:47], v[75:76], v[40:41], v[46:47]
	;; [unrolled: 10-line block ×3, first 2 shown]
	v_mul_f64 v[38:39], v[44:45], v[42:43]
	s_delay_alu instid0(VALU_DEP_3) | instskip(NEXT) | instid1(VALU_DEP_3)
	v_add_f64 v[65:66], v[65:66], v[71:72]
	v_add_f64 v[67:68], v[67:68], v[36:37]
	v_mul_f64 v[36:37], v[46:47], v[42:43]
	s_delay_alu instid0(VALU_DEP_4) | instskip(NEXT) | instid1(VALU_DEP_2)
	v_fma_f64 v[38:39], v[46:47], v[40:41], v[38:39]
	v_fma_f64 v[36:37], v[44:45], v[40:41], -v[36:37]
	s_delay_alu instid0(VALU_DEP_2) | instskip(NEXT) | instid1(VALU_DEP_2)
	v_add_f64 v[48:49], v[48:49], v[38:39]
	v_add_f64 v[50:51], v[50:51], v[36:37]
	ds_load_b128 v[36:39], v57 offset:64
	ds_load_b128 v[40:43], v59 offset:2048
	s_waitcnt lgkmcnt(0)
	v_mul_f64 v[44:45], v[38:39], v[42:43]
	v_mul_f64 v[46:47], v[36:37], v[42:43]
	s_delay_alu instid0(VALU_DEP_2) | instskip(NEXT) | instid1(VALU_DEP_2)
	v_fma_f64 v[44:45], v[36:37], v[40:41], -v[44:45]
	v_fma_f64 v[46:47], v[38:39], v[40:41], v[46:47]
	s_delay_alu instid0(VALU_DEP_2) | instskip(NEXT) | instid1(VALU_DEP_2)
	v_add_f64 v[2:3], v[2:3], v[44:45]
	v_add_f64 v[69:70], v[69:70], v[46:47]
	ds_load_b128 v[44:47], v64 offset:2048
	s_waitcnt lgkmcnt(0)
	v_mul_f64 v[71:72], v[38:39], v[46:47]
	s_delay_alu instid0(VALU_DEP_1) | instskip(SKIP_1) | instid1(VALU_DEP_2)
	v_fma_f64 v[71:72], v[36:37], v[44:45], -v[71:72]
	v_mul_f64 v[36:37], v[36:37], v[46:47]
	v_add_f64 v[54:55], v[54:55], v[71:72]
	s_delay_alu instid0(VALU_DEP_2) | instskip(NEXT) | instid1(VALU_DEP_1)
	v_fma_f64 v[36:37], v[38:39], v[44:45], v[36:37]
	v_add_f64 v[52:53], v[52:53], v[36:37]
	ds_load_b128 v[36:39], v57 offset:8256
	s_waitcnt lgkmcnt(0)
	v_mul_f64 v[71:72], v[38:39], v[42:43]
	v_mul_f64 v[42:43], v[36:37], v[42:43]
	s_delay_alu instid0(VALU_DEP_2) | instskip(NEXT) | instid1(VALU_DEP_2)
	v_fma_f64 v[71:72], v[36:37], v[40:41], -v[71:72]
	v_fma_f64 v[40:41], v[38:39], v[40:41], v[42:43]
	s_delay_alu instid0(VALU_DEP_2) | instskip(NEXT) | instid1(VALU_DEP_2)
	v_add_f64 v[65:66], v[65:66], v[71:72]
	v_add_f64 v[67:68], v[67:68], v[40:41]
	v_mul_f64 v[40:41], v[38:39], v[46:47]
	s_delay_alu instid0(VALU_DEP_1) | instskip(SKIP_1) | instid1(VALU_DEP_2)
	v_fma_f64 v[40:41], v[36:37], v[44:45], -v[40:41]
	v_mul_f64 v[36:37], v[36:37], v[46:47]
	v_add_f64 v[50:51], v[50:51], v[40:41]
	s_delay_alu instid0(VALU_DEP_2) | instskip(NEXT) | instid1(VALU_DEP_1)
	v_fma_f64 v[36:37], v[38:39], v[44:45], v[36:37]
	v_add_f64 v[48:49], v[48:49], v[36:37]
	ds_load_b128 v[36:39], v57 offset:80
	ds_load_b128 v[40:43], v59 offset:2560
	s_waitcnt lgkmcnt(0)
	v_mul_f64 v[44:45], v[38:39], v[42:43]
	v_mul_f64 v[46:47], v[36:37], v[42:43]
	s_delay_alu instid0(VALU_DEP_2) | instskip(NEXT) | instid1(VALU_DEP_2)
	v_fma_f64 v[44:45], v[36:37], v[40:41], -v[44:45]
	v_fma_f64 v[46:47], v[38:39], v[40:41], v[46:47]
	s_delay_alu instid0(VALU_DEP_2) | instskip(NEXT) | instid1(VALU_DEP_2)
	v_add_f64 v[2:3], v[2:3], v[44:45]
	v_add_f64 v[69:70], v[69:70], v[46:47]
	ds_load_b128 v[44:47], v64 offset:2560
	s_waitcnt lgkmcnt(0)
	v_mul_f64 v[71:72], v[38:39], v[46:47]
	s_delay_alu instid0(VALU_DEP_1) | instskip(SKIP_1) | instid1(VALU_DEP_2)
	v_fma_f64 v[71:72], v[36:37], v[44:45], -v[71:72]
	v_mul_f64 v[36:37], v[36:37], v[46:47]
	v_add_f64 v[54:55], v[54:55], v[71:72]
	s_delay_alu instid0(VALU_DEP_2) | instskip(NEXT) | instid1(VALU_DEP_1)
	v_fma_f64 v[36:37], v[38:39], v[44:45], v[36:37]
	v_add_f64 v[52:53], v[52:53], v[36:37]
	ds_load_b128 v[36:39], v57 offset:8272
	s_waitcnt lgkmcnt(0)
	v_mul_f64 v[71:72], v[38:39], v[42:43]
	v_mul_f64 v[42:43], v[36:37], v[42:43]
	s_delay_alu instid0(VALU_DEP_2) | instskip(NEXT) | instid1(VALU_DEP_2)
	v_fma_f64 v[71:72], v[36:37], v[40:41], -v[71:72]
	v_fma_f64 v[40:41], v[38:39], v[40:41], v[42:43]
	s_delay_alu instid0(VALU_DEP_2) | instskip(NEXT) | instid1(VALU_DEP_2)
	v_add_f64 v[65:66], v[65:66], v[71:72]
	v_add_f64 v[67:68], v[67:68], v[40:41]
	v_mul_f64 v[40:41], v[38:39], v[46:47]
	s_delay_alu instid0(VALU_DEP_1) | instskip(SKIP_1) | instid1(VALU_DEP_2)
	v_fma_f64 v[40:41], v[36:37], v[44:45], -v[40:41]
	v_mul_f64 v[36:37], v[36:37], v[46:47]
	v_add_f64 v[50:51], v[50:51], v[40:41]
	s_delay_alu instid0(VALU_DEP_2) | instskip(NEXT) | instid1(VALU_DEP_1)
	v_fma_f64 v[36:37], v[38:39], v[44:45], v[36:37]
	;; [unrolled: 39-line block ×26, first 2 shown]
	v_add_f64 v[48:49], v[48:49], v[36:37]
	ds_load_b128 v[36:39], v57 offset:480
	ds_load_b128 v[40:43], v59 offset:15360
	s_waitcnt lgkmcnt(0)
	v_mul_f64 v[44:45], v[38:39], v[42:43]
	v_mul_f64 v[46:47], v[36:37], v[42:43]
	s_delay_alu instid0(VALU_DEP_2) | instskip(NEXT) | instid1(VALU_DEP_2)
	v_fma_f64 v[44:45], v[36:37], v[40:41], -v[44:45]
	v_fma_f64 v[46:47], v[38:39], v[40:41], v[46:47]
	s_delay_alu instid0(VALU_DEP_2) | instskip(NEXT) | instid1(VALU_DEP_2)
	v_add_f64 v[71:72], v[2:3], v[44:45]
	v_add_f64 v[69:70], v[69:70], v[46:47]
	ds_load_b128 v[44:47], v64 offset:15360
	s_waitcnt lgkmcnt(0)
	v_mul_f64 v[2:3], v[38:39], v[46:47]
	s_delay_alu instid0(VALU_DEP_1) | instskip(SKIP_1) | instid1(VALU_DEP_2)
	v_fma_f64 v[2:3], v[36:37], v[44:45], -v[2:3]
	v_mul_f64 v[36:37], v[36:37], v[46:47]
	v_add_f64 v[54:55], v[54:55], v[2:3]
	s_delay_alu instid0(VALU_DEP_2) | instskip(NEXT) | instid1(VALU_DEP_1)
	v_fma_f64 v[36:37], v[38:39], v[44:45], v[36:37]
	v_add_f64 v[73:74], v[52:53], v[36:37]
	ds_load_b128 v[36:39], v57 offset:8672
	s_waitcnt lgkmcnt(0)
	v_mul_f64 v[2:3], v[38:39], v[42:43]
	v_mul_f64 v[42:43], v[36:37], v[42:43]
	s_delay_alu instid0(VALU_DEP_2) | instskip(NEXT) | instid1(VALU_DEP_2)
	v_fma_f64 v[2:3], v[36:37], v[40:41], -v[2:3]
	v_fma_f64 v[40:41], v[38:39], v[40:41], v[42:43]
	s_delay_alu instid0(VALU_DEP_2) | instskip(SKIP_1) | instid1(VALU_DEP_3)
	v_add_f64 v[75:76], v[65:66], v[2:3]
	v_mul_f64 v[2:3], v[38:39], v[46:47]
	v_add_f64 v[77:78], v[67:68], v[40:41]
	s_delay_alu instid0(VALU_DEP_2) | instskip(SKIP_1) | instid1(VALU_DEP_2)
	v_fma_f64 v[2:3], v[36:37], v[44:45], -v[2:3]
	v_mul_f64 v[36:37], v[36:37], v[46:47]
	v_add_f64 v[2:3], v[50:51], v[2:3]
	s_delay_alu instid0(VALU_DEP_2) | instskip(NEXT) | instid1(VALU_DEP_1)
	v_fma_f64 v[36:37], v[38:39], v[44:45], v[36:37]
	v_add_f64 v[48:49], v[48:49], v[36:37]
	ds_load_b128 v[36:39], v57 offset:496
	ds_load_b128 v[50:53], v59 offset:15872
	;; [unrolled: 1-line block ×3, first 2 shown]
	s_waitcnt lgkmcnt(1)
	v_mul_f64 v[40:41], v[38:39], v[52:53]
	v_mul_f64 v[42:43], v[36:37], v[52:53]
	s_delay_alu instid0(VALU_DEP_2) | instskip(NEXT) | instid1(VALU_DEP_2)
	v_fma_f64 v[40:41], v[36:37], v[50:51], -v[40:41]
	v_fma_f64 v[42:43], v[38:39], v[50:51], v[42:43]
	s_delay_alu instid0(VALU_DEP_2) | instskip(NEXT) | instid1(VALU_DEP_2)
	v_add_f64 v[44:45], v[71:72], v[40:41]
	v_add_f64 v[46:47], v[69:70], v[42:43]
	ds_load_b128 v[69:72], v57 offset:8688
	s_waitcnt lgkmcnt(1)
	v_mul_f64 v[40:41], v[38:39], v[67:68]
	s_waitcnt lgkmcnt(0)
	s_barrier
	buffer_gl0_inv
	v_fma_f64 v[40:41], v[36:37], v[65:66], -v[40:41]
	v_mul_f64 v[36:37], v[36:37], v[67:68]
	s_delay_alu instid0(VALU_DEP_2) | instskip(NEXT) | instid1(VALU_DEP_2)
	v_add_f64 v[40:41], v[54:55], v[40:41]
	v_fma_f64 v[36:37], v[38:39], v[65:66], v[36:37]
	v_mul_f64 v[38:39], v[69:70], v[52:53]
	s_delay_alu instid0(VALU_DEP_2) | instskip(SKIP_1) | instid1(VALU_DEP_3)
	v_add_f64 v[42:43], v[73:74], v[36:37]
	v_mul_f64 v[36:37], v[71:72], v[52:53]
	v_fma_f64 v[38:39], v[71:72], v[50:51], v[38:39]
	v_mul_f64 v[52:53], v[69:70], v[67:68]
	s_delay_alu instid0(VALU_DEP_3) | instskip(SKIP_1) | instid1(VALU_DEP_3)
	v_fma_f64 v[36:37], v[69:70], v[50:51], -v[36:37]
	v_mul_f64 v[50:51], v[71:72], v[67:68]
	v_fma_f64 v[52:53], v[71:72], v[65:66], v[52:53]
	v_add_f64 v[38:39], v[77:78], v[38:39]
	s_delay_alu instid0(VALU_DEP_4) | instskip(NEXT) | instid1(VALU_DEP_4)
	v_add_f64 v[36:37], v[75:76], v[36:37]
	v_fma_f64 v[50:51], v[69:70], v[65:66], -v[50:51]
	s_delay_alu instid0(VALU_DEP_4) | instskip(NEXT) | instid1(VALU_DEP_2)
	v_add_f64 v[48:49], v[48:49], v[52:53]
	v_add_f64 v[50:51], v[2:3], v[50:51]
	s_cbranch_scc1 .LBB130_55
.LBB130_7:                              ;   Parent Loop BB130_4 Depth=1
                                        ; =>  This Inner Loop Header: Depth=2
	v_add_co_u32 v52, s5, v10, s34
	s_delay_alu instid0(VALU_DEP_1) | instskip(SKIP_1) | instid1(VALU_DEP_2)
	v_add_co_ci_u32_e64 v53, s5, s35, v11, s5
	v_cmp_eq_u64_e64 s7, s[34:35], v[18:19]
	v_cmp_lt_i64_e64 s5, v[52:53], v[14:15]
	v_cmp_le_i64_e64 s6, s[10:11], v[52:53]
	s_delay_alu instid0(VALU_DEP_3) | instskip(SKIP_1) | instid1(VALU_DEP_3)
	s_and_b32 s43, s40, s7
	v_add_co_u32 v54, s7, v24, v16
	s_or_b32 s8, s3, s5
	v_add_co_ci_u32_e64 v55, s7, v25, v17, s7
	s_delay_alu instid0(VALU_DEP_3) | instskip(NEXT) | instid1(SALU_CYCLE_1)
	s_or_b32 s8, s6, s8
	s_or_b32 s7, s8, s43
	s_delay_alu instid0(SALU_CYCLE_1) | instskip(NEXT) | instid1(SALU_CYCLE_1)
	s_xor_b32 s7, s7, -1
	s_and_saveexec_b32 s8, s7
	s_delay_alu instid0(SALU_CYCLE_1)
	s_xor_b32 s7, exec_lo, s8
	s_cbranch_execz .LBB130_9
; %bb.8:                                ;   in Loop: Header=BB130_7 Depth=2
	global_load_b128 v[65:68], v[54:55], off
	s_waitcnt vmcnt(0)
	v_xor_b32_e32 v68, 0x80000000, v68
	ds_store_b128 v58, v[65:68]
.LBB130_9:                              ;   in Loop: Header=BB130_7 Depth=2
	s_or_saveexec_b32 s7, s7
	s_xor_b32 s42, s43, -1
	s_xor_b32 exec_lo, exec_lo, s7
	s_cbranch_execz .LBB130_15
; %bb.10:                               ;   in Loop: Header=BB130_7 Depth=2
	s_and_saveexec_b32 s8, s42
	s_delay_alu instid0(SALU_CYCLE_1)
	s_xor_b32 s8, exec_lo, s8
	s_cbranch_execz .LBB130_12
; %bb.11:                               ;   in Loop: Header=BB130_7 Depth=2
	v_mov_b32_e32 v65, v0
	v_mov_b32_e32 v66, v0
	;; [unrolled: 1-line block ×4, first 2 shown]
	ds_store_b128 v58, v[65:68]
.LBB130_12:                             ;   in Loop: Header=BB130_7 Depth=2
	s_and_not1_saveexec_b32 s8, s8
	s_cbranch_execz .LBB130_14
; %bb.13:                               ;   in Loop: Header=BB130_7 Depth=2
	v_mov_b32_e32 v2, v0
	v_mov_b32_e32 v3, v0
	ds_store_b128 v58, v[0:3]
.LBB130_14:                             ;   in Loop: Header=BB130_7 Depth=2
	s_or_b32 exec_lo, exec_lo, s8
.LBB130_15:                             ;   in Loop: Header=BB130_7 Depth=2
	s_delay_alu instid0(SALU_CYCLE_1) | instskip(SKIP_1) | instid1(VALU_DEP_1)
	s_or_b32 exec_lo, exec_lo, s7
	v_add_co_u32 v2, s7, v52, 16
	v_add_co_ci_u32_e64 v3, s7, 0, v53, s7
	v_cmp_eq_u64_e64 s9, s[34:35], v[32:33]
	s_delay_alu instid0(VALU_DEP_2) | instskip(SKIP_1) | instid1(VALU_DEP_3)
	v_cmp_lt_i64_e64 s8, v[2:3], v[14:15]
	v_cmp_le_i64_e64 s7, s[10:11], v[2:3]
	s_and_b32 s9, s40, s9
	s_delay_alu instid0(VALU_DEP_2)
	s_or_b32 s8, s3, s8
	s_delay_alu instid0(VALU_DEP_1) | instid1(SALU_CYCLE_1)
	s_or_b32 s8, s7, s8
	s_delay_alu instid0(SALU_CYCLE_1) | instskip(NEXT) | instid1(SALU_CYCLE_1)
	s_or_b32 s8, s8, s9
	s_xor_b32 s8, s8, -1
	s_delay_alu instid0(SALU_CYCLE_1) | instskip(NEXT) | instid1(SALU_CYCLE_1)
	s_and_saveexec_b32 s46, s8
	s_xor_b32 s46, exec_lo, s46
	s_cbranch_execz .LBB130_17
; %bb.16:                               ;   in Loop: Header=BB130_7 Depth=2
	v_add_co_u32 v2, s8, v26, v16
	s_delay_alu instid0(VALU_DEP_1)
	v_add_co_ci_u32_e64 v3, s8, v27, v17, s8
	global_load_b128 v[65:68], v[2:3], off
	s_waitcnt vmcnt(0)
	v_xor_b32_e32 v68, 0x80000000, v68
	ds_store_b128 v58, v[65:68] offset:256
.LBB130_17:                             ;   in Loop: Header=BB130_7 Depth=2
	s_and_not1_saveexec_b32 s8, s46
	s_cbranch_execz .LBB130_23
; %bb.18:                               ;   in Loop: Header=BB130_7 Depth=2
	s_xor_b32 s9, s9, -1
	s_delay_alu instid0(SALU_CYCLE_1) | instskip(NEXT) | instid1(SALU_CYCLE_1)
	s_and_saveexec_b32 s46, s9
	s_xor_b32 s9, exec_lo, s46
	s_cbranch_execz .LBB130_20
; %bb.19:                               ;   in Loop: Header=BB130_7 Depth=2
	v_mov_b32_e32 v65, v0
	v_mov_b32_e32 v66, v0
	;; [unrolled: 1-line block ×4, first 2 shown]
	ds_store_b128 v58, v[65:68] offset:256
.LBB130_20:                             ;   in Loop: Header=BB130_7 Depth=2
	s_and_not1_saveexec_b32 s9, s9
	s_cbranch_execz .LBB130_22
; %bb.21:                               ;   in Loop: Header=BB130_7 Depth=2
	v_mov_b32_e32 v2, v0
	v_mov_b32_e32 v3, v0
	ds_store_b128 v58, v[0:3] offset:256
.LBB130_22:                             ;   in Loop: Header=BB130_7 Depth=2
	s_or_b32 exec_lo, exec_lo, s9
.LBB130_23:                             ;   in Loop: Header=BB130_7 Depth=2
	s_delay_alu instid0(SALU_CYCLE_1) | instskip(SKIP_2) | instid1(VALU_DEP_2)
	s_or_b32 exec_lo, exec_lo, s8
	v_cmp_eq_u64_e64 s8, s[34:35], v[30:31]
	v_cmp_lt_i64_e64 s9, v[52:53], v[28:29]
	s_and_b32 s8, s40, s8
	s_delay_alu instid0(VALU_DEP_1) | instskip(NEXT) | instid1(SALU_CYCLE_1)
	s_or_b32 s9, s4, s9
	s_or_b32 s9, s9, s8
	s_delay_alu instid0(SALU_CYCLE_1) | instskip(NEXT) | instid1(SALU_CYCLE_1)
	s_or_b32 s6, s6, s9
	s_xor_b32 s6, s6, -1
	s_delay_alu instid0(SALU_CYCLE_1) | instskip(NEXT) | instid1(SALU_CYCLE_1)
	s_and_saveexec_b32 s9, s6
	s_xor_b32 s6, exec_lo, s9
	s_cbranch_execz .LBB130_25
; %bb.24:                               ;   in Loop: Header=BB130_7 Depth=2
	global_load_b128 v[52:55], v[54:55], off offset:256
	s_waitcnt vmcnt(0)
	v_xor_b32_e32 v55, 0x80000000, v55
	ds_store_b128 v58, v[52:55] offset:8192
.LBB130_25:                             ;   in Loop: Header=BB130_7 Depth=2
	s_and_not1_saveexec_b32 s6, s6
	s_cbranch_execz .LBB130_31
; %bb.26:                               ;   in Loop: Header=BB130_7 Depth=2
	s_xor_b32 s8, s8, -1
	s_delay_alu instid0(SALU_CYCLE_1) | instskip(NEXT) | instid1(SALU_CYCLE_1)
	s_and_saveexec_b32 s9, s8
	s_xor_b32 s8, exec_lo, s9
	s_cbranch_execz .LBB130_28
; %bb.27:                               ;   in Loop: Header=BB130_7 Depth=2
	v_mov_b32_e32 v52, v0
	v_mov_b32_e32 v53, v0
	v_mov_b32_e32 v54, v0
	v_mov_b32_e32 v55, v0
	ds_store_b128 v58, v[52:55] offset:8192
.LBB130_28:                             ;   in Loop: Header=BB130_7 Depth=2
	s_and_not1_saveexec_b32 s8, s8
	s_cbranch_execz .LBB130_30
; %bb.29:                               ;   in Loop: Header=BB130_7 Depth=2
	v_mov_b32_e32 v2, v0
	v_mov_b32_e32 v3, v0
	ds_store_b128 v58, v[0:3] offset:8192
.LBB130_30:                             ;   in Loop: Header=BB130_7 Depth=2
	s_or_b32 exec_lo, exec_lo, s8
.LBB130_31:                             ;   in Loop: Header=BB130_7 Depth=2
	s_delay_alu instid0(SALU_CYCLE_1) | instskip(SKIP_1) | instid1(SALU_CYCLE_1)
	s_or_b32 exec_lo, exec_lo, s6
	s_or_b32 s5, s4, s5
	s_or_b32 s5, s7, s5
	s_delay_alu instid0(SALU_CYCLE_1) | instskip(NEXT) | instid1(SALU_CYCLE_1)
	s_or_b32 s5, s5, s43
	s_xor_b32 s5, s5, -1
	s_delay_alu instid0(SALU_CYCLE_1) | instskip(NEXT) | instid1(SALU_CYCLE_1)
	s_and_saveexec_b32 s6, s5
	s_xor_b32 s6, exec_lo, s6
	s_cbranch_execz .LBB130_33
; %bb.32:                               ;   in Loop: Header=BB130_7 Depth=2
	v_add_co_u32 v2, s5, v26, v16
	s_delay_alu instid0(VALU_DEP_1)
	v_add_co_ci_u32_e64 v3, s5, v27, v17, s5
	global_load_b128 v[52:55], v[2:3], off offset:256
	s_waitcnt vmcnt(0)
	v_xor_b32_e32 v55, 0x80000000, v55
	ds_store_b128 v58, v[52:55] offset:8448
.LBB130_33:                             ;   in Loop: Header=BB130_7 Depth=2
	s_and_not1_saveexec_b32 s5, s6
	s_cbranch_execz .LBB130_39
; %bb.34:                               ;   in Loop: Header=BB130_7 Depth=2
	s_and_saveexec_b32 s6, s42
	s_delay_alu instid0(SALU_CYCLE_1)
	s_xor_b32 s6, exec_lo, s6
	s_cbranch_execz .LBB130_36
; %bb.35:                               ;   in Loop: Header=BB130_7 Depth=2
	v_mov_b32_e32 v52, v0
	v_mov_b32_e32 v53, v0
	;; [unrolled: 1-line block ×4, first 2 shown]
	ds_store_b128 v58, v[52:55] offset:8448
.LBB130_36:                             ;   in Loop: Header=BB130_7 Depth=2
	s_and_not1_saveexec_b32 s6, s6
	s_cbranch_execz .LBB130_38
; %bb.37:                               ;   in Loop: Header=BB130_7 Depth=2
	v_mov_b32_e32 v2, v0
	v_mov_b32_e32 v3, v0
	ds_store_b128 v58, v[0:3] offset:8448
.LBB130_38:                             ;   in Loop: Header=BB130_7 Depth=2
	s_or_b32 exec_lo, exec_lo, s6
.LBB130_39:                             ;   in Loop: Header=BB130_7 Depth=2
	s_delay_alu instid0(SALU_CYCLE_1) | instskip(SKIP_1) | instid1(VALU_DEP_1)
	s_or_b32 exec_lo, exec_lo, s5
	v_add_co_u32 v2, s5, v12, s34
	v_add_co_ci_u32_e64 v3, s5, s35, v13, s5
	v_add_co_u32 v52, s6, v34, v20
	s_delay_alu instid0(VALU_DEP_1) | instskip(NEXT) | instid1(VALU_DEP_3)
	v_add_co_ci_u32_e64 v53, s6, v35, v21, s6
	v_cmp_le_i64_e64 s5, s[10:11], v[2:3]
	s_delay_alu instid0(VALU_DEP_1) | instskip(NEXT) | instid1(SALU_CYCLE_1)
	s_or_b32 s6, s5, vcc_lo
	s_xor_b32 s6, s6, -1
	s_delay_alu instid0(SALU_CYCLE_1) | instskip(NEXT) | instid1(SALU_CYCLE_1)
	s_and_saveexec_b32 s7, s6
	s_xor_b32 s6, exec_lo, s7
	s_cbranch_execz .LBB130_41
; %bb.40:                               ;   in Loop: Header=BB130_7 Depth=2
	global_load_b128 v[65:68], v[52:53], off offset:-256
	s_waitcnt vmcnt(0)
	ds_store_2addr_b64 v60, v[65:66], v[67:68] offset1:1
.LBB130_41:                             ;   in Loop: Header=BB130_7 Depth=2
	s_and_not1_saveexec_b32 s6, s6
	s_cbranch_execz .LBB130_43
; %bb.42:                               ;   in Loop: Header=BB130_7 Depth=2
	v_mov_b32_e32 v65, v0
	v_mov_b32_e32 v66, v0
	v_mov_b32_e32 v67, v0
	v_mov_b32_e32 v68, v0
	ds_store_b128 v60, v[65:68]
.LBB130_43:                             ;   in Loop: Header=BB130_7 Depth=2
	s_or_b32 exec_lo, exec_lo, s6
	s_or_b32 s5, s5, s0
	s_delay_alu instid0(SALU_CYCLE_1) | instskip(NEXT) | instid1(SALU_CYCLE_1)
	s_xor_b32 s5, s5, -1
	s_and_saveexec_b32 s6, s5
	s_delay_alu instid0(SALU_CYCLE_1)
	s_xor_b32 s5, exec_lo, s6
	s_cbranch_execz .LBB130_45
; %bb.44:                               ;   in Loop: Header=BB130_7 Depth=2
	global_load_b128 v[52:55], v[52:53], off
	s_waitcnt vmcnt(0)
	ds_store_2addr_b64 v61, v[52:53], v[54:55] offset1:1
.LBB130_45:                             ;   in Loop: Header=BB130_7 Depth=2
	s_and_not1_saveexec_b32 s5, s5
	s_cbranch_execz .LBB130_47
; %bb.46:                               ;   in Loop: Header=BB130_7 Depth=2
	v_mov_b32_e32 v52, v0
	v_mov_b32_e32 v53, v0
	;; [unrolled: 1-line block ×4, first 2 shown]
	ds_store_b128 v61, v[52:55]
.LBB130_47:                             ;   in Loop: Header=BB130_7 Depth=2
	s_or_b32 exec_lo, exec_lo, s5
	v_cmp_le_i64_e64 s5, s[30:31], v[2:3]
	s_delay_alu instid0(VALU_DEP_1) | instskip(NEXT) | instid1(SALU_CYCLE_1)
	s_or_b32 s6, s5, vcc_lo
	s_xor_b32 s6, s6, -1
	s_delay_alu instid0(SALU_CYCLE_1) | instskip(NEXT) | instid1(SALU_CYCLE_1)
	s_and_saveexec_b32 s7, s6
	s_xor_b32 s7, exec_lo, s7
	s_cbranch_execz .LBB130_49
; %bb.48:                               ;   in Loop: Header=BB130_7 Depth=2
	v_add_co_u32 v2, s6, v34, v22
	s_delay_alu instid0(VALU_DEP_1)
	v_add_co_ci_u32_e64 v3, s6, v35, v23, s6
	global_load_b128 v[52:55], v[2:3], off offset:-256
	s_waitcnt vmcnt(0)
	ds_store_2addr_b64 v62, v[52:53], v[54:55] offset1:1
.LBB130_49:                             ;   in Loop: Header=BB130_7 Depth=2
	s_and_not1_saveexec_b32 s6, s7
	s_cbranch_execz .LBB130_51
; %bb.50:                               ;   in Loop: Header=BB130_7 Depth=2
	v_mov_b32_e32 v52, v0
	v_mov_b32_e32 v53, v0
	v_mov_b32_e32 v54, v0
	v_mov_b32_e32 v55, v0
	ds_store_b128 v62, v[52:55]
.LBB130_51:                             ;   in Loop: Header=BB130_7 Depth=2
	s_or_b32 exec_lo, exec_lo, s6
	s_or_b32 s5, s5, s0
	s_delay_alu instid0(SALU_CYCLE_1) | instskip(NEXT) | instid1(SALU_CYCLE_1)
	s_xor_b32 s5, s5, -1
	s_and_saveexec_b32 s6, s5
	s_delay_alu instid0(SALU_CYCLE_1)
	s_xor_b32 s6, exec_lo, s6
	s_cbranch_execz .LBB130_53
; %bb.52:                               ;   in Loop: Header=BB130_7 Depth=2
	v_add_co_u32 v2, s5, v34, v22
	s_delay_alu instid0(VALU_DEP_1)
	v_add_co_ci_u32_e64 v3, s5, v35, v23, s5
	global_load_b128 v[52:55], v[2:3], off
	s_waitcnt vmcnt(0)
	ds_store_2addr_b64 v63, v[52:53], v[54:55] offset1:1
.LBB130_53:                             ;   in Loop: Header=BB130_7 Depth=2
	s_and_not1_saveexec_b32 s5, s6
	s_cbranch_execz .LBB130_6
; %bb.54:                               ;   in Loop: Header=BB130_7 Depth=2
	v_mov_b32_e32 v52, v0
	v_mov_b32_e32 v53, v0
	v_mov_b32_e32 v54, v0
	v_mov_b32_e32 v55, v0
	ds_store_b128 v63, v[52:55]
	s_branch .LBB130_6
.LBB130_55:                             ;   in Loop: Header=BB130_4 Depth=1
	v_mul_lo_u32 v11, v15, s44
	v_mul_lo_u32 v13, v14, s45
	v_mad_u64_u32 v[2:3], null, v14, s44, 0
	v_cmp_gt_i32_e64 s3, s10, v14
	s_delay_alu instid0(VALU_DEP_2) | instskip(NEXT) | instid1(VALU_DEP_1)
	v_add3_u32 v3, v3, v13, v11
	v_lshlrev_b64 v[2:3], 4, v[2:3]
	s_delay_alu instid0(VALU_DEP_1) | instskip(NEXT) | instid1(VALU_DEP_1)
	v_add_co_u32 v2, s4, s38, v2
	v_add_co_ci_u32_e64 v3, s4, s39, v3, s4
	s_and_b32 s4, s1, s3
	s_delay_alu instid0(SALU_CYCLE_1)
	s_and_saveexec_b32 s5, s4
	s_cbranch_execz .LBB130_57
; %bb.56:                               ;   in Loop: Header=BB130_4 Depth=1
	v_add_co_u32 v19, s4, v2, v4
	s_delay_alu instid0(VALU_DEP_1)
	v_add_co_ci_u32_e64 v20, s4, v3, v5, s4
	v_mul_f64 v[21:22], s[18:19], v[46:47]
	v_mul_f64 v[23:24], s[16:17], v[46:47]
	global_load_b128 v[15:18], v[19:20], off
	v_fma_f64 v[21:22], s[16:17], v[44:45], -v[21:22]
	v_fma_f64 v[23:24], s[18:19], v[44:45], v[23:24]
	s_waitcnt vmcnt(0)
	s_delay_alu instid0(VALU_DEP_2) | instskip(NEXT) | instid1(VALU_DEP_2)
	v_add_f64 v[15:16], v[15:16], v[21:22]
	v_add_f64 v[17:18], v[17:18], v[23:24]
	global_store_b128 v[19:20], v[15:18], off
.LBB130_57:                             ;   in Loop: Header=BB130_4 Depth=1
	s_or_b32 exec_lo, exec_lo, s5
	s_and_b32 s3, s2, s3
	s_delay_alu instid0(SALU_CYCLE_1)
	s_and_saveexec_b32 s4, s3
	s_cbranch_execz .LBB130_59
; %bb.58:                               ;   in Loop: Header=BB130_4 Depth=1
	v_lshlrev_b64 v[15:16], 4, v[8:9]
	v_mul_f64 v[19:20], s[18:19], v[42:43]
	v_mul_f64 v[21:22], s[16:17], v[42:43]
	s_delay_alu instid0(VALU_DEP_3) | instskip(NEXT) | instid1(VALU_DEP_1)
	v_add_co_u32 v2, s3, v2, v15
	v_add_co_ci_u32_e64 v3, s3, v3, v16, s3
	global_load_b128 v[15:18], v[2:3], off
	v_fma_f64 v[19:20], s[16:17], v[40:41], -v[19:20]
	v_fma_f64 v[21:22], s[18:19], v[40:41], v[21:22]
	s_waitcnt vmcnt(0)
	s_delay_alu instid0(VALU_DEP_2) | instskip(NEXT) | instid1(VALU_DEP_2)
	v_add_f64 v[15:16], v[15:16], v[19:20]
	v_add_f64 v[17:18], v[17:18], v[21:22]
	global_store_b128 v[2:3], v[15:18], off
.LBB130_59:                             ;   in Loop: Header=BB130_4 Depth=1
	s_or_b32 exec_lo, exec_lo, s4
	v_add_nc_u32_e32 v11, 16, v14
	s_delay_alu instid0(VALU_DEP_1) | instskip(SKIP_3) | instid1(VALU_DEP_4)
	v_ashrrev_i32_e32 v13, 31, v11
	v_mul_lo_u32 v14, v11, s45
	v_mad_u64_u32 v[2:3], null, v11, s44, 0
	v_cmp_gt_i32_e64 s3, s10, v11
	v_mul_lo_u32 v13, v13, s44
	s_delay_alu instid0(VALU_DEP_1) | instskip(NEXT) | instid1(VALU_DEP_1)
	v_add3_u32 v3, v3, v14, v13
	v_lshlrev_b64 v[2:3], 4, v[2:3]
	s_delay_alu instid0(VALU_DEP_1) | instskip(NEXT) | instid1(VALU_DEP_1)
	v_add_co_u32 v2, s4, s38, v2
	v_add_co_ci_u32_e64 v3, s4, s39, v3, s4
	s_and_b32 s4, s1, s3
	s_delay_alu instid0(SALU_CYCLE_1)
	s_and_saveexec_b32 s5, s4
	s_cbranch_execz .LBB130_61
; %bb.60:                               ;   in Loop: Header=BB130_4 Depth=1
	v_add_co_u32 v17, s4, v2, v4
	s_delay_alu instid0(VALU_DEP_1)
	v_add_co_ci_u32_e64 v18, s4, v3, v5, s4
	v_mul_f64 v[19:20], s[18:19], v[38:39]
	v_mul_f64 v[21:22], s[16:17], v[38:39]
	global_load_b128 v[13:16], v[17:18], off
	v_fma_f64 v[19:20], s[16:17], v[36:37], -v[19:20]
	v_fma_f64 v[21:22], s[18:19], v[36:37], v[21:22]
	s_waitcnt vmcnt(0)
	s_delay_alu instid0(VALU_DEP_2) | instskip(NEXT) | instid1(VALU_DEP_2)
	v_add_f64 v[13:14], v[13:14], v[19:20]
	v_add_f64 v[15:16], v[15:16], v[21:22]
	global_store_b128 v[17:18], v[13:16], off
.LBB130_61:                             ;   in Loop: Header=BB130_4 Depth=1
	s_or_b32 exec_lo, exec_lo, s5
	s_and_b32 s3, s2, s3
	s_delay_alu instid0(SALU_CYCLE_1)
	s_and_saveexec_b32 s4, s3
	s_cbranch_execz .LBB130_3
; %bb.62:                               ;   in Loop: Header=BB130_4 Depth=1
	v_lshlrev_b64 v[13:14], 4, v[8:9]
	v_mul_f64 v[17:18], s[18:19], v[48:49]
	v_mul_f64 v[19:20], s[16:17], v[48:49]
	s_delay_alu instid0(VALU_DEP_3) | instskip(NEXT) | instid1(VALU_DEP_1)
	v_add_co_u32 v2, s3, v2, v13
	v_add_co_ci_u32_e64 v3, s3, v3, v14, s3
	global_load_b128 v[13:16], v[2:3], off
	v_fma_f64 v[17:18], s[16:17], v[50:51], -v[17:18]
	v_fma_f64 v[19:20], s[18:19], v[50:51], v[19:20]
	s_waitcnt vmcnt(0)
	s_delay_alu instid0(VALU_DEP_2) | instskip(NEXT) | instid1(VALU_DEP_2)
	v_add_f64 v[13:14], v[13:14], v[17:18]
	v_add_f64 v[15:16], v[15:16], v[19:20]
	global_store_b128 v[2:3], v[13:16], off
	s_branch .LBB130_3
.LBB130_63:
	s_nop 0
	s_sendmsg sendmsg(MSG_DEALLOC_VGPRS)
	s_endpgm
	.section	.rodata,"a",@progbits
	.p2align	6, 0x0
	.amdhsa_kernel _ZL30rocblas_trmm_outofplace_kernelI19rocblas_complex_numIdELi32ELi2ELb0ELb1ELb1ELb1EPKS1_S2_S1_Ev17rocblas_diagonal_iiT6_lPT7_lllS7_lllPT8_llli
		.amdhsa_group_segment_fixed_size 32768
		.amdhsa_private_segment_fixed_size 0
		.amdhsa_kernarg_size 392
		.amdhsa_user_sgpr_count 13
		.amdhsa_user_sgpr_dispatch_ptr 0
		.amdhsa_user_sgpr_queue_ptr 0
		.amdhsa_user_sgpr_kernarg_segment_ptr 1
		.amdhsa_user_sgpr_dispatch_id 0
		.amdhsa_user_sgpr_private_segment_size 0
		.amdhsa_wavefront_size32 1
		.amdhsa_uses_dynamic_stack 0
		.amdhsa_enable_private_segment 0
		.amdhsa_system_sgpr_workgroup_id_x 1
		.amdhsa_system_sgpr_workgroup_id_y 1
		.amdhsa_system_sgpr_workgroup_id_z 1
		.amdhsa_system_sgpr_workgroup_info 0
		.amdhsa_system_vgpr_workitem_id 1
		.amdhsa_next_free_vgpr 85
		.amdhsa_next_free_sgpr 49
		.amdhsa_reserve_vcc 1
		.amdhsa_float_round_mode_32 0
		.amdhsa_float_round_mode_16_64 0
		.amdhsa_float_denorm_mode_32 3
		.amdhsa_float_denorm_mode_16_64 3
		.amdhsa_dx10_clamp 1
		.amdhsa_ieee_mode 1
		.amdhsa_fp16_overflow 0
		.amdhsa_workgroup_processor_mode 1
		.amdhsa_memory_ordered 1
		.amdhsa_forward_progress 0
		.amdhsa_shared_vgpr_count 0
		.amdhsa_exception_fp_ieee_invalid_op 0
		.amdhsa_exception_fp_denorm_src 0
		.amdhsa_exception_fp_ieee_div_zero 0
		.amdhsa_exception_fp_ieee_overflow 0
		.amdhsa_exception_fp_ieee_underflow 0
		.amdhsa_exception_fp_ieee_inexact 0
		.amdhsa_exception_int_div_zero 0
	.end_amdhsa_kernel
	.section	.text._ZL30rocblas_trmm_outofplace_kernelI19rocblas_complex_numIdELi32ELi2ELb0ELb1ELb1ELb1EPKS1_S2_S1_Ev17rocblas_diagonal_iiT6_lPT7_lllS7_lllPT8_llli,"axG",@progbits,_ZL30rocblas_trmm_outofplace_kernelI19rocblas_complex_numIdELi32ELi2ELb0ELb1ELb1ELb1EPKS1_S2_S1_Ev17rocblas_diagonal_iiT6_lPT7_lllS7_lllPT8_llli,comdat
.Lfunc_end130:
	.size	_ZL30rocblas_trmm_outofplace_kernelI19rocblas_complex_numIdELi32ELi2ELb0ELb1ELb1ELb1EPKS1_S2_S1_Ev17rocblas_diagonal_iiT6_lPT7_lllS7_lllPT8_llli, .Lfunc_end130-_ZL30rocblas_trmm_outofplace_kernelI19rocblas_complex_numIdELi32ELi2ELb0ELb1ELb1ELb1EPKS1_S2_S1_Ev17rocblas_diagonal_iiT6_lPT7_lllS7_lllPT8_llli
                                        ; -- End function
	.section	.AMDGPU.csdata,"",@progbits
; Kernel info:
; codeLenInByte = 11564
; NumSgprs: 51
; NumVgprs: 85
; ScratchSize: 0
; MemoryBound: 0
; FloatMode: 240
; IeeeMode: 1
; LDSByteSize: 32768 bytes/workgroup (compile time only)
; SGPRBlocks: 6
; VGPRBlocks: 10
; NumSGPRsForWavesPerEU: 51
; NumVGPRsForWavesPerEU: 85
; Occupancy: 16
; WaveLimiterHint : 0
; COMPUTE_PGM_RSRC2:SCRATCH_EN: 0
; COMPUTE_PGM_RSRC2:USER_SGPR: 13
; COMPUTE_PGM_RSRC2:TRAP_HANDLER: 0
; COMPUTE_PGM_RSRC2:TGID_X_EN: 1
; COMPUTE_PGM_RSRC2:TGID_Y_EN: 1
; COMPUTE_PGM_RSRC2:TGID_Z_EN: 1
; COMPUTE_PGM_RSRC2:TIDIG_COMP_CNT: 1
	.section	.text._ZL30rocblas_trmm_outofplace_kernelI19rocblas_complex_numIdELi32ELi2ELb0ELb1ELb1ELb1ES1_KS1_S1_Ev17rocblas_diagonal_iiT6_lPT7_lllS6_lllPT8_llli,"axG",@progbits,_ZL30rocblas_trmm_outofplace_kernelI19rocblas_complex_numIdELi32ELi2ELb0ELb1ELb1ELb1ES1_KS1_S1_Ev17rocblas_diagonal_iiT6_lPT7_lllS6_lllPT8_llli,comdat
	.globl	_ZL30rocblas_trmm_outofplace_kernelI19rocblas_complex_numIdELi32ELi2ELb0ELb1ELb1ELb1ES1_KS1_S1_Ev17rocblas_diagonal_iiT6_lPT7_lllS6_lllPT8_llli ; -- Begin function _ZL30rocblas_trmm_outofplace_kernelI19rocblas_complex_numIdELi32ELi2ELb0ELb1ELb1ELb1ES1_KS1_S1_Ev17rocblas_diagonal_iiT6_lPT7_lllS6_lllPT8_llli
	.p2align	8
	.type	_ZL30rocblas_trmm_outofplace_kernelI19rocblas_complex_numIdELi32ELi2ELb0ELb1ELb1ELb1ES1_KS1_S1_Ev17rocblas_diagonal_iiT6_lPT7_lllS6_lllPT8_llli,@function
_ZL30rocblas_trmm_outofplace_kernelI19rocblas_complex_numIdELi32ELi2ELb0ELb1ELb1ELb1ES1_KS1_S1_Ev17rocblas_diagonal_iiT6_lPT7_lllS6_lllPT8_llli: ; @_ZL30rocblas_trmm_outofplace_kernelI19rocblas_complex_numIdELi32ELi2ELb0ELb1ELb1ELb1ES1_KS1_S1_Ev17rocblas_diagonal_iiT6_lPT7_lllS6_lllPT8_llli
; %bb.0:
	s_load_b128 s[44:47], s[0:1], 0x10
	s_waitcnt lgkmcnt(0)
	v_cmp_eq_f64_e64 s2, s[44:45], 0
	v_cmp_eq_f64_e64 s3, s[46:47], 0
	s_delay_alu instid0(VALU_DEP_1) | instskip(NEXT) | instid1(SALU_CYCLE_1)
	s_and_b32 s2, s2, s3
	s_and_b32 vcc_lo, exec_lo, s2
	s_cbranch_vccnz .LBB131_63
; %bb.1:
	s_load_b128 s[8:11], s[0:1], 0x0
	s_waitcnt lgkmcnt(0)
	s_add_i32 s2, s10, -1
	s_delay_alu instid0(SALU_CYCLE_1) | instskip(NEXT) | instid1(SALU_CYCLE_1)
	s_ashr_i32 s3, s2, 31
	s_lshr_b32 s3, s3, 27
	s_delay_alu instid0(SALU_CYCLE_1) | instskip(NEXT) | instid1(SALU_CYCLE_1)
	s_add_i32 s2, s2, s3
	s_ashr_i32 s33, s2, 5
	s_delay_alu instid0(SALU_CYCLE_1)
	s_cmp_gt_i32 s14, s33
	s_cbranch_scc1 .LBB131_63
; %bb.2:
	s_clause 0x2
	s_load_b512 s[16:31], s[0:1], 0x28
	s_load_b256 s[36:43], s[0:1], 0x68
	s_load_b32 s34, s[0:1], 0x94
	v_and_b32_e32 v10, 0x3ff, v0
	v_bfe_u32 v56, v0, 10, 10
	s_delay_alu instid0(VALU_DEP_2) | instskip(SKIP_1) | instid1(VALU_DEP_3)
	v_lshl_add_u32 v0, s13, 5, v10
	v_lshlrev_b32_e32 v11, 4, v10
	v_lshlrev_b32_e32 v57, 9, v56
	s_delay_alu instid0(VALU_DEP_3) | instskip(SKIP_2) | instid1(VALU_DEP_3)
	v_ashrrev_i32_e32 v1, 31, v0
	v_sub_co_u32 v2, vcc_lo, s9, v0
	v_add_nc_u32_e32 v8, 16, v0
	v_lshlrev_b64 v[4:5], 4, v[0:1]
	s_waitcnt lgkmcnt(0)
	s_mul_i32 s1, s15, s31
	s_mul_hi_u32 s2, s15, s30
	s_mul_i32 s0, s15, s30
	s_add_i32 s1, s2, s1
	s_mul_i32 s3, s15, s43
	s_lshl_b64 s[0:1], s[0:1], 4
	s_mul_hi_u32 s4, s15, s42
	s_add_u32 s5, s24, s0
	s_addc_u32 s6, s25, s1
	s_lshl_b64 s[0:1], s[26:27], 4
	s_mul_i32 s2, s15, s42
	s_add_u32 s5, s5, s0
	s_addc_u32 s6, s6, s1
	s_add_i32 s3, s4, s3
	s_mul_i32 s4, s23, s15
	s_lshl_b64 s[0:1], s[2:3], 4
	v_ashrrev_i32_e32 v9, 31, v8
	s_add_u32 s2, s36, s0
	s_addc_u32 s3, s37, s1
	s_lshl_b64 s[0:1], s[38:39], 4
	s_delay_alu instid0(SALU_CYCLE_1)
	s_add_u32 s35, s2, s0
	s_addc_u32 s36, s3, s1
	s_cmpk_eq_i32 s8, 0x84
	v_cmp_gt_i32_e64 s1, s9, v0
	v_mov_b32_e32 v0, 0
	v_or_b32_e32 v59, 0x4000, v11
	s_cselect_b32 s37, -1, 0
	s_ashr_i32 s0, s9, 31
	s_ashr_i32 s11, s10, 31
	v_sub_co_ci_u32_e32 v3, vcc_lo, s0, v1, vcc_lo
	v_add_co_u32 v6, vcc_lo, s5, v4
	s_lshl_b64 s[12:13], s[20:21], 9
	s_lshl_b64 s[24:25], s[28:29], 9
	s_mul_hi_u32 s5, s22, s15
	v_add_nc_u32_e32 v60, v59, v57
	s_add_u32 s26, s10, -16
	s_addc_u32 s27, s11, -1
	s_add_i32 s5, s5, s4
	s_mul_i32 s4, s22, s15
	v_add_co_ci_u32_e32 v7, vcc_lo, s6, v5, vcc_lo
	s_lshl_b32 s3, s14, 5
	s_lshl_b64 s[4:5], s[4:5], 4
	s_lshl_b64 s[6:7], s[18:19], 4
	v_cmp_gt_i64_e32 vcc_lo, 1, v[2:3]
	v_cmp_gt_i64_e64 s0, 17, v[2:3]
	s_lshl_b32 s38, s34, 5
	s_lshl_b64 s[18:19], s[28:29], 4
	v_dual_mov_b32 v1, 0x3ff00000 :: v_dual_add_nc_u32 v58, v57, v11
	v_add_nc_u32_e32 v61, 0x100, v60
	v_add_nc_u32_e32 v62, 0x2000, v60
	;; [unrolled: 1-line block ×3, first 2 shown]
	v_cmp_gt_i32_e64 s2, s9, v8
	v_add_nc_u32_e32 v64, 0x4100, v11
	v_add_nc_u32_e32 v10, s3, v10
	;; [unrolled: 1-line block ×3, first 2 shown]
	s_add_u32 s3, s4, s6
	s_addc_u32 s4, s5, s7
	s_add_u32 s16, s16, s3
	s_addc_u32 s17, s17, s4
	s_lshl_b64 s[22:23], s[20:21], 4
	s_branch .LBB131_4
.LBB131_3:                              ;   in Loop: Header=BB131_4 Depth=1
	s_or_b32 exec_lo, exec_lo, s4
	v_add_nc_u32_e32 v10, s38, v10
	v_add_nc_u32_e32 v12, s38, v12
	s_add_i32 s14, s34, s14
	s_delay_alu instid0(SALU_CYCLE_1)
	s_cmp_le_i32 s14, s33
	s_cbranch_scc0 .LBB131_63
.LBB131_4:                              ; =>This Loop Header: Depth=1
                                        ;     Child Loop BB131_7 Depth 2
	s_lshl_b32 s3, s14, 5
	v_mov_b32_e32 v44, 0
	v_dual_mov_b32 v45, 0 :: v_dual_add_nc_u32 v14, s3, v56
	v_ashrrev_i32_e32 v11, 31, v10
	v_ashrrev_i32_e32 v13, 31, v12
	s_delay_alu instid0(VALU_DEP_3)
	v_dual_mov_b32 v40, v44 :: v_dual_mov_b32 v41, v45
	v_dual_mov_b32 v47, v45 :: v_dual_mov_b32 v46, v44
	v_ashrrev_i32_e32 v15, 31, v14
	v_dual_mov_b32 v42, v44 :: v_dual_mov_b32 v43, v45
	v_dual_mov_b32 v36, v44 :: v_dual_mov_b32 v37, v45
	;; [unrolled: 1-line block ×5, first 2 shown]
	s_sub_i32 s15, s10, s3
	s_delay_alu instid0(SALU_CYCLE_1)
	s_cmp_lt_i32 s15, 1
	s_cbranch_scc1 .LBB131_55
; %bb.5:                                ;   in Loop: Header=BB131_4 Depth=1
	v_lshlrev_b64 v[16:17], 4, v[12:13]
	v_sub_co_u32 v18, s3, v12, v10
	v_lshlrev_b64 v[2:3], 4, v[10:11]
	v_sub_co_ci_u32_e64 v19, s3, v13, v11, s3
	s_delay_alu instid0(VALU_DEP_4) | instskip(NEXT) | instid1(VALU_DEP_1)
	v_add_co_u32 v24, s3, 0x100, v16
	v_add_co_ci_u32_e64 v22, s3, 0, v17, s3
	v_mad_u64_u32 v[20:21], null, s18, v12, 0x100
	v_mul_lo_u32 v28, s18, v13
	v_mul_lo_u32 v29, s19, v12
	v_add_co_u32 v2, s3, 0x100, v2
	s_delay_alu instid0(VALU_DEP_1)
	v_add_co_ci_u32_e64 v3, s3, 0, v3, s3
	v_mul_lo_u32 v30, s28, v22
	v_mul_lo_u32 v31, s29, v24
	v_mad_u64_u32 v[22:23], null, s28, v24, 0x100
	v_mad_u64_u32 v[24:25], null, s22, v10, s[16:17]
	v_mul_lo_u32 v32, s22, v11
	v_mul_lo_u32 v33, s23, v10
	;; [unrolled: 1-line block ×4, first 2 shown]
	v_mad_u64_u32 v[26:27], null, s20, v2, s[16:17]
	v_add3_u32 v21, v29, v21, v28
	v_add_co_u32 v28, s3, v14, 16
	s_delay_alu instid0(VALU_DEP_1)
	v_add_co_ci_u32_e64 v29, s3, 0, v15, s3
	v_mov_b32_e32 v48, 0
	v_add3_u32 v23, v31, v23, v30
	v_add_co_u32 v30, s5, v18, 16
	v_mov_b32_e32 v49, 0
	v_add_co_ci_u32_e64 v31, s5, 0, v19, s5
	v_add3_u32 v25, v33, v25, v32
	v_add_co_u32 v32, s5, v18, -16
	v_add3_u32 v27, v34, v27, v3
	v_cmp_le_i64_e64 s4, s[10:11], v[28:29]
	v_dual_mov_b32 v35, v7 :: v_dual_mov_b32 v34, v6
	v_cmp_le_i32_e64 s3, s10, v14
	v_add_co_ci_u32_e64 v33, s5, -1, v19, s5
	v_dual_mov_b32 v51, v49 :: v_dual_mov_b32 v50, v48
	v_dual_mov_b32 v38, v48 :: v_dual_mov_b32 v39, v49
	;; [unrolled: 1-line block ×7, first 2 shown]
	s_mov_b64 s[30:31], 0
	s_branch .LBB131_7
.LBB131_6:                              ;   in Loop: Header=BB131_7 Depth=2
	s_or_b32 exec_lo, exec_lo, s5
	s_waitcnt lgkmcnt(0)
	s_waitcnt_vscnt null, 0x0
	s_barrier
	buffer_gl0_inv
	ds_load_b128 v[52:55], v57
	ds_load_b128 v[65:68], v57 offset:16
	ds_load_b128 v[69:72], v57 offset:32
	;; [unrolled: 1-line block ×3, first 2 shown]
	ds_load_b128 v[77:80], v59
	v_add_co_u32 v34, s5, v34, s24
	s_delay_alu instid0(VALU_DEP_1) | instskip(SKIP_1) | instid1(VALU_DEP_1)
	v_add_co_ci_u32_e64 v35, s5, s25, v35, s5
	v_add_co_u32 v24, s5, v24, s12
	v_add_co_ci_u32_e64 v25, s5, s13, v25, s5
	v_add_co_u32 v26, s5, v26, s12
	s_delay_alu instid0(VALU_DEP_1)
	v_add_co_ci_u32_e64 v27, s5, s13, v27, s5
	s_add_u32 s30, s30, 32
	s_addc_u32 s31, s31, 0
	s_cmp_ge_i32 s30, s15
	s_waitcnt lgkmcnt(0)
	v_mul_f64 v[2:3], v[54:55], v[79:80]
	v_mul_f64 v[81:82], v[52:53], v[79:80]
	s_delay_alu instid0(VALU_DEP_2) | instskip(NEXT) | instid1(VALU_DEP_2)
	v_fma_f64 v[2:3], v[52:53], v[77:78], -v[2:3]
	v_fma_f64 v[81:82], v[54:55], v[77:78], v[81:82]
	s_delay_alu instid0(VALU_DEP_2) | instskip(NEXT) | instid1(VALU_DEP_2)
	v_add_f64 v[2:3], v[44:45], v[2:3]
	v_add_f64 v[81:82], v[46:47], v[81:82]
	ds_load_b128 v[44:47], v64
	s_waitcnt lgkmcnt(0)
	v_mul_f64 v[83:84], v[54:55], v[46:47]
	s_delay_alu instid0(VALU_DEP_1) | instskip(SKIP_1) | instid1(VALU_DEP_1)
	v_fma_f64 v[83:84], v[52:53], v[44:45], -v[83:84]
	v_mul_f64 v[52:53], v[52:53], v[46:47]
	v_fma_f64 v[52:53], v[54:55], v[44:45], v[52:53]
	s_delay_alu instid0(VALU_DEP_3) | instskip(NEXT) | instid1(VALU_DEP_2)
	v_add_f64 v[54:55], v[40:41], v[83:84]
	v_add_f64 v[52:53], v[42:43], v[52:53]
	ds_load_b128 v[40:43], v57 offset:8192
	s_waitcnt lgkmcnt(0)
	v_mul_f64 v[83:84], v[42:43], v[79:80]
	v_mul_f64 v[79:80], v[40:41], v[79:80]
	s_delay_alu instid0(VALU_DEP_2) | instskip(NEXT) | instid1(VALU_DEP_2)
	v_fma_f64 v[83:84], v[40:41], v[77:78], -v[83:84]
	v_fma_f64 v[77:78], v[42:43], v[77:78], v[79:80]
	s_delay_alu instid0(VALU_DEP_2) | instskip(NEXT) | instid1(VALU_DEP_2)
	v_add_f64 v[79:80], v[36:37], v[83:84]
	v_add_f64 v[77:78], v[38:39], v[77:78]
	v_mul_f64 v[36:37], v[42:43], v[46:47]
	v_mul_f64 v[38:39], v[40:41], v[46:47]
	s_delay_alu instid0(VALU_DEP_2) | instskip(NEXT) | instid1(VALU_DEP_2)
	v_fma_f64 v[36:37], v[40:41], v[44:45], -v[36:37]
	v_fma_f64 v[38:39], v[42:43], v[44:45], v[38:39]
	s_delay_alu instid0(VALU_DEP_2) | instskip(NEXT) | instid1(VALU_DEP_2)
	v_add_f64 v[50:51], v[50:51], v[36:37]
	v_add_f64 v[48:49], v[48:49], v[38:39]
	ds_load_b128 v[36:39], v59 offset:512
	s_waitcnt lgkmcnt(0)
	v_mul_f64 v[40:41], v[67:68], v[38:39]
	v_mul_f64 v[42:43], v[65:66], v[38:39]
	s_delay_alu instid0(VALU_DEP_2) | instskip(NEXT) | instid1(VALU_DEP_2)
	v_fma_f64 v[40:41], v[65:66], v[36:37], -v[40:41]
	v_fma_f64 v[42:43], v[67:68], v[36:37], v[42:43]
	s_delay_alu instid0(VALU_DEP_2) | instskip(NEXT) | instid1(VALU_DEP_2)
	v_add_f64 v[2:3], v[2:3], v[40:41]
	v_add_f64 v[81:82], v[81:82], v[42:43]
	ds_load_b128 v[40:43], v64 offset:512
	s_waitcnt lgkmcnt(0)
	;; [unrolled: 10-line block ×3, first 2 shown]
	v_mul_f64 v[65:66], v[46:47], v[38:39]
	v_mul_f64 v[38:39], v[44:45], v[38:39]
	s_delay_alu instid0(VALU_DEP_2) | instskip(NEXT) | instid1(VALU_DEP_2)
	v_fma_f64 v[65:66], v[44:45], v[36:37], -v[65:66]
	v_fma_f64 v[36:37], v[46:47], v[36:37], v[38:39]
	v_mul_f64 v[38:39], v[44:45], v[42:43]
	s_delay_alu instid0(VALU_DEP_3) | instskip(NEXT) | instid1(VALU_DEP_3)
	v_add_f64 v[65:66], v[79:80], v[65:66]
	v_add_f64 v[67:68], v[77:78], v[36:37]
	v_mul_f64 v[36:37], v[46:47], v[42:43]
	s_delay_alu instid0(VALU_DEP_4) | instskip(NEXT) | instid1(VALU_DEP_2)
	v_fma_f64 v[38:39], v[46:47], v[40:41], v[38:39]
	v_fma_f64 v[36:37], v[44:45], v[40:41], -v[36:37]
	s_delay_alu instid0(VALU_DEP_2) | instskip(NEXT) | instid1(VALU_DEP_2)
	v_add_f64 v[48:49], v[48:49], v[38:39]
	v_add_f64 v[50:51], v[50:51], v[36:37]
	ds_load_b128 v[36:39], v59 offset:1024
	s_waitcnt lgkmcnt(0)
	v_mul_f64 v[40:41], v[71:72], v[38:39]
	v_mul_f64 v[42:43], v[69:70], v[38:39]
	s_delay_alu instid0(VALU_DEP_2) | instskip(NEXT) | instid1(VALU_DEP_2)
	v_fma_f64 v[40:41], v[69:70], v[36:37], -v[40:41]
	v_fma_f64 v[42:43], v[71:72], v[36:37], v[42:43]
	s_delay_alu instid0(VALU_DEP_2) | instskip(NEXT) | instid1(VALU_DEP_2)
	v_add_f64 v[2:3], v[2:3], v[40:41]
	v_add_f64 v[77:78], v[81:82], v[42:43]
	ds_load_b128 v[40:43], v64 offset:1024
	s_waitcnt lgkmcnt(0)
	v_mul_f64 v[44:45], v[71:72], v[42:43]
	v_mul_f64 v[46:47], v[69:70], v[42:43]
	s_delay_alu instid0(VALU_DEP_2) | instskip(NEXT) | instid1(VALU_DEP_2)
	v_fma_f64 v[44:45], v[69:70], v[40:41], -v[44:45]
	v_fma_f64 v[46:47], v[71:72], v[40:41], v[46:47]
	s_delay_alu instid0(VALU_DEP_2) | instskip(NEXT) | instid1(VALU_DEP_2)
	v_add_f64 v[54:55], v[54:55], v[44:45]
	v_add_f64 v[52:53], v[52:53], v[46:47]
	ds_load_b128 v[44:47], v57 offset:8224
	s_waitcnt lgkmcnt(0)
	v_mul_f64 v[69:70], v[46:47], v[38:39]
	v_mul_f64 v[38:39], v[44:45], v[38:39]
	s_delay_alu instid0(VALU_DEP_2) | instskip(NEXT) | instid1(VALU_DEP_2)
	v_fma_f64 v[69:70], v[44:45], v[36:37], -v[69:70]
	v_fma_f64 v[36:37], v[46:47], v[36:37], v[38:39]
	v_mul_f64 v[38:39], v[44:45], v[42:43]
	s_delay_alu instid0(VALU_DEP_3) | instskip(NEXT) | instid1(VALU_DEP_3)
	v_add_f64 v[65:66], v[65:66], v[69:70]
	v_add_f64 v[67:68], v[67:68], v[36:37]
	v_mul_f64 v[36:37], v[46:47], v[42:43]
	s_delay_alu instid0(VALU_DEP_4) | instskip(NEXT) | instid1(VALU_DEP_2)
	v_fma_f64 v[38:39], v[46:47], v[40:41], v[38:39]
	v_fma_f64 v[36:37], v[44:45], v[40:41], -v[36:37]
	s_delay_alu instid0(VALU_DEP_2) | instskip(NEXT) | instid1(VALU_DEP_2)
	v_add_f64 v[48:49], v[48:49], v[38:39]
	v_add_f64 v[50:51], v[50:51], v[36:37]
	ds_load_b128 v[36:39], v59 offset:1536
	s_waitcnt lgkmcnt(0)
	v_mul_f64 v[40:41], v[75:76], v[38:39]
	v_mul_f64 v[42:43], v[73:74], v[38:39]
	s_delay_alu instid0(VALU_DEP_2) | instskip(NEXT) | instid1(VALU_DEP_2)
	v_fma_f64 v[40:41], v[73:74], v[36:37], -v[40:41]
	v_fma_f64 v[42:43], v[75:76], v[36:37], v[42:43]
	s_delay_alu instid0(VALU_DEP_2) | instskip(NEXT) | instid1(VALU_DEP_2)
	v_add_f64 v[2:3], v[2:3], v[40:41]
	v_add_f64 v[69:70], v[77:78], v[42:43]
	ds_load_b128 v[40:43], v64 offset:1536
	s_waitcnt lgkmcnt(0)
	v_mul_f64 v[44:45], v[75:76], v[42:43]
	v_mul_f64 v[46:47], v[73:74], v[42:43]
	s_delay_alu instid0(VALU_DEP_2) | instskip(NEXT) | instid1(VALU_DEP_2)
	v_fma_f64 v[44:45], v[73:74], v[40:41], -v[44:45]
	v_fma_f64 v[46:47], v[75:76], v[40:41], v[46:47]
	;; [unrolled: 10-line block ×3, first 2 shown]
	v_mul_f64 v[38:39], v[44:45], v[42:43]
	s_delay_alu instid0(VALU_DEP_3) | instskip(NEXT) | instid1(VALU_DEP_3)
	v_add_f64 v[65:66], v[65:66], v[71:72]
	v_add_f64 v[67:68], v[67:68], v[36:37]
	v_mul_f64 v[36:37], v[46:47], v[42:43]
	s_delay_alu instid0(VALU_DEP_4) | instskip(NEXT) | instid1(VALU_DEP_2)
	v_fma_f64 v[38:39], v[46:47], v[40:41], v[38:39]
	v_fma_f64 v[36:37], v[44:45], v[40:41], -v[36:37]
	s_delay_alu instid0(VALU_DEP_2) | instskip(NEXT) | instid1(VALU_DEP_2)
	v_add_f64 v[48:49], v[48:49], v[38:39]
	v_add_f64 v[50:51], v[50:51], v[36:37]
	ds_load_b128 v[36:39], v57 offset:64
	ds_load_b128 v[40:43], v59 offset:2048
	s_waitcnt lgkmcnt(0)
	v_mul_f64 v[44:45], v[38:39], v[42:43]
	v_mul_f64 v[46:47], v[36:37], v[42:43]
	s_delay_alu instid0(VALU_DEP_2) | instskip(NEXT) | instid1(VALU_DEP_2)
	v_fma_f64 v[44:45], v[36:37], v[40:41], -v[44:45]
	v_fma_f64 v[46:47], v[38:39], v[40:41], v[46:47]
	s_delay_alu instid0(VALU_DEP_2) | instskip(NEXT) | instid1(VALU_DEP_2)
	v_add_f64 v[2:3], v[2:3], v[44:45]
	v_add_f64 v[69:70], v[69:70], v[46:47]
	ds_load_b128 v[44:47], v64 offset:2048
	s_waitcnt lgkmcnt(0)
	v_mul_f64 v[71:72], v[38:39], v[46:47]
	s_delay_alu instid0(VALU_DEP_1) | instskip(SKIP_1) | instid1(VALU_DEP_2)
	v_fma_f64 v[71:72], v[36:37], v[44:45], -v[71:72]
	v_mul_f64 v[36:37], v[36:37], v[46:47]
	v_add_f64 v[54:55], v[54:55], v[71:72]
	s_delay_alu instid0(VALU_DEP_2) | instskip(NEXT) | instid1(VALU_DEP_1)
	v_fma_f64 v[36:37], v[38:39], v[44:45], v[36:37]
	v_add_f64 v[52:53], v[52:53], v[36:37]
	ds_load_b128 v[36:39], v57 offset:8256
	s_waitcnt lgkmcnt(0)
	v_mul_f64 v[71:72], v[38:39], v[42:43]
	v_mul_f64 v[42:43], v[36:37], v[42:43]
	s_delay_alu instid0(VALU_DEP_2) | instskip(NEXT) | instid1(VALU_DEP_2)
	v_fma_f64 v[71:72], v[36:37], v[40:41], -v[71:72]
	v_fma_f64 v[40:41], v[38:39], v[40:41], v[42:43]
	s_delay_alu instid0(VALU_DEP_2) | instskip(NEXT) | instid1(VALU_DEP_2)
	v_add_f64 v[65:66], v[65:66], v[71:72]
	v_add_f64 v[67:68], v[67:68], v[40:41]
	v_mul_f64 v[40:41], v[38:39], v[46:47]
	s_delay_alu instid0(VALU_DEP_1) | instskip(SKIP_1) | instid1(VALU_DEP_2)
	v_fma_f64 v[40:41], v[36:37], v[44:45], -v[40:41]
	v_mul_f64 v[36:37], v[36:37], v[46:47]
	v_add_f64 v[50:51], v[50:51], v[40:41]
	s_delay_alu instid0(VALU_DEP_2) | instskip(NEXT) | instid1(VALU_DEP_1)
	v_fma_f64 v[36:37], v[38:39], v[44:45], v[36:37]
	v_add_f64 v[48:49], v[48:49], v[36:37]
	ds_load_b128 v[36:39], v57 offset:80
	ds_load_b128 v[40:43], v59 offset:2560
	s_waitcnt lgkmcnt(0)
	v_mul_f64 v[44:45], v[38:39], v[42:43]
	v_mul_f64 v[46:47], v[36:37], v[42:43]
	s_delay_alu instid0(VALU_DEP_2) | instskip(NEXT) | instid1(VALU_DEP_2)
	v_fma_f64 v[44:45], v[36:37], v[40:41], -v[44:45]
	v_fma_f64 v[46:47], v[38:39], v[40:41], v[46:47]
	s_delay_alu instid0(VALU_DEP_2) | instskip(NEXT) | instid1(VALU_DEP_2)
	v_add_f64 v[2:3], v[2:3], v[44:45]
	v_add_f64 v[69:70], v[69:70], v[46:47]
	ds_load_b128 v[44:47], v64 offset:2560
	s_waitcnt lgkmcnt(0)
	v_mul_f64 v[71:72], v[38:39], v[46:47]
	s_delay_alu instid0(VALU_DEP_1) | instskip(SKIP_1) | instid1(VALU_DEP_2)
	v_fma_f64 v[71:72], v[36:37], v[44:45], -v[71:72]
	v_mul_f64 v[36:37], v[36:37], v[46:47]
	v_add_f64 v[54:55], v[54:55], v[71:72]
	s_delay_alu instid0(VALU_DEP_2) | instskip(NEXT) | instid1(VALU_DEP_1)
	v_fma_f64 v[36:37], v[38:39], v[44:45], v[36:37]
	v_add_f64 v[52:53], v[52:53], v[36:37]
	ds_load_b128 v[36:39], v57 offset:8272
	s_waitcnt lgkmcnt(0)
	v_mul_f64 v[71:72], v[38:39], v[42:43]
	v_mul_f64 v[42:43], v[36:37], v[42:43]
	s_delay_alu instid0(VALU_DEP_2) | instskip(NEXT) | instid1(VALU_DEP_2)
	v_fma_f64 v[71:72], v[36:37], v[40:41], -v[71:72]
	v_fma_f64 v[40:41], v[38:39], v[40:41], v[42:43]
	s_delay_alu instid0(VALU_DEP_2) | instskip(NEXT) | instid1(VALU_DEP_2)
	v_add_f64 v[65:66], v[65:66], v[71:72]
	v_add_f64 v[67:68], v[67:68], v[40:41]
	v_mul_f64 v[40:41], v[38:39], v[46:47]
	s_delay_alu instid0(VALU_DEP_1) | instskip(SKIP_1) | instid1(VALU_DEP_2)
	v_fma_f64 v[40:41], v[36:37], v[44:45], -v[40:41]
	v_mul_f64 v[36:37], v[36:37], v[46:47]
	v_add_f64 v[50:51], v[50:51], v[40:41]
	s_delay_alu instid0(VALU_DEP_2) | instskip(NEXT) | instid1(VALU_DEP_1)
	v_fma_f64 v[36:37], v[38:39], v[44:45], v[36:37]
	;; [unrolled: 39-line block ×26, first 2 shown]
	v_add_f64 v[48:49], v[48:49], v[36:37]
	ds_load_b128 v[36:39], v57 offset:480
	ds_load_b128 v[40:43], v59 offset:15360
	s_waitcnt lgkmcnt(0)
	v_mul_f64 v[44:45], v[38:39], v[42:43]
	v_mul_f64 v[46:47], v[36:37], v[42:43]
	s_delay_alu instid0(VALU_DEP_2) | instskip(NEXT) | instid1(VALU_DEP_2)
	v_fma_f64 v[44:45], v[36:37], v[40:41], -v[44:45]
	v_fma_f64 v[46:47], v[38:39], v[40:41], v[46:47]
	s_delay_alu instid0(VALU_DEP_2) | instskip(NEXT) | instid1(VALU_DEP_2)
	v_add_f64 v[71:72], v[2:3], v[44:45]
	v_add_f64 v[69:70], v[69:70], v[46:47]
	ds_load_b128 v[44:47], v64 offset:15360
	s_waitcnt lgkmcnt(0)
	v_mul_f64 v[2:3], v[38:39], v[46:47]
	s_delay_alu instid0(VALU_DEP_1) | instskip(SKIP_1) | instid1(VALU_DEP_2)
	v_fma_f64 v[2:3], v[36:37], v[44:45], -v[2:3]
	v_mul_f64 v[36:37], v[36:37], v[46:47]
	v_add_f64 v[54:55], v[54:55], v[2:3]
	s_delay_alu instid0(VALU_DEP_2) | instskip(NEXT) | instid1(VALU_DEP_1)
	v_fma_f64 v[36:37], v[38:39], v[44:45], v[36:37]
	v_add_f64 v[73:74], v[52:53], v[36:37]
	ds_load_b128 v[36:39], v57 offset:8672
	s_waitcnt lgkmcnt(0)
	v_mul_f64 v[2:3], v[38:39], v[42:43]
	v_mul_f64 v[42:43], v[36:37], v[42:43]
	s_delay_alu instid0(VALU_DEP_2) | instskip(NEXT) | instid1(VALU_DEP_2)
	v_fma_f64 v[2:3], v[36:37], v[40:41], -v[2:3]
	v_fma_f64 v[40:41], v[38:39], v[40:41], v[42:43]
	s_delay_alu instid0(VALU_DEP_2) | instskip(SKIP_1) | instid1(VALU_DEP_3)
	v_add_f64 v[75:76], v[65:66], v[2:3]
	v_mul_f64 v[2:3], v[38:39], v[46:47]
	v_add_f64 v[77:78], v[67:68], v[40:41]
	s_delay_alu instid0(VALU_DEP_2) | instskip(SKIP_1) | instid1(VALU_DEP_2)
	v_fma_f64 v[2:3], v[36:37], v[44:45], -v[2:3]
	v_mul_f64 v[36:37], v[36:37], v[46:47]
	v_add_f64 v[2:3], v[50:51], v[2:3]
	s_delay_alu instid0(VALU_DEP_2) | instskip(NEXT) | instid1(VALU_DEP_1)
	v_fma_f64 v[36:37], v[38:39], v[44:45], v[36:37]
	v_add_f64 v[48:49], v[48:49], v[36:37]
	ds_load_b128 v[36:39], v57 offset:496
	ds_load_b128 v[50:53], v59 offset:15872
	;; [unrolled: 1-line block ×3, first 2 shown]
	s_waitcnt lgkmcnt(1)
	v_mul_f64 v[40:41], v[38:39], v[52:53]
	v_mul_f64 v[42:43], v[36:37], v[52:53]
	s_delay_alu instid0(VALU_DEP_2) | instskip(NEXT) | instid1(VALU_DEP_2)
	v_fma_f64 v[40:41], v[36:37], v[50:51], -v[40:41]
	v_fma_f64 v[42:43], v[38:39], v[50:51], v[42:43]
	s_delay_alu instid0(VALU_DEP_2) | instskip(NEXT) | instid1(VALU_DEP_2)
	v_add_f64 v[44:45], v[71:72], v[40:41]
	v_add_f64 v[46:47], v[69:70], v[42:43]
	ds_load_b128 v[69:72], v57 offset:8688
	s_waitcnt lgkmcnt(1)
	v_mul_f64 v[40:41], v[38:39], v[67:68]
	s_waitcnt lgkmcnt(0)
	s_barrier
	buffer_gl0_inv
	v_fma_f64 v[40:41], v[36:37], v[65:66], -v[40:41]
	v_mul_f64 v[36:37], v[36:37], v[67:68]
	s_delay_alu instid0(VALU_DEP_2) | instskip(NEXT) | instid1(VALU_DEP_2)
	v_add_f64 v[40:41], v[54:55], v[40:41]
	v_fma_f64 v[36:37], v[38:39], v[65:66], v[36:37]
	v_mul_f64 v[38:39], v[69:70], v[52:53]
	s_delay_alu instid0(VALU_DEP_2) | instskip(SKIP_1) | instid1(VALU_DEP_3)
	v_add_f64 v[42:43], v[73:74], v[36:37]
	v_mul_f64 v[36:37], v[71:72], v[52:53]
	v_fma_f64 v[38:39], v[71:72], v[50:51], v[38:39]
	v_mul_f64 v[52:53], v[69:70], v[67:68]
	s_delay_alu instid0(VALU_DEP_3) | instskip(SKIP_1) | instid1(VALU_DEP_3)
	v_fma_f64 v[36:37], v[69:70], v[50:51], -v[36:37]
	v_mul_f64 v[50:51], v[71:72], v[67:68]
	v_fma_f64 v[52:53], v[71:72], v[65:66], v[52:53]
	v_add_f64 v[38:39], v[77:78], v[38:39]
	s_delay_alu instid0(VALU_DEP_4) | instskip(NEXT) | instid1(VALU_DEP_4)
	v_add_f64 v[36:37], v[75:76], v[36:37]
	v_fma_f64 v[50:51], v[69:70], v[65:66], -v[50:51]
	s_delay_alu instid0(VALU_DEP_4) | instskip(NEXT) | instid1(VALU_DEP_2)
	v_add_f64 v[48:49], v[48:49], v[52:53]
	v_add_f64 v[50:51], v[2:3], v[50:51]
	s_cbranch_scc1 .LBB131_55
.LBB131_7:                              ;   Parent Loop BB131_4 Depth=1
                                        ; =>  This Inner Loop Header: Depth=2
	v_add_co_u32 v52, s5, v10, s30
	s_delay_alu instid0(VALU_DEP_1) | instskip(SKIP_1) | instid1(VALU_DEP_2)
	v_add_co_ci_u32_e64 v53, s5, s31, v11, s5
	v_cmp_eq_u64_e64 s7, s[30:31], v[18:19]
	v_cmp_lt_i64_e64 s5, v[52:53], v[14:15]
	v_cmp_le_i64_e64 s6, s[10:11], v[52:53]
	s_delay_alu instid0(VALU_DEP_3) | instskip(SKIP_1) | instid1(VALU_DEP_3)
	s_and_b32 s42, s37, s7
	v_add_co_u32 v54, s7, v24, v16
	s_or_b32 s8, s3, s5
	v_add_co_ci_u32_e64 v55, s7, v25, v17, s7
	s_delay_alu instid0(VALU_DEP_3) | instskip(NEXT) | instid1(SALU_CYCLE_1)
	s_or_b32 s8, s6, s8
	s_or_b32 s7, s8, s42
	s_delay_alu instid0(SALU_CYCLE_1) | instskip(NEXT) | instid1(SALU_CYCLE_1)
	s_xor_b32 s7, s7, -1
	s_and_saveexec_b32 s8, s7
	s_delay_alu instid0(SALU_CYCLE_1)
	s_xor_b32 s7, exec_lo, s8
	s_cbranch_execz .LBB131_9
; %bb.8:                                ;   in Loop: Header=BB131_7 Depth=2
	global_load_b128 v[65:68], v[54:55], off
	s_waitcnt vmcnt(0)
	v_xor_b32_e32 v68, 0x80000000, v68
	ds_store_b128 v58, v[65:68]
.LBB131_9:                              ;   in Loop: Header=BB131_7 Depth=2
	s_or_saveexec_b32 s7, s7
	s_xor_b32 s39, s42, -1
	s_xor_b32 exec_lo, exec_lo, s7
	s_cbranch_execz .LBB131_15
; %bb.10:                               ;   in Loop: Header=BB131_7 Depth=2
	s_and_saveexec_b32 s8, s39
	s_delay_alu instid0(SALU_CYCLE_1)
	s_xor_b32 s8, exec_lo, s8
	s_cbranch_execz .LBB131_12
; %bb.11:                               ;   in Loop: Header=BB131_7 Depth=2
	v_mov_b32_e32 v65, v0
	v_mov_b32_e32 v66, v0
	;; [unrolled: 1-line block ×4, first 2 shown]
	ds_store_b128 v58, v[65:68]
.LBB131_12:                             ;   in Loop: Header=BB131_7 Depth=2
	s_and_not1_saveexec_b32 s8, s8
	s_cbranch_execz .LBB131_14
; %bb.13:                               ;   in Loop: Header=BB131_7 Depth=2
	v_mov_b32_e32 v2, v0
	v_mov_b32_e32 v3, v0
	ds_store_b128 v58, v[0:3]
.LBB131_14:                             ;   in Loop: Header=BB131_7 Depth=2
	s_or_b32 exec_lo, exec_lo, s8
.LBB131_15:                             ;   in Loop: Header=BB131_7 Depth=2
	s_delay_alu instid0(SALU_CYCLE_1) | instskip(SKIP_1) | instid1(VALU_DEP_1)
	s_or_b32 exec_lo, exec_lo, s7
	v_add_co_u32 v2, s7, v52, 16
	v_add_co_ci_u32_e64 v3, s7, 0, v53, s7
	v_cmp_eq_u64_e64 s9, s[30:31], v[32:33]
	s_delay_alu instid0(VALU_DEP_2) | instskip(SKIP_1) | instid1(VALU_DEP_3)
	v_cmp_lt_i64_e64 s8, v[2:3], v[14:15]
	v_cmp_le_i64_e64 s7, s[10:11], v[2:3]
	s_and_b32 s9, s37, s9
	s_delay_alu instid0(VALU_DEP_2)
	s_or_b32 s8, s3, s8
	s_delay_alu instid0(VALU_DEP_1) | instid1(SALU_CYCLE_1)
	s_or_b32 s8, s7, s8
	s_delay_alu instid0(SALU_CYCLE_1) | instskip(NEXT) | instid1(SALU_CYCLE_1)
	s_or_b32 s8, s8, s9
	s_xor_b32 s8, s8, -1
	s_delay_alu instid0(SALU_CYCLE_1) | instskip(NEXT) | instid1(SALU_CYCLE_1)
	s_and_saveexec_b32 s43, s8
	s_xor_b32 s43, exec_lo, s43
	s_cbranch_execz .LBB131_17
; %bb.16:                               ;   in Loop: Header=BB131_7 Depth=2
	v_add_co_u32 v2, s8, v26, v16
	s_delay_alu instid0(VALU_DEP_1)
	v_add_co_ci_u32_e64 v3, s8, v27, v17, s8
	global_load_b128 v[65:68], v[2:3], off
	s_waitcnt vmcnt(0)
	v_xor_b32_e32 v68, 0x80000000, v68
	ds_store_b128 v58, v[65:68] offset:256
.LBB131_17:                             ;   in Loop: Header=BB131_7 Depth=2
	s_and_not1_saveexec_b32 s8, s43
	s_cbranch_execz .LBB131_23
; %bb.18:                               ;   in Loop: Header=BB131_7 Depth=2
	s_xor_b32 s9, s9, -1
	s_delay_alu instid0(SALU_CYCLE_1) | instskip(NEXT) | instid1(SALU_CYCLE_1)
	s_and_saveexec_b32 s43, s9
	s_xor_b32 s9, exec_lo, s43
	s_cbranch_execz .LBB131_20
; %bb.19:                               ;   in Loop: Header=BB131_7 Depth=2
	v_mov_b32_e32 v65, v0
	v_mov_b32_e32 v66, v0
	;; [unrolled: 1-line block ×4, first 2 shown]
	ds_store_b128 v58, v[65:68] offset:256
.LBB131_20:                             ;   in Loop: Header=BB131_7 Depth=2
	s_and_not1_saveexec_b32 s9, s9
	s_cbranch_execz .LBB131_22
; %bb.21:                               ;   in Loop: Header=BB131_7 Depth=2
	v_mov_b32_e32 v2, v0
	v_mov_b32_e32 v3, v0
	ds_store_b128 v58, v[0:3] offset:256
.LBB131_22:                             ;   in Loop: Header=BB131_7 Depth=2
	s_or_b32 exec_lo, exec_lo, s9
.LBB131_23:                             ;   in Loop: Header=BB131_7 Depth=2
	s_delay_alu instid0(SALU_CYCLE_1) | instskip(SKIP_2) | instid1(VALU_DEP_2)
	s_or_b32 exec_lo, exec_lo, s8
	v_cmp_eq_u64_e64 s8, s[30:31], v[30:31]
	v_cmp_lt_i64_e64 s9, v[52:53], v[28:29]
	s_and_b32 s8, s37, s8
	s_delay_alu instid0(VALU_DEP_1) | instskip(NEXT) | instid1(SALU_CYCLE_1)
	s_or_b32 s9, s4, s9
	s_or_b32 s9, s9, s8
	s_delay_alu instid0(SALU_CYCLE_1) | instskip(NEXT) | instid1(SALU_CYCLE_1)
	s_or_b32 s6, s6, s9
	s_xor_b32 s6, s6, -1
	s_delay_alu instid0(SALU_CYCLE_1) | instskip(NEXT) | instid1(SALU_CYCLE_1)
	s_and_saveexec_b32 s9, s6
	s_xor_b32 s6, exec_lo, s9
	s_cbranch_execz .LBB131_25
; %bb.24:                               ;   in Loop: Header=BB131_7 Depth=2
	global_load_b128 v[52:55], v[54:55], off offset:256
	s_waitcnt vmcnt(0)
	v_xor_b32_e32 v55, 0x80000000, v55
	ds_store_b128 v58, v[52:55] offset:8192
.LBB131_25:                             ;   in Loop: Header=BB131_7 Depth=2
	s_and_not1_saveexec_b32 s6, s6
	s_cbranch_execz .LBB131_31
; %bb.26:                               ;   in Loop: Header=BB131_7 Depth=2
	s_xor_b32 s8, s8, -1
	s_delay_alu instid0(SALU_CYCLE_1) | instskip(NEXT) | instid1(SALU_CYCLE_1)
	s_and_saveexec_b32 s9, s8
	s_xor_b32 s8, exec_lo, s9
	s_cbranch_execz .LBB131_28
; %bb.27:                               ;   in Loop: Header=BB131_7 Depth=2
	v_mov_b32_e32 v52, v0
	v_mov_b32_e32 v53, v0
	;; [unrolled: 1-line block ×4, first 2 shown]
	ds_store_b128 v58, v[52:55] offset:8192
.LBB131_28:                             ;   in Loop: Header=BB131_7 Depth=2
	s_and_not1_saveexec_b32 s8, s8
	s_cbranch_execz .LBB131_30
; %bb.29:                               ;   in Loop: Header=BB131_7 Depth=2
	v_mov_b32_e32 v2, v0
	v_mov_b32_e32 v3, v0
	ds_store_b128 v58, v[0:3] offset:8192
.LBB131_30:                             ;   in Loop: Header=BB131_7 Depth=2
	s_or_b32 exec_lo, exec_lo, s8
.LBB131_31:                             ;   in Loop: Header=BB131_7 Depth=2
	s_delay_alu instid0(SALU_CYCLE_1) | instskip(SKIP_1) | instid1(SALU_CYCLE_1)
	s_or_b32 exec_lo, exec_lo, s6
	s_or_b32 s5, s4, s5
	s_or_b32 s5, s7, s5
	s_delay_alu instid0(SALU_CYCLE_1) | instskip(NEXT) | instid1(SALU_CYCLE_1)
	s_or_b32 s5, s5, s42
	s_xor_b32 s5, s5, -1
	s_delay_alu instid0(SALU_CYCLE_1) | instskip(NEXT) | instid1(SALU_CYCLE_1)
	s_and_saveexec_b32 s6, s5
	s_xor_b32 s6, exec_lo, s6
	s_cbranch_execz .LBB131_33
; %bb.32:                               ;   in Loop: Header=BB131_7 Depth=2
	v_add_co_u32 v2, s5, v26, v16
	s_delay_alu instid0(VALU_DEP_1)
	v_add_co_ci_u32_e64 v3, s5, v27, v17, s5
	global_load_b128 v[52:55], v[2:3], off offset:256
	s_waitcnt vmcnt(0)
	v_xor_b32_e32 v55, 0x80000000, v55
	ds_store_b128 v58, v[52:55] offset:8448
.LBB131_33:                             ;   in Loop: Header=BB131_7 Depth=2
	s_and_not1_saveexec_b32 s5, s6
	s_cbranch_execz .LBB131_39
; %bb.34:                               ;   in Loop: Header=BB131_7 Depth=2
	s_and_saveexec_b32 s6, s39
	s_delay_alu instid0(SALU_CYCLE_1)
	s_xor_b32 s6, exec_lo, s6
	s_cbranch_execz .LBB131_36
; %bb.35:                               ;   in Loop: Header=BB131_7 Depth=2
	v_mov_b32_e32 v52, v0
	v_mov_b32_e32 v53, v0
	;; [unrolled: 1-line block ×4, first 2 shown]
	ds_store_b128 v58, v[52:55] offset:8448
.LBB131_36:                             ;   in Loop: Header=BB131_7 Depth=2
	s_and_not1_saveexec_b32 s6, s6
	s_cbranch_execz .LBB131_38
; %bb.37:                               ;   in Loop: Header=BB131_7 Depth=2
	v_mov_b32_e32 v2, v0
	v_mov_b32_e32 v3, v0
	ds_store_b128 v58, v[0:3] offset:8448
.LBB131_38:                             ;   in Loop: Header=BB131_7 Depth=2
	s_or_b32 exec_lo, exec_lo, s6
.LBB131_39:                             ;   in Loop: Header=BB131_7 Depth=2
	s_delay_alu instid0(SALU_CYCLE_1) | instskip(SKIP_1) | instid1(VALU_DEP_1)
	s_or_b32 exec_lo, exec_lo, s5
	v_add_co_u32 v2, s5, v12, s30
	v_add_co_ci_u32_e64 v3, s5, s31, v13, s5
	v_add_co_u32 v52, s6, v34, v20
	s_delay_alu instid0(VALU_DEP_1) | instskip(NEXT) | instid1(VALU_DEP_3)
	v_add_co_ci_u32_e64 v53, s6, v35, v21, s6
	v_cmp_le_i64_e64 s5, s[10:11], v[2:3]
	s_delay_alu instid0(VALU_DEP_1) | instskip(NEXT) | instid1(SALU_CYCLE_1)
	s_or_b32 s6, s5, vcc_lo
	s_xor_b32 s6, s6, -1
	s_delay_alu instid0(SALU_CYCLE_1) | instskip(NEXT) | instid1(SALU_CYCLE_1)
	s_and_saveexec_b32 s7, s6
	s_xor_b32 s6, exec_lo, s7
	s_cbranch_execz .LBB131_41
; %bb.40:                               ;   in Loop: Header=BB131_7 Depth=2
	global_load_b128 v[65:68], v[52:53], off offset:-256
	s_waitcnt vmcnt(0)
	ds_store_2addr_b64 v60, v[65:66], v[67:68] offset1:1
.LBB131_41:                             ;   in Loop: Header=BB131_7 Depth=2
	s_and_not1_saveexec_b32 s6, s6
	s_cbranch_execz .LBB131_43
; %bb.42:                               ;   in Loop: Header=BB131_7 Depth=2
	v_mov_b32_e32 v65, v0
	v_mov_b32_e32 v66, v0
	;; [unrolled: 1-line block ×4, first 2 shown]
	ds_store_b128 v60, v[65:68]
.LBB131_43:                             ;   in Loop: Header=BB131_7 Depth=2
	s_or_b32 exec_lo, exec_lo, s6
	s_or_b32 s5, s5, s0
	s_delay_alu instid0(SALU_CYCLE_1) | instskip(NEXT) | instid1(SALU_CYCLE_1)
	s_xor_b32 s5, s5, -1
	s_and_saveexec_b32 s6, s5
	s_delay_alu instid0(SALU_CYCLE_1)
	s_xor_b32 s5, exec_lo, s6
	s_cbranch_execz .LBB131_45
; %bb.44:                               ;   in Loop: Header=BB131_7 Depth=2
	global_load_b128 v[52:55], v[52:53], off
	s_waitcnt vmcnt(0)
	ds_store_2addr_b64 v61, v[52:53], v[54:55] offset1:1
.LBB131_45:                             ;   in Loop: Header=BB131_7 Depth=2
	s_and_not1_saveexec_b32 s5, s5
	s_cbranch_execz .LBB131_47
; %bb.46:                               ;   in Loop: Header=BB131_7 Depth=2
	v_mov_b32_e32 v52, v0
	v_mov_b32_e32 v53, v0
	;; [unrolled: 1-line block ×4, first 2 shown]
	ds_store_b128 v61, v[52:55]
.LBB131_47:                             ;   in Loop: Header=BB131_7 Depth=2
	s_or_b32 exec_lo, exec_lo, s5
	v_cmp_le_i64_e64 s5, s[26:27], v[2:3]
	s_delay_alu instid0(VALU_DEP_1) | instskip(NEXT) | instid1(SALU_CYCLE_1)
	s_or_b32 s6, s5, vcc_lo
	s_xor_b32 s6, s6, -1
	s_delay_alu instid0(SALU_CYCLE_1) | instskip(NEXT) | instid1(SALU_CYCLE_1)
	s_and_saveexec_b32 s7, s6
	s_xor_b32 s7, exec_lo, s7
	s_cbranch_execz .LBB131_49
; %bb.48:                               ;   in Loop: Header=BB131_7 Depth=2
	v_add_co_u32 v2, s6, v34, v22
	s_delay_alu instid0(VALU_DEP_1)
	v_add_co_ci_u32_e64 v3, s6, v35, v23, s6
	global_load_b128 v[52:55], v[2:3], off offset:-256
	s_waitcnt vmcnt(0)
	ds_store_2addr_b64 v62, v[52:53], v[54:55] offset1:1
.LBB131_49:                             ;   in Loop: Header=BB131_7 Depth=2
	s_and_not1_saveexec_b32 s6, s7
	s_cbranch_execz .LBB131_51
; %bb.50:                               ;   in Loop: Header=BB131_7 Depth=2
	v_mov_b32_e32 v52, v0
	v_mov_b32_e32 v53, v0
	;; [unrolled: 1-line block ×4, first 2 shown]
	ds_store_b128 v62, v[52:55]
.LBB131_51:                             ;   in Loop: Header=BB131_7 Depth=2
	s_or_b32 exec_lo, exec_lo, s6
	s_or_b32 s5, s5, s0
	s_delay_alu instid0(SALU_CYCLE_1) | instskip(NEXT) | instid1(SALU_CYCLE_1)
	s_xor_b32 s5, s5, -1
	s_and_saveexec_b32 s6, s5
	s_delay_alu instid0(SALU_CYCLE_1)
	s_xor_b32 s6, exec_lo, s6
	s_cbranch_execz .LBB131_53
; %bb.52:                               ;   in Loop: Header=BB131_7 Depth=2
	v_add_co_u32 v2, s5, v34, v22
	s_delay_alu instid0(VALU_DEP_1)
	v_add_co_ci_u32_e64 v3, s5, v35, v23, s5
	global_load_b128 v[52:55], v[2:3], off
	s_waitcnt vmcnt(0)
	ds_store_2addr_b64 v63, v[52:53], v[54:55] offset1:1
.LBB131_53:                             ;   in Loop: Header=BB131_7 Depth=2
	s_and_not1_saveexec_b32 s5, s6
	s_cbranch_execz .LBB131_6
; %bb.54:                               ;   in Loop: Header=BB131_7 Depth=2
	v_mov_b32_e32 v52, v0
	v_mov_b32_e32 v53, v0
	;; [unrolled: 1-line block ×4, first 2 shown]
	ds_store_b128 v63, v[52:55]
	s_branch .LBB131_6
.LBB131_55:                             ;   in Loop: Header=BB131_4 Depth=1
	v_mul_lo_u32 v11, v15, s40
	v_mul_lo_u32 v13, v14, s41
	v_mad_u64_u32 v[2:3], null, v14, s40, 0
	v_cmp_gt_i32_e64 s3, s10, v14
	s_delay_alu instid0(VALU_DEP_2) | instskip(NEXT) | instid1(VALU_DEP_1)
	v_add3_u32 v3, v3, v13, v11
	v_lshlrev_b64 v[2:3], 4, v[2:3]
	s_delay_alu instid0(VALU_DEP_1) | instskip(NEXT) | instid1(VALU_DEP_1)
	v_add_co_u32 v2, s4, s35, v2
	v_add_co_ci_u32_e64 v3, s4, s36, v3, s4
	s_and_b32 s4, s1, s3
	s_delay_alu instid0(SALU_CYCLE_1)
	s_and_saveexec_b32 s5, s4
	s_cbranch_execz .LBB131_57
; %bb.56:                               ;   in Loop: Header=BB131_4 Depth=1
	v_add_co_u32 v19, s4, v2, v4
	s_delay_alu instid0(VALU_DEP_1)
	v_add_co_ci_u32_e64 v20, s4, v3, v5, s4
	v_mul_f64 v[21:22], s[46:47], v[46:47]
	v_mul_f64 v[23:24], s[44:45], v[46:47]
	global_load_b128 v[15:18], v[19:20], off
	v_fma_f64 v[21:22], s[44:45], v[44:45], -v[21:22]
	v_fma_f64 v[23:24], s[46:47], v[44:45], v[23:24]
	s_waitcnt vmcnt(0)
	s_delay_alu instid0(VALU_DEP_2) | instskip(NEXT) | instid1(VALU_DEP_2)
	v_add_f64 v[15:16], v[15:16], v[21:22]
	v_add_f64 v[17:18], v[17:18], v[23:24]
	global_store_b128 v[19:20], v[15:18], off
.LBB131_57:                             ;   in Loop: Header=BB131_4 Depth=1
	s_or_b32 exec_lo, exec_lo, s5
	s_and_b32 s3, s2, s3
	s_delay_alu instid0(SALU_CYCLE_1)
	s_and_saveexec_b32 s4, s3
	s_cbranch_execz .LBB131_59
; %bb.58:                               ;   in Loop: Header=BB131_4 Depth=1
	v_lshlrev_b64 v[15:16], 4, v[8:9]
	v_mul_f64 v[19:20], s[46:47], v[42:43]
	v_mul_f64 v[21:22], s[44:45], v[42:43]
	s_delay_alu instid0(VALU_DEP_3) | instskip(NEXT) | instid1(VALU_DEP_1)
	v_add_co_u32 v2, s3, v2, v15
	v_add_co_ci_u32_e64 v3, s3, v3, v16, s3
	global_load_b128 v[15:18], v[2:3], off
	v_fma_f64 v[19:20], s[44:45], v[40:41], -v[19:20]
	v_fma_f64 v[21:22], s[46:47], v[40:41], v[21:22]
	s_waitcnt vmcnt(0)
	s_delay_alu instid0(VALU_DEP_2) | instskip(NEXT) | instid1(VALU_DEP_2)
	v_add_f64 v[15:16], v[15:16], v[19:20]
	v_add_f64 v[17:18], v[17:18], v[21:22]
	global_store_b128 v[2:3], v[15:18], off
.LBB131_59:                             ;   in Loop: Header=BB131_4 Depth=1
	s_or_b32 exec_lo, exec_lo, s4
	v_add_nc_u32_e32 v11, 16, v14
	s_delay_alu instid0(VALU_DEP_1) | instskip(SKIP_3) | instid1(VALU_DEP_4)
	v_ashrrev_i32_e32 v13, 31, v11
	v_mul_lo_u32 v14, v11, s41
	v_mad_u64_u32 v[2:3], null, v11, s40, 0
	v_cmp_gt_i32_e64 s3, s10, v11
	v_mul_lo_u32 v13, v13, s40
	s_delay_alu instid0(VALU_DEP_1) | instskip(NEXT) | instid1(VALU_DEP_1)
	v_add3_u32 v3, v3, v14, v13
	v_lshlrev_b64 v[2:3], 4, v[2:3]
	s_delay_alu instid0(VALU_DEP_1) | instskip(NEXT) | instid1(VALU_DEP_1)
	v_add_co_u32 v2, s4, s35, v2
	v_add_co_ci_u32_e64 v3, s4, s36, v3, s4
	s_and_b32 s4, s1, s3
	s_delay_alu instid0(SALU_CYCLE_1)
	s_and_saveexec_b32 s5, s4
	s_cbranch_execz .LBB131_61
; %bb.60:                               ;   in Loop: Header=BB131_4 Depth=1
	v_add_co_u32 v17, s4, v2, v4
	s_delay_alu instid0(VALU_DEP_1)
	v_add_co_ci_u32_e64 v18, s4, v3, v5, s4
	v_mul_f64 v[19:20], s[46:47], v[38:39]
	v_mul_f64 v[21:22], s[44:45], v[38:39]
	global_load_b128 v[13:16], v[17:18], off
	v_fma_f64 v[19:20], s[44:45], v[36:37], -v[19:20]
	v_fma_f64 v[21:22], s[46:47], v[36:37], v[21:22]
	s_waitcnt vmcnt(0)
	s_delay_alu instid0(VALU_DEP_2) | instskip(NEXT) | instid1(VALU_DEP_2)
	v_add_f64 v[13:14], v[13:14], v[19:20]
	v_add_f64 v[15:16], v[15:16], v[21:22]
	global_store_b128 v[17:18], v[13:16], off
.LBB131_61:                             ;   in Loop: Header=BB131_4 Depth=1
	s_or_b32 exec_lo, exec_lo, s5
	s_and_b32 s3, s2, s3
	s_delay_alu instid0(SALU_CYCLE_1)
	s_and_saveexec_b32 s4, s3
	s_cbranch_execz .LBB131_3
; %bb.62:                               ;   in Loop: Header=BB131_4 Depth=1
	v_lshlrev_b64 v[13:14], 4, v[8:9]
	v_mul_f64 v[17:18], s[46:47], v[48:49]
	v_mul_f64 v[19:20], s[44:45], v[48:49]
	s_delay_alu instid0(VALU_DEP_3) | instskip(NEXT) | instid1(VALU_DEP_1)
	v_add_co_u32 v2, s3, v2, v13
	v_add_co_ci_u32_e64 v3, s3, v3, v14, s3
	global_load_b128 v[13:16], v[2:3], off
	v_fma_f64 v[17:18], s[44:45], v[50:51], -v[17:18]
	v_fma_f64 v[19:20], s[46:47], v[50:51], v[19:20]
	s_waitcnt vmcnt(0)
	s_delay_alu instid0(VALU_DEP_2) | instskip(NEXT) | instid1(VALU_DEP_2)
	v_add_f64 v[13:14], v[13:14], v[17:18]
	v_add_f64 v[15:16], v[15:16], v[19:20]
	global_store_b128 v[2:3], v[13:16], off
	s_branch .LBB131_3
.LBB131_63:
	s_nop 0
	s_sendmsg sendmsg(MSG_DEALLOC_VGPRS)
	s_endpgm
	.section	.rodata,"a",@progbits
	.p2align	6, 0x0
	.amdhsa_kernel _ZL30rocblas_trmm_outofplace_kernelI19rocblas_complex_numIdELi32ELi2ELb0ELb1ELb1ELb1ES1_KS1_S1_Ev17rocblas_diagonal_iiT6_lPT7_lllS6_lllPT8_llli
		.amdhsa_group_segment_fixed_size 32768
		.amdhsa_private_segment_fixed_size 0
		.amdhsa_kernarg_size 400
		.amdhsa_user_sgpr_count 13
		.amdhsa_user_sgpr_dispatch_ptr 0
		.amdhsa_user_sgpr_queue_ptr 0
		.amdhsa_user_sgpr_kernarg_segment_ptr 1
		.amdhsa_user_sgpr_dispatch_id 0
		.amdhsa_user_sgpr_private_segment_size 0
		.amdhsa_wavefront_size32 1
		.amdhsa_uses_dynamic_stack 0
		.amdhsa_enable_private_segment 0
		.amdhsa_system_sgpr_workgroup_id_x 1
		.amdhsa_system_sgpr_workgroup_id_y 1
		.amdhsa_system_sgpr_workgroup_id_z 1
		.amdhsa_system_sgpr_workgroup_info 0
		.amdhsa_system_vgpr_workitem_id 1
		.amdhsa_next_free_vgpr 85
		.amdhsa_next_free_sgpr 48
		.amdhsa_reserve_vcc 1
		.amdhsa_float_round_mode_32 0
		.amdhsa_float_round_mode_16_64 0
		.amdhsa_float_denorm_mode_32 3
		.amdhsa_float_denorm_mode_16_64 3
		.amdhsa_dx10_clamp 1
		.amdhsa_ieee_mode 1
		.amdhsa_fp16_overflow 0
		.amdhsa_workgroup_processor_mode 1
		.amdhsa_memory_ordered 1
		.amdhsa_forward_progress 0
		.amdhsa_shared_vgpr_count 0
		.amdhsa_exception_fp_ieee_invalid_op 0
		.amdhsa_exception_fp_denorm_src 0
		.amdhsa_exception_fp_ieee_div_zero 0
		.amdhsa_exception_fp_ieee_overflow 0
		.amdhsa_exception_fp_ieee_underflow 0
		.amdhsa_exception_fp_ieee_inexact 0
		.amdhsa_exception_int_div_zero 0
	.end_amdhsa_kernel
	.section	.text._ZL30rocblas_trmm_outofplace_kernelI19rocblas_complex_numIdELi32ELi2ELb0ELb1ELb1ELb1ES1_KS1_S1_Ev17rocblas_diagonal_iiT6_lPT7_lllS6_lllPT8_llli,"axG",@progbits,_ZL30rocblas_trmm_outofplace_kernelI19rocblas_complex_numIdELi32ELi2ELb0ELb1ELb1ELb1ES1_KS1_S1_Ev17rocblas_diagonal_iiT6_lPT7_lllS6_lllPT8_llli,comdat
.Lfunc_end131:
	.size	_ZL30rocblas_trmm_outofplace_kernelI19rocblas_complex_numIdELi32ELi2ELb0ELb1ELb1ELb1ES1_KS1_S1_Ev17rocblas_diagonal_iiT6_lPT7_lllS6_lllPT8_llli, .Lfunc_end131-_ZL30rocblas_trmm_outofplace_kernelI19rocblas_complex_numIdELi32ELi2ELb0ELb1ELb1ELb1ES1_KS1_S1_Ev17rocblas_diagonal_iiT6_lPT7_lllS6_lllPT8_llli
                                        ; -- End function
	.section	.AMDGPU.csdata,"",@progbits
; Kernel info:
; codeLenInByte = 11520
; NumSgprs: 50
; NumVgprs: 85
; ScratchSize: 0
; MemoryBound: 0
; FloatMode: 240
; IeeeMode: 1
; LDSByteSize: 32768 bytes/workgroup (compile time only)
; SGPRBlocks: 6
; VGPRBlocks: 10
; NumSGPRsForWavesPerEU: 50
; NumVGPRsForWavesPerEU: 85
; Occupancy: 16
; WaveLimiterHint : 0
; COMPUTE_PGM_RSRC2:SCRATCH_EN: 0
; COMPUTE_PGM_RSRC2:USER_SGPR: 13
; COMPUTE_PGM_RSRC2:TRAP_HANDLER: 0
; COMPUTE_PGM_RSRC2:TGID_X_EN: 1
; COMPUTE_PGM_RSRC2:TGID_Y_EN: 1
; COMPUTE_PGM_RSRC2:TGID_Z_EN: 1
; COMPUTE_PGM_RSRC2:TIDIG_COMP_CNT: 1
	.section	.text._ZL23rocblas_trmm_lNx_kernelILi16E19rocblas_complex_numIdEPKS1_S2_S1_Ev13rocblas_fill_17rocblas_diagonal_iiT1_lPT2_llS8_llPT3_lli,"axG",@progbits,_ZL23rocblas_trmm_lNx_kernelILi16E19rocblas_complex_numIdEPKS1_S2_S1_Ev13rocblas_fill_17rocblas_diagonal_iiT1_lPT2_llS8_llPT3_lli,comdat
	.globl	_ZL23rocblas_trmm_lNx_kernelILi16E19rocblas_complex_numIdEPKS1_S2_S1_Ev13rocblas_fill_17rocblas_diagonal_iiT1_lPT2_llS8_llPT3_lli ; -- Begin function _ZL23rocblas_trmm_lNx_kernelILi16E19rocblas_complex_numIdEPKS1_S2_S1_Ev13rocblas_fill_17rocblas_diagonal_iiT1_lPT2_llS8_llPT3_lli
	.p2align	8
	.type	_ZL23rocblas_trmm_lNx_kernelILi16E19rocblas_complex_numIdEPKS1_S2_S1_Ev13rocblas_fill_17rocblas_diagonal_iiT1_lPT2_llS8_llPT3_lli,@function
_ZL23rocblas_trmm_lNx_kernelILi16E19rocblas_complex_numIdEPKS1_S2_S1_Ev13rocblas_fill_17rocblas_diagonal_iiT1_lPT2_llS8_llPT3_lli: ; @_ZL23rocblas_trmm_lNx_kernelILi16E19rocblas_complex_numIdEPKS1_S2_S1_Ev13rocblas_fill_17rocblas_diagonal_iiT1_lPT2_llS8_llPT3_lli
; %bb.0:
	s_load_b512 s[16:31], s[0:1], 0x10
	s_waitcnt lgkmcnt(0)
	s_mul_i32 s3, s15, s19
	s_mul_hi_u32 s4, s15, s18
	s_mul_i32 s2, s15, s18
	s_add_i32 s3, s4, s3
	s_delay_alu instid0(SALU_CYCLE_1) | instskip(NEXT) | instid1(SALU_CYCLE_1)
	s_lshl_b64 s[2:3], s[2:3], 4
	s_add_u32 s2, s16, s2
	s_addc_u32 s3, s17, s3
	s_load_b128 s[4:7], s[2:3], 0x0
	s_waitcnt lgkmcnt(0)
	v_cmp_neq_f64_e64 s2, s[4:5], 0
	v_cmp_neq_f64_e64 s3, s[6:7], 0
	s_delay_alu instid0(VALU_DEP_1) | instskip(NEXT) | instid1(SALU_CYCLE_1)
	s_or_b32 s2, s2, s3
	s_and_not1_b32 vcc_lo, exec_lo, s2
	s_cbranch_vccnz .LBB132_15
; %bb.1:
	s_load_b128 s[8:11], s[0:1], 0x0
	v_bfe_u32 v1, v0, 10, 10
	s_mov_b32 s16, 0
	s_delay_alu instid0(SALU_CYCLE_1)
	s_mov_b32 s17, s16
	s_mov_b32 s18, s16
	;; [unrolled: 1-line block ×3, first 2 shown]
	v_dual_mov_b32 v5, s16 :: v_dual_and_b32 v4, 0x3ff, v0
	v_dual_mov_b32 v7, s18 :: v_dual_lshlrev_b32 v2, 4, v1
	v_mov_b32_e32 v6, s17
	v_mov_b32_e32 v8, s19
	s_delay_alu instid0(VALU_DEP_4) | instskip(NEXT) | instid1(VALU_DEP_4)
	v_lshlrev_b32_e32 v0, 4, v4
	v_add_lshl_u32 v3, v2, v4, 4
	ds_store_b128 v3, v[5:8]
	ds_store_b128 v3, v[5:8] offset:4096
	s_waitcnt lgkmcnt(0)
	v_cmp_gt_i32_e64 s2, s10, v1
	v_cmp_gt_i32_e32 vcc_lo, s10, v4
	s_delay_alu instid0(VALU_DEP_2) | instskip(NEXT) | instid1(SALU_CYCLE_1)
	s_and_b32 s2, s2, vcc_lo
	s_and_saveexec_b32 s3, s2
	s_cbranch_execz .LBB132_3
; %bb.2:
	v_mad_u64_u32 v[5:6], null, v1, s22, 0
	s_mul_i32 s2, s15, s25
	s_mul_hi_u32 s10, s15, s24
	s_mul_i32 s12, s15, s24
	s_add_i32 s13, s10, s2
	s_delay_alu instid0(SALU_CYCLE_1) | instskip(NEXT) | instid1(VALU_DEP_1)
	s_lshl_b64 s[12:13], s[12:13], 4
	v_mad_u64_u32 v[7:8], null, v1, s23, v[6:7]
	s_add_u32 s2, s20, s12
	s_addc_u32 s10, s21, s13
	s_delay_alu instid0(VALU_DEP_1) | instskip(NEXT) | instid1(VALU_DEP_1)
	v_mov_b32_e32 v6, v7
	v_lshlrev_b64 v[5:6], 4, v[5:6]
	s_delay_alu instid0(VALU_DEP_1) | instskip(NEXT) | instid1(VALU_DEP_1)
	v_add_co_u32 v5, s2, s2, v5
	v_add_co_ci_u32_e64 v6, s2, s10, v6, s2
	s_delay_alu instid0(VALU_DEP_2) | instskip(NEXT) | instid1(VALU_DEP_1)
	v_add_co_u32 v5, s2, v5, v0
	v_add_co_ci_u32_e64 v6, s2, 0, v6, s2
	global_load_b128 v[5:8], v[5:6], off
	s_waitcnt vmcnt(0)
	ds_store_2addr_b64 v3, v[5:6], v[7:8] offset1:1
.LBB132_3:
	s_or_b32 exec_lo, exec_lo, s3
	s_add_i32 s2, s11, -1
	s_delay_alu instid0(SALU_CYCLE_1) | instskip(NEXT) | instid1(SALU_CYCLE_1)
	s_ashr_i32 s3, s2, 31
	s_lshr_b32 s3, s3, 28
	s_delay_alu instid0(SALU_CYCLE_1) | instskip(NEXT) | instid1(SALU_CYCLE_1)
	s_add_i32 s2, s2, s3
	s_and_b32 s3, s2, -16
	s_ashr_i32 s2, s2, 4
	s_sub_i32 s3, s11, s3
	s_cmp_ge_i32 s14, s2
	s_cselect_b32 s2, s3, 16
	s_lshl_b32 s3, s14, 4
	v_cmp_gt_i32_e64 s2, s2, v1
	s_ashr_i32 s10, s3, 31
	s_delay_alu instid0(VALU_DEP_1) | instskip(NEXT) | instid1(SALU_CYCLE_1)
	s_and_b32 s2, vcc_lo, s2
	s_and_saveexec_b32 s11, s2
	s_cbranch_execz .LBB132_5
; %bb.4:
	v_mad_u64_u32 v[5:6], null, v1, s28, 0
	s_mul_i32 s13, s15, s31
	s_mul_hi_u32 s14, s15, s30
	s_mul_i32 s12, s15, s30
	s_add_i32 s13, s14, s13
	s_mul_i32 s16, s3, s29
	s_lshl_b64 s[12:13], s[12:13], 4
	s_delay_alu instid0(VALU_DEP_1)
	v_mad_u64_u32 v[7:8], null, v1, s29, v[6:7]
	s_mul_hi_u32 s14, s3, s28
	s_add_u32 s18, s26, s12
	s_mul_i32 s17, s10, s28
	s_addc_u32 s19, s27, s13
	s_add_i32 s13, s14, s16
	s_mul_i32 s12, s3, s28
	s_delay_alu instid0(VALU_DEP_1) | instskip(SKIP_1) | instid1(SALU_CYCLE_1)
	v_dual_mov_b32 v6, v7 :: v_dual_add_nc_u32 v9, 0x1000, v3
	s_add_i32 s13, s13, s17
	s_lshl_b64 s[12:13], s[12:13], 4
	s_delay_alu instid0(VALU_DEP_1) | instskip(SKIP_2) | instid1(VALU_DEP_1)
	v_lshlrev_b64 v[5:6], 4, v[5:6]
	s_add_u32 s12, s18, s12
	s_addc_u32 s13, s19, s13
	v_add_co_u32 v5, vcc_lo, s12, v5
	s_delay_alu instid0(VALU_DEP_2) | instskip(NEXT) | instid1(VALU_DEP_2)
	v_add_co_ci_u32_e32 v6, vcc_lo, s13, v6, vcc_lo
	v_add_co_u32 v5, vcc_lo, v5, v0
	s_delay_alu instid0(VALU_DEP_2)
	v_add_co_ci_u32_e32 v6, vcc_lo, 0, v6, vcc_lo
	global_load_b128 v[5:8], v[5:6], off
	s_waitcnt vmcnt(0)
	ds_store_2addr_b64 v9, v[5:6], v[7:8] offset1:1
.LBB132_5:
	s_or_b32 exec_lo, exec_lo, s11
	v_cmp_eq_u32_e32 vcc_lo, v1, v4
	s_cmpk_eq_i32 s9, 0x84
	s_cselect_b32 s9, -1, 0
	s_delay_alu instid0(SALU_CYCLE_1) | instskip(NEXT) | instid1(SALU_CYCLE_1)
	s_and_b32 s11, vcc_lo, s9
	s_and_saveexec_b32 s9, s11
	s_cbranch_execz .LBB132_7
; %bb.6:
	v_dual_mov_b32 v5, 0 :: v_dual_mov_b32 v6, 0x3ff00000
	s_delay_alu instid0(VALU_DEP_1)
	v_mov_b32_e32 v7, v5
	v_mov_b32_e32 v8, v5
	ds_store_b128 v3, v[5:8]
.LBB132_7:
	s_or_b32 exec_lo, exec_lo, s9
	s_cmpk_lg_i32 s8, 0x79
	s_cbranch_scc0 .LBB132_9
; %bb.8:
	v_cmp_lt_u32_e32 vcc_lo, v4, v1
	s_and_b32 s8, vcc_lo, exec_lo
	s_cbranch_execz .LBB132_10
	s_branch .LBB132_11
.LBB132_9:
	s_mov_b32 s8, 0
.LBB132_10:
	v_cmp_gt_u32_e32 vcc_lo, v4, v1
	s_and_not1_b32 s8, s8, exec_lo
	s_and_b32 s9, vcc_lo, exec_lo
	s_delay_alu instid0(SALU_CYCLE_1)
	s_or_b32 s8, s8, s9
.LBB132_11:
	s_delay_alu instid0(SALU_CYCLE_1)
	s_and_saveexec_b32 s9, s8
	s_cbranch_execz .LBB132_13
; %bb.12:
	v_mov_b32_e32 v4, 0
	s_delay_alu instid0(VALU_DEP_1)
	v_mov_b32_e32 v5, v4
	v_mov_b32_e32 v6, v4
	v_mov_b32_e32 v7, v4
	ds_store_b128 v3, v[4:7]
.LBB132_13:
	s_or_b32 exec_lo, exec_lo, s9
	s_waitcnt lgkmcnt(0)
	s_barrier
	buffer_gl0_inv
	s_and_saveexec_b32 s8, s2
	s_cbranch_execz .LBB132_15
; %bb.14:
	v_lshlrev_b32_e32 v44, 4, v2
	ds_load_b128 v[2:5], v44 offset:4096
	ds_load_b128 v[6:9], v0
	ds_load_b128 v[10:13], v0 offset:256
	ds_load_b128 v[14:17], v44 offset:4112
	s_waitcnt lgkmcnt(2)
	v_mul_f64 v[18:19], v[2:3], v[8:9]
	v_mul_f64 v[8:9], v[4:5], v[8:9]
	s_waitcnt lgkmcnt(0)
	v_mul_f64 v[34:35], v[14:15], v[12:13]
	v_mul_f64 v[12:13], v[16:17], v[12:13]
	s_delay_alu instid0(VALU_DEP_4)
	v_fma_f64 v[4:5], v[4:5], v[6:7], v[18:19]
	ds_load_b128 v[18:21], v44 offset:4128
	ds_load_b128 v[22:25], v0 offset:512
	;; [unrolled: 1-line block ×4, first 2 shown]
	v_fma_f64 v[16:17], v[16:17], v[10:11], v[34:35]
	v_fma_f64 v[2:3], v[2:3], v[6:7], -v[8:9]
	s_waitcnt lgkmcnt(2)
	v_mul_f64 v[36:37], v[18:19], v[24:25]
	v_mul_f64 v[24:25], v[20:21], v[24:25]
	s_waitcnt lgkmcnt(0)
	v_mul_f64 v[34:35], v[30:31], v[28:29]
	v_mul_f64 v[28:29], v[32:33], v[28:29]
	v_add_f64 v[4:5], v[4:5], 0
	v_add_f64 v[38:39], v[2:3], 0
	v_fma_f64 v[20:21], v[20:21], v[22:23], v[36:37]
	v_fma_f64 v[36:37], v[14:15], v[10:11], -v[12:13]
	v_fma_f64 v[32:33], v[32:33], v[26:27], v[34:35]
	v_fma_f64 v[18:19], v[18:19], v[22:23], -v[24:25]
	v_add_f64 v[40:41], v[4:5], v[16:17]
	ds_load_b128 v[2:5], v44 offset:4160
	ds_load_b128 v[6:9], v0 offset:1024
	ds_load_b128 v[10:13], v0 offset:1280
	ds_load_b128 v[14:17], v44 offset:4176
	s_waitcnt lgkmcnt(2)
	v_mul_f64 v[42:43], v[2:3], v[8:9]
	v_add_f64 v[22:23], v[38:39], v[36:37]
	s_waitcnt lgkmcnt(0)
	v_mul_f64 v[34:35], v[14:15], v[12:13]
	v_mul_f64 v[8:9], v[4:5], v[8:9]
	v_fma_f64 v[36:37], v[30:31], v[26:27], -v[28:29]
	v_mul_f64 v[12:13], v[16:17], v[12:13]
	v_add_f64 v[20:21], v[40:41], v[20:21]
	v_fma_f64 v[4:5], v[4:5], v[6:7], v[42:43]
	v_add_f64 v[38:39], v[22:23], v[18:19]
	v_fma_f64 v[16:17], v[16:17], v[10:11], v[34:35]
	v_fma_f64 v[2:3], v[2:3], v[6:7], -v[8:9]
	v_add_f64 v[40:41], v[20:21], v[32:33]
	ds_load_b128 v[18:21], v44 offset:4192
	ds_load_b128 v[22:25], v0 offset:1536
	ds_load_b128 v[26:29], v0 offset:1792
	ds_load_b128 v[30:33], v44 offset:4208
	s_waitcnt lgkmcnt(2)
	v_mul_f64 v[42:43], v[18:19], v[24:25]
	v_add_f64 v[6:7], v[38:39], v[36:37]
	s_waitcnt lgkmcnt(0)
	v_mul_f64 v[34:35], v[30:31], v[28:29]
	v_mul_f64 v[24:25], v[20:21], v[24:25]
	v_fma_f64 v[36:37], v[14:15], v[10:11], -v[12:13]
	v_mul_f64 v[28:29], v[32:33], v[28:29]
	v_add_f64 v[4:5], v[40:41], v[4:5]
	v_fma_f64 v[20:21], v[20:21], v[22:23], v[42:43]
	v_add_f64 v[38:39], v[6:7], v[2:3]
	;; [unrolled: 18-line block ×5, first 2 shown]
	v_fma_f64 v[16:17], v[16:17], v[10:11], v[34:35]
	v_fma_f64 v[2:3], v[2:3], v[6:7], -v[8:9]
	v_fma_f64 v[10:11], v[14:15], v[10:11], -v[12:13]
	v_add_f64 v[40:41], v[20:21], v[32:33]
	ds_load_b128 v[18:21], v44 offset:4320
	ds_load_b128 v[22:25], v0 offset:3584
	;; [unrolled: 1-line block ×4, first 2 shown]
	s_clause 0x1
	s_load_b128 s[16:19], s[0:1], 0x50
	s_load_b64 s[0:1], s[0:1], 0x60
	s_waitcnt lgkmcnt(0)
	v_mul_f64 v[42:43], v[18:19], v[24:25]
	v_add_f64 v[6:7], v[38:39], v[36:37]
	v_mul_f64 v[8:9], v[30:31], v[28:29]
	v_mul_f64 v[24:25], v[20:21], v[24:25]
	s_mul_i32 s1, s15, s1
	s_mul_hi_u32 s2, s15, s0
	s_mul_i32 s0, s15, s0
	s_add_i32 s1, s2, s1
	s_mul_i32 s10, s10, s18
	s_lshl_b64 s[0:1], s[0:1], 4
	s_delay_alu instid0(SALU_CYCLE_1)
	s_add_u32 s2, s16, s0
	s_mul_i32 s0, s3, s19
	v_add_f64 v[4:5], v[40:41], v[4:5]
	v_fma_f64 v[20:21], v[20:21], v[22:23], v[42:43]
	v_add_f64 v[2:3], v[6:7], v[2:3]
	v_mul_f64 v[6:7], v[32:33], v[28:29]
	v_fma_f64 v[8:9], v[32:33], v[26:27], v[8:9]
	v_fma_f64 v[12:13], v[18:19], v[22:23], -v[24:25]
	v_add_f64 v[4:5], v[4:5], v[16:17]
	v_add_f64 v[2:3], v[2:3], v[10:11]
	v_fma_f64 v[6:7], v[30:31], v[26:27], -v[6:7]
	v_mad_u64_u32 v[10:11], null, v1, s18, 0
	s_delay_alu instid0(VALU_DEP_4) | instskip(NEXT) | instid1(VALU_DEP_4)
	v_add_f64 v[4:5], v[4:5], v[20:21]
	v_add_f64 v[2:3], v[2:3], v[12:13]
	s_delay_alu instid0(VALU_DEP_2) | instskip(NEXT) | instid1(VALU_DEP_2)
	v_add_f64 v[4:5], v[4:5], v[8:9]
	v_add_f64 v[2:3], v[2:3], v[6:7]
	s_delay_alu instid0(VALU_DEP_2) | instskip(SKIP_1) | instid1(VALU_DEP_2)
	v_mul_f64 v[6:7], s[4:5], v[4:5]
	v_mul_f64 v[8:9], s[6:7], v[4:5]
	v_fma_f64 v[4:5], s[6:7], v[2:3], v[6:7]
	s_delay_alu instid0(VALU_DEP_2) | instskip(SKIP_4) | instid1(VALU_DEP_1)
	v_fma_f64 v[2:3], s[4:5], v[2:3], -v[8:9]
	v_mov_b32_e32 v6, v11
	s_mul_hi_u32 s4, s3, s18
	s_addc_u32 s5, s17, s1
	s_add_i32 s0, s4, s0
	v_mad_u64_u32 v[7:8], null, v1, s19, v[6:7]
	s_add_i32 s1, s0, s10
	s_mul_i32 s0, s3, s18
	s_delay_alu instid0(SALU_CYCLE_1) | instskip(NEXT) | instid1(SALU_CYCLE_1)
	s_lshl_b64 s[0:1], s[0:1], 4
	s_add_u32 s0, s2, s0
	s_delay_alu instid0(VALU_DEP_1) | instskip(SKIP_1) | instid1(VALU_DEP_1)
	v_mov_b32_e32 v11, v7
	s_addc_u32 s1, s5, s1
	v_lshlrev_b64 v[6:7], 4, v[10:11]
	s_delay_alu instid0(VALU_DEP_1) | instskip(NEXT) | instid1(VALU_DEP_2)
	v_add_co_u32 v1, vcc_lo, s0, v6
	v_add_co_ci_u32_e32 v6, vcc_lo, s1, v7, vcc_lo
	s_delay_alu instid0(VALU_DEP_2) | instskip(NEXT) | instid1(VALU_DEP_2)
	v_add_co_u32 v0, vcc_lo, v1, v0
	v_add_co_ci_u32_e32 v1, vcc_lo, 0, v6, vcc_lo
	global_store_b128 v[0:1], v[2:5], off
.LBB132_15:
	s_nop 0
	s_sendmsg sendmsg(MSG_DEALLOC_VGPRS)
	s_endpgm
	.section	.rodata,"a",@progbits
	.p2align	6, 0x0
	.amdhsa_kernel _ZL23rocblas_trmm_lNx_kernelILi16E19rocblas_complex_numIdEPKS1_S2_S1_Ev13rocblas_fill_17rocblas_diagonal_iiT1_lPT2_llS8_llPT3_lli
		.amdhsa_group_segment_fixed_size 8192
		.amdhsa_private_segment_fixed_size 0
		.amdhsa_kernarg_size 108
		.amdhsa_user_sgpr_count 14
		.amdhsa_user_sgpr_dispatch_ptr 0
		.amdhsa_user_sgpr_queue_ptr 0
		.amdhsa_user_sgpr_kernarg_segment_ptr 1
		.amdhsa_user_sgpr_dispatch_id 0
		.amdhsa_user_sgpr_private_segment_size 0
		.amdhsa_wavefront_size32 1
		.amdhsa_uses_dynamic_stack 0
		.amdhsa_enable_private_segment 0
		.amdhsa_system_sgpr_workgroup_id_x 1
		.amdhsa_system_sgpr_workgroup_id_y 0
		.amdhsa_system_sgpr_workgroup_id_z 1
		.amdhsa_system_sgpr_workgroup_info 0
		.amdhsa_system_vgpr_workitem_id 1
		.amdhsa_next_free_vgpr 45
		.amdhsa_next_free_sgpr 32
		.amdhsa_reserve_vcc 1
		.amdhsa_float_round_mode_32 0
		.amdhsa_float_round_mode_16_64 0
		.amdhsa_float_denorm_mode_32 3
		.amdhsa_float_denorm_mode_16_64 3
		.amdhsa_dx10_clamp 1
		.amdhsa_ieee_mode 1
		.amdhsa_fp16_overflow 0
		.amdhsa_workgroup_processor_mode 1
		.amdhsa_memory_ordered 1
		.amdhsa_forward_progress 0
		.amdhsa_shared_vgpr_count 0
		.amdhsa_exception_fp_ieee_invalid_op 0
		.amdhsa_exception_fp_denorm_src 0
		.amdhsa_exception_fp_ieee_div_zero 0
		.amdhsa_exception_fp_ieee_overflow 0
		.amdhsa_exception_fp_ieee_underflow 0
		.amdhsa_exception_fp_ieee_inexact 0
		.amdhsa_exception_int_div_zero 0
	.end_amdhsa_kernel
	.section	.text._ZL23rocblas_trmm_lNx_kernelILi16E19rocblas_complex_numIdEPKS1_S2_S1_Ev13rocblas_fill_17rocblas_diagonal_iiT1_lPT2_llS8_llPT3_lli,"axG",@progbits,_ZL23rocblas_trmm_lNx_kernelILi16E19rocblas_complex_numIdEPKS1_S2_S1_Ev13rocblas_fill_17rocblas_diagonal_iiT1_lPT2_llS8_llPT3_lli,comdat
.Lfunc_end132:
	.size	_ZL23rocblas_trmm_lNx_kernelILi16E19rocblas_complex_numIdEPKS1_S2_S1_Ev13rocblas_fill_17rocblas_diagonal_iiT1_lPT2_llS8_llPT3_lli, .Lfunc_end132-_ZL23rocblas_trmm_lNx_kernelILi16E19rocblas_complex_numIdEPKS1_S2_S1_Ev13rocblas_fill_17rocblas_diagonal_iiT1_lPT2_llS8_llPT3_lli
                                        ; -- End function
	.section	.AMDGPU.csdata,"",@progbits
; Kernel info:
; codeLenInByte = 2088
; NumSgprs: 34
; NumVgprs: 45
; ScratchSize: 0
; MemoryBound: 0
; FloatMode: 240
; IeeeMode: 1
; LDSByteSize: 8192 bytes/workgroup (compile time only)
; SGPRBlocks: 4
; VGPRBlocks: 5
; NumSGPRsForWavesPerEU: 34
; NumVGPRsForWavesPerEU: 45
; Occupancy: 16
; WaveLimiterHint : 0
; COMPUTE_PGM_RSRC2:SCRATCH_EN: 0
; COMPUTE_PGM_RSRC2:USER_SGPR: 14
; COMPUTE_PGM_RSRC2:TRAP_HANDLER: 0
; COMPUTE_PGM_RSRC2:TGID_X_EN: 1
; COMPUTE_PGM_RSRC2:TGID_Y_EN: 0
; COMPUTE_PGM_RSRC2:TGID_Z_EN: 1
; COMPUTE_PGM_RSRC2:TIDIG_COMP_CNT: 1
	.section	.text._ZL23rocblas_trmm_lNx_kernelILi16E19rocblas_complex_numIdES1_KS1_S1_Ev13rocblas_fill_17rocblas_diagonal_iiT1_lPT2_llS7_llPT3_lli,"axG",@progbits,_ZL23rocblas_trmm_lNx_kernelILi16E19rocblas_complex_numIdES1_KS1_S1_Ev13rocblas_fill_17rocblas_diagonal_iiT1_lPT2_llS7_llPT3_lli,comdat
	.globl	_ZL23rocblas_trmm_lNx_kernelILi16E19rocblas_complex_numIdES1_KS1_S1_Ev13rocblas_fill_17rocblas_diagonal_iiT1_lPT2_llS7_llPT3_lli ; -- Begin function _ZL23rocblas_trmm_lNx_kernelILi16E19rocblas_complex_numIdES1_KS1_S1_Ev13rocblas_fill_17rocblas_diagonal_iiT1_lPT2_llS7_llPT3_lli
	.p2align	8
	.type	_ZL23rocblas_trmm_lNx_kernelILi16E19rocblas_complex_numIdES1_KS1_S1_Ev13rocblas_fill_17rocblas_diagonal_iiT1_lPT2_llS7_llPT3_lli,@function
_ZL23rocblas_trmm_lNx_kernelILi16E19rocblas_complex_numIdES1_KS1_S1_Ev13rocblas_fill_17rocblas_diagonal_iiT1_lPT2_llS7_llPT3_lli: ; @_ZL23rocblas_trmm_lNx_kernelILi16E19rocblas_complex_numIdES1_KS1_S1_Ev13rocblas_fill_17rocblas_diagonal_iiT1_lPT2_llS7_llPT3_lli
; %bb.0:
	s_load_b128 s[4:7], s[0:1], 0x10
	s_waitcnt lgkmcnt(0)
	v_cmp_neq_f64_e64 s2, s[4:5], 0
	v_cmp_neq_f64_e64 s3, s[6:7], 0
	s_delay_alu instid0(VALU_DEP_1) | instskip(NEXT) | instid1(SALU_CYCLE_1)
	s_or_b32 s2, s2, s3
	s_and_not1_b32 vcc_lo, exec_lo, s2
	s_cbranch_vccnz .LBB133_15
; %bb.1:
	s_clause 0x1
	s_load_b128 s[8:11], s[0:1], 0x0
	s_load_b512 s[16:31], s[0:1], 0x28
	v_bfe_u32 v1, v0, 10, 10
	s_mov_b32 s36, 0
	s_delay_alu instid0(SALU_CYCLE_1)
	s_mov_b32 s37, s36
	s_mov_b32 s38, s36
	;; [unrolled: 1-line block ×3, first 2 shown]
	v_dual_mov_b32 v5, s36 :: v_dual_and_b32 v4, 0x3ff, v0
	v_dual_mov_b32 v7, s38 :: v_dual_lshlrev_b32 v2, 4, v1
	v_mov_b32_e32 v6, s37
	v_mov_b32_e32 v8, s39
	s_delay_alu instid0(VALU_DEP_4) | instskip(NEXT) | instid1(VALU_DEP_4)
	v_lshlrev_b32_e32 v0, 4, v4
	v_add_lshl_u32 v3, v2, v4, 4
	ds_store_b128 v3, v[5:8]
	ds_store_b128 v3, v[5:8] offset:4096
	s_waitcnt lgkmcnt(0)
	v_cmp_gt_i32_e64 s2, s10, v1
	v_cmp_gt_i32_e32 vcc_lo, s10, v4
	s_delay_alu instid0(VALU_DEP_2) | instskip(NEXT) | instid1(SALU_CYCLE_1)
	s_and_b32 s2, s2, vcc_lo
	s_and_saveexec_b32 s3, s2
	s_cbranch_execz .LBB133_3
; %bb.2:
	v_mad_u64_u32 v[5:6], null, v1, s18, 0
	s_mul_i32 s2, s15, s21
	s_mul_hi_u32 s10, s15, s20
	s_mul_i32 s12, s15, s20
	s_add_i32 s13, s10, s2
	s_delay_alu instid0(SALU_CYCLE_1) | instskip(NEXT) | instid1(VALU_DEP_1)
	s_lshl_b64 s[12:13], s[12:13], 4
	v_mad_u64_u32 v[7:8], null, v1, s19, v[6:7]
	s_add_u32 s2, s16, s12
	s_addc_u32 s10, s17, s13
	s_delay_alu instid0(VALU_DEP_1) | instskip(NEXT) | instid1(VALU_DEP_1)
	v_mov_b32_e32 v6, v7
	v_lshlrev_b64 v[5:6], 4, v[5:6]
	s_delay_alu instid0(VALU_DEP_1) | instskip(NEXT) | instid1(VALU_DEP_1)
	v_add_co_u32 v5, s2, s2, v5
	v_add_co_ci_u32_e64 v6, s2, s10, v6, s2
	s_delay_alu instid0(VALU_DEP_2) | instskip(NEXT) | instid1(VALU_DEP_1)
	v_add_co_u32 v5, s2, v5, v0
	v_add_co_ci_u32_e64 v6, s2, 0, v6, s2
	global_load_b128 v[5:8], v[5:6], off
	s_waitcnt vmcnt(0)
	ds_store_2addr_b64 v3, v[5:6], v[7:8] offset1:1
.LBB133_3:
	s_or_b32 exec_lo, exec_lo, s3
	s_add_i32 s2, s11, -1
	s_delay_alu instid0(SALU_CYCLE_1) | instskip(NEXT) | instid1(SALU_CYCLE_1)
	s_ashr_i32 s3, s2, 31
	s_lshr_b32 s3, s3, 28
	s_delay_alu instid0(SALU_CYCLE_1) | instskip(NEXT) | instid1(SALU_CYCLE_1)
	s_add_i32 s2, s2, s3
	s_and_b32 s3, s2, -16
	s_ashr_i32 s2, s2, 4
	s_sub_i32 s3, s11, s3
	s_cmp_ge_i32 s14, s2
	s_cselect_b32 s2, s3, 16
	s_lshl_b32 s3, s14, 4
	v_cmp_gt_i32_e64 s2, s2, v1
	s_ashr_i32 s10, s3, 31
	s_delay_alu instid0(VALU_DEP_1) | instskip(NEXT) | instid1(SALU_CYCLE_1)
	s_and_b32 s2, vcc_lo, s2
	s_and_saveexec_b32 s11, s2
	s_cbranch_execz .LBB133_5
; %bb.4:
	v_mad_u64_u32 v[5:6], null, v1, s24, 0
	s_mul_i32 s13, s15, s27
	s_mul_hi_u32 s14, s15, s26
	s_mul_i32 s12, s15, s26
	s_add_i32 s13, s14, s13
	s_mul_i32 s16, s3, s25
	s_lshl_b64 s[12:13], s[12:13], 4
	s_delay_alu instid0(VALU_DEP_1)
	v_mad_u64_u32 v[7:8], null, v1, s25, v[6:7]
	s_mul_hi_u32 s14, s3, s24
	s_add_u32 s18, s22, s12
	s_mul_i32 s17, s10, s24
	s_addc_u32 s19, s23, s13
	s_add_i32 s13, s14, s16
	s_mul_i32 s12, s3, s24
	s_delay_alu instid0(VALU_DEP_1) | instskip(SKIP_1) | instid1(SALU_CYCLE_1)
	v_dual_mov_b32 v6, v7 :: v_dual_add_nc_u32 v9, 0x1000, v3
	s_add_i32 s13, s13, s17
	s_lshl_b64 s[12:13], s[12:13], 4
	s_delay_alu instid0(VALU_DEP_1) | instskip(SKIP_2) | instid1(VALU_DEP_1)
	v_lshlrev_b64 v[5:6], 4, v[5:6]
	s_add_u32 s12, s18, s12
	s_addc_u32 s13, s19, s13
	v_add_co_u32 v5, vcc_lo, s12, v5
	s_delay_alu instid0(VALU_DEP_2) | instskip(NEXT) | instid1(VALU_DEP_2)
	v_add_co_ci_u32_e32 v6, vcc_lo, s13, v6, vcc_lo
	v_add_co_u32 v5, vcc_lo, v5, v0
	s_delay_alu instid0(VALU_DEP_2)
	v_add_co_ci_u32_e32 v6, vcc_lo, 0, v6, vcc_lo
	global_load_b128 v[5:8], v[5:6], off
	s_waitcnt vmcnt(0)
	ds_store_2addr_b64 v9, v[5:6], v[7:8] offset1:1
.LBB133_5:
	s_or_b32 exec_lo, exec_lo, s11
	v_cmp_eq_u32_e32 vcc_lo, v1, v4
	s_cmpk_eq_i32 s9, 0x84
	s_cselect_b32 s9, -1, 0
	s_delay_alu instid0(SALU_CYCLE_1) | instskip(NEXT) | instid1(SALU_CYCLE_1)
	s_and_b32 s11, vcc_lo, s9
	s_and_saveexec_b32 s9, s11
	s_cbranch_execz .LBB133_7
; %bb.6:
	v_dual_mov_b32 v5, 0 :: v_dual_mov_b32 v6, 0x3ff00000
	s_delay_alu instid0(VALU_DEP_1)
	v_mov_b32_e32 v7, v5
	v_mov_b32_e32 v8, v5
	ds_store_b128 v3, v[5:8]
.LBB133_7:
	s_or_b32 exec_lo, exec_lo, s9
	s_cmpk_lg_i32 s8, 0x79
	s_cbranch_scc0 .LBB133_9
; %bb.8:
	v_cmp_lt_u32_e32 vcc_lo, v4, v1
	s_and_b32 s8, vcc_lo, exec_lo
	s_cbranch_execz .LBB133_10
	s_branch .LBB133_11
.LBB133_9:
	s_mov_b32 s8, 0
.LBB133_10:
	v_cmp_gt_u32_e32 vcc_lo, v4, v1
	s_and_not1_b32 s8, s8, exec_lo
	s_and_b32 s9, vcc_lo, exec_lo
	s_delay_alu instid0(SALU_CYCLE_1)
	s_or_b32 s8, s8, s9
.LBB133_11:
	s_delay_alu instid0(SALU_CYCLE_1)
	s_and_saveexec_b32 s9, s8
	s_cbranch_execz .LBB133_13
; %bb.12:
	v_mov_b32_e32 v4, 0
	s_delay_alu instid0(VALU_DEP_1)
	v_mov_b32_e32 v5, v4
	v_mov_b32_e32 v6, v4
	;; [unrolled: 1-line block ×3, first 2 shown]
	ds_store_b128 v3, v[4:7]
.LBB133_13:
	s_or_b32 exec_lo, exec_lo, s9
	s_waitcnt lgkmcnt(0)
	s_barrier
	buffer_gl0_inv
	s_and_saveexec_b32 s8, s2
	s_cbranch_execz .LBB133_15
; %bb.14:
	v_lshlrev_b32_e32 v44, 4, v2
	s_load_b64 s[0:1], s[0:1], 0x68
	s_mul_i32 s10, s10, s30
	ds_load_b128 v[2:5], v44 offset:4096
	ds_load_b128 v[6:9], v0
	ds_load_b128 v[10:13], v0 offset:256
	ds_load_b128 v[14:17], v44 offset:4112
	s_waitcnt lgkmcnt(0)
	s_mul_i32 s1, s15, s1
	s_mul_hi_u32 s2, s15, s0
	v_mul_f64 v[18:19], v[2:3], v[8:9]
	v_mul_f64 v[8:9], v[4:5], v[8:9]
	;; [unrolled: 1-line block ×4, first 2 shown]
	s_add_i32 s1, s2, s1
	s_mul_i32 s0, s15, s0
	s_delay_alu instid0(SALU_CYCLE_1) | instskip(NEXT) | instid1(SALU_CYCLE_1)
	s_lshl_b64 s[0:1], s[0:1], 4
	s_add_u32 s2, s28, s0
	s_mul_i32 s0, s3, s31
	s_delay_alu instid0(VALU_DEP_4)
	v_fma_f64 v[4:5], v[4:5], v[6:7], v[18:19]
	ds_load_b128 v[18:21], v44 offset:4128
	ds_load_b128 v[22:25], v0 offset:512
	;; [unrolled: 1-line block ×4, first 2 shown]
	v_fma_f64 v[16:17], v[16:17], v[10:11], v[34:35]
	v_fma_f64 v[2:3], v[2:3], v[6:7], -v[8:9]
	s_waitcnt lgkmcnt(2)
	v_mul_f64 v[36:37], v[18:19], v[24:25]
	v_mul_f64 v[24:25], v[20:21], v[24:25]
	s_waitcnt lgkmcnt(0)
	v_mul_f64 v[34:35], v[30:31], v[28:29]
	v_mul_f64 v[28:29], v[32:33], v[28:29]
	v_add_f64 v[4:5], v[4:5], 0
	v_add_f64 v[38:39], v[2:3], 0
	v_fma_f64 v[20:21], v[20:21], v[22:23], v[36:37]
	v_fma_f64 v[36:37], v[14:15], v[10:11], -v[12:13]
	v_fma_f64 v[32:33], v[32:33], v[26:27], v[34:35]
	v_fma_f64 v[18:19], v[18:19], v[22:23], -v[24:25]
	v_add_f64 v[40:41], v[4:5], v[16:17]
	ds_load_b128 v[2:5], v44 offset:4160
	ds_load_b128 v[6:9], v0 offset:1024
	ds_load_b128 v[10:13], v0 offset:1280
	ds_load_b128 v[14:17], v44 offset:4176
	s_waitcnt lgkmcnt(2)
	v_mul_f64 v[42:43], v[2:3], v[8:9]
	v_add_f64 v[22:23], v[38:39], v[36:37]
	s_waitcnt lgkmcnt(0)
	v_mul_f64 v[34:35], v[14:15], v[12:13]
	v_mul_f64 v[8:9], v[4:5], v[8:9]
	v_fma_f64 v[36:37], v[30:31], v[26:27], -v[28:29]
	v_mul_f64 v[12:13], v[16:17], v[12:13]
	v_add_f64 v[20:21], v[40:41], v[20:21]
	v_fma_f64 v[4:5], v[4:5], v[6:7], v[42:43]
	v_add_f64 v[38:39], v[22:23], v[18:19]
	v_fma_f64 v[16:17], v[16:17], v[10:11], v[34:35]
	v_fma_f64 v[2:3], v[2:3], v[6:7], -v[8:9]
	v_add_f64 v[40:41], v[20:21], v[32:33]
	ds_load_b128 v[18:21], v44 offset:4192
	ds_load_b128 v[22:25], v0 offset:1536
	ds_load_b128 v[26:29], v0 offset:1792
	ds_load_b128 v[30:33], v44 offset:4208
	s_waitcnt lgkmcnt(2)
	v_mul_f64 v[42:43], v[18:19], v[24:25]
	v_add_f64 v[6:7], v[38:39], v[36:37]
	s_waitcnt lgkmcnt(0)
	v_mul_f64 v[34:35], v[30:31], v[28:29]
	v_mul_f64 v[24:25], v[20:21], v[24:25]
	v_fma_f64 v[36:37], v[14:15], v[10:11], -v[12:13]
	v_mul_f64 v[28:29], v[32:33], v[28:29]
	v_add_f64 v[4:5], v[40:41], v[4:5]
	v_fma_f64 v[20:21], v[20:21], v[22:23], v[42:43]
	v_add_f64 v[38:39], v[6:7], v[2:3]
	;; [unrolled: 18-line block ×5, first 2 shown]
	v_fma_f64 v[16:17], v[16:17], v[10:11], v[34:35]
	v_fma_f64 v[2:3], v[2:3], v[6:7], -v[8:9]
	v_fma_f64 v[10:11], v[14:15], v[10:11], -v[12:13]
	v_add_f64 v[40:41], v[20:21], v[32:33]
	ds_load_b128 v[18:21], v44 offset:4320
	ds_load_b128 v[22:25], v0 offset:3584
	;; [unrolled: 1-line block ×4, first 2 shown]
	s_waitcnt lgkmcnt(2)
	v_mul_f64 v[42:43], v[18:19], v[24:25]
	v_add_f64 v[6:7], v[38:39], v[36:37]
	s_waitcnt lgkmcnt(0)
	v_mul_f64 v[8:9], v[30:31], v[28:29]
	v_mul_f64 v[24:25], v[20:21], v[24:25]
	v_add_f64 v[4:5], v[40:41], v[4:5]
	v_fma_f64 v[20:21], v[20:21], v[22:23], v[42:43]
	v_add_f64 v[2:3], v[6:7], v[2:3]
	v_mul_f64 v[6:7], v[32:33], v[28:29]
	v_fma_f64 v[8:9], v[32:33], v[26:27], v[8:9]
	v_fma_f64 v[12:13], v[18:19], v[22:23], -v[24:25]
	v_add_f64 v[4:5], v[4:5], v[16:17]
	v_add_f64 v[2:3], v[2:3], v[10:11]
	v_fma_f64 v[6:7], v[30:31], v[26:27], -v[6:7]
	v_mad_u64_u32 v[10:11], null, v1, s30, 0
	s_delay_alu instid0(VALU_DEP_4) | instskip(NEXT) | instid1(VALU_DEP_4)
	v_add_f64 v[4:5], v[4:5], v[20:21]
	v_add_f64 v[2:3], v[2:3], v[12:13]
	s_delay_alu instid0(VALU_DEP_2) | instskip(NEXT) | instid1(VALU_DEP_2)
	v_add_f64 v[4:5], v[4:5], v[8:9]
	v_add_f64 v[2:3], v[2:3], v[6:7]
	s_delay_alu instid0(VALU_DEP_2) | instskip(SKIP_1) | instid1(VALU_DEP_2)
	v_mul_f64 v[6:7], s[4:5], v[4:5]
	v_mul_f64 v[8:9], s[6:7], v[4:5]
	v_fma_f64 v[4:5], s[6:7], v[2:3], v[6:7]
	s_delay_alu instid0(VALU_DEP_2) | instskip(SKIP_4) | instid1(VALU_DEP_1)
	v_fma_f64 v[2:3], s[4:5], v[2:3], -v[8:9]
	v_mov_b32_e32 v6, v11
	s_mul_hi_u32 s4, s3, s30
	s_addc_u32 s5, s29, s1
	s_add_i32 s0, s4, s0
	v_mad_u64_u32 v[7:8], null, v1, s31, v[6:7]
	s_add_i32 s1, s0, s10
	s_mul_i32 s0, s3, s30
	s_delay_alu instid0(SALU_CYCLE_1) | instskip(NEXT) | instid1(SALU_CYCLE_1)
	s_lshl_b64 s[0:1], s[0:1], 4
	s_add_u32 s0, s2, s0
	s_delay_alu instid0(VALU_DEP_1) | instskip(SKIP_1) | instid1(VALU_DEP_1)
	v_mov_b32_e32 v11, v7
	s_addc_u32 s1, s5, s1
	v_lshlrev_b64 v[6:7], 4, v[10:11]
	s_delay_alu instid0(VALU_DEP_1) | instskip(NEXT) | instid1(VALU_DEP_2)
	v_add_co_u32 v1, vcc_lo, s0, v6
	v_add_co_ci_u32_e32 v6, vcc_lo, s1, v7, vcc_lo
	s_delay_alu instid0(VALU_DEP_2) | instskip(NEXT) | instid1(VALU_DEP_2)
	v_add_co_u32 v0, vcc_lo, v1, v0
	v_add_co_ci_u32_e32 v1, vcc_lo, 0, v6, vcc_lo
	global_store_b128 v[0:1], v[2:5], off
.LBB133_15:
	s_nop 0
	s_sendmsg sendmsg(MSG_DEALLOC_VGPRS)
	s_endpgm
	.section	.rodata,"a",@progbits
	.p2align	6, 0x0
	.amdhsa_kernel _ZL23rocblas_trmm_lNx_kernelILi16E19rocblas_complex_numIdES1_KS1_S1_Ev13rocblas_fill_17rocblas_diagonal_iiT1_lPT2_llS7_llPT3_lli
		.amdhsa_group_segment_fixed_size 8192
		.amdhsa_private_segment_fixed_size 0
		.amdhsa_kernarg_size 116
		.amdhsa_user_sgpr_count 14
		.amdhsa_user_sgpr_dispatch_ptr 0
		.amdhsa_user_sgpr_queue_ptr 0
		.amdhsa_user_sgpr_kernarg_segment_ptr 1
		.amdhsa_user_sgpr_dispatch_id 0
		.amdhsa_user_sgpr_private_segment_size 0
		.amdhsa_wavefront_size32 1
		.amdhsa_uses_dynamic_stack 0
		.amdhsa_enable_private_segment 0
		.amdhsa_system_sgpr_workgroup_id_x 1
		.amdhsa_system_sgpr_workgroup_id_y 0
		.amdhsa_system_sgpr_workgroup_id_z 1
		.amdhsa_system_sgpr_workgroup_info 0
		.amdhsa_system_vgpr_workitem_id 1
		.amdhsa_next_free_vgpr 45
		.amdhsa_next_free_sgpr 40
		.amdhsa_reserve_vcc 1
		.amdhsa_float_round_mode_32 0
		.amdhsa_float_round_mode_16_64 0
		.amdhsa_float_denorm_mode_32 3
		.amdhsa_float_denorm_mode_16_64 3
		.amdhsa_dx10_clamp 1
		.amdhsa_ieee_mode 1
		.amdhsa_fp16_overflow 0
		.amdhsa_workgroup_processor_mode 1
		.amdhsa_memory_ordered 1
		.amdhsa_forward_progress 0
		.amdhsa_shared_vgpr_count 0
		.amdhsa_exception_fp_ieee_invalid_op 0
		.amdhsa_exception_fp_denorm_src 0
		.amdhsa_exception_fp_ieee_div_zero 0
		.amdhsa_exception_fp_ieee_overflow 0
		.amdhsa_exception_fp_ieee_underflow 0
		.amdhsa_exception_fp_ieee_inexact 0
		.amdhsa_exception_int_div_zero 0
	.end_amdhsa_kernel
	.section	.text._ZL23rocblas_trmm_lNx_kernelILi16E19rocblas_complex_numIdES1_KS1_S1_Ev13rocblas_fill_17rocblas_diagonal_iiT1_lPT2_llS7_llPT3_lli,"axG",@progbits,_ZL23rocblas_trmm_lNx_kernelILi16E19rocblas_complex_numIdES1_KS1_S1_Ev13rocblas_fill_17rocblas_diagonal_iiT1_lPT2_llS7_llPT3_lli,comdat
.Lfunc_end133:
	.size	_ZL23rocblas_trmm_lNx_kernelILi16E19rocblas_complex_numIdES1_KS1_S1_Ev13rocblas_fill_17rocblas_diagonal_iiT1_lPT2_llS7_llPT3_lli, .Lfunc_end133-_ZL23rocblas_trmm_lNx_kernelILi16E19rocblas_complex_numIdES1_KS1_S1_Ev13rocblas_fill_17rocblas_diagonal_iiT1_lPT2_llS7_llPT3_lli
                                        ; -- End function
	.section	.AMDGPU.csdata,"",@progbits
; Kernel info:
; codeLenInByte = 2044
; NumSgprs: 42
; NumVgprs: 45
; ScratchSize: 0
; MemoryBound: 0
; FloatMode: 240
; IeeeMode: 1
; LDSByteSize: 8192 bytes/workgroup (compile time only)
; SGPRBlocks: 5
; VGPRBlocks: 5
; NumSGPRsForWavesPerEU: 42
; NumVGPRsForWavesPerEU: 45
; Occupancy: 16
; WaveLimiterHint : 0
; COMPUTE_PGM_RSRC2:SCRATCH_EN: 0
; COMPUTE_PGM_RSRC2:USER_SGPR: 14
; COMPUTE_PGM_RSRC2:TRAP_HANDLER: 0
; COMPUTE_PGM_RSRC2:TGID_X_EN: 1
; COMPUTE_PGM_RSRC2:TGID_Y_EN: 0
; COMPUTE_PGM_RSRC2:TGID_Z_EN: 1
; COMPUTE_PGM_RSRC2:TIDIG_COMP_CNT: 1
	.section	.text._ZL23rocblas_trmm_lTx_kernelILi16ELb0E19rocblas_complex_numIdEPKS1_S2_S1_Ev13rocblas_fill_17rocblas_diagonal_iiT2_lPT3_llS8_llPT4_lli,"axG",@progbits,_ZL23rocblas_trmm_lTx_kernelILi16ELb0E19rocblas_complex_numIdEPKS1_S2_S1_Ev13rocblas_fill_17rocblas_diagonal_iiT2_lPT3_llS8_llPT4_lli,comdat
	.globl	_ZL23rocblas_trmm_lTx_kernelILi16ELb0E19rocblas_complex_numIdEPKS1_S2_S1_Ev13rocblas_fill_17rocblas_diagonal_iiT2_lPT3_llS8_llPT4_lli ; -- Begin function _ZL23rocblas_trmm_lTx_kernelILi16ELb0E19rocblas_complex_numIdEPKS1_S2_S1_Ev13rocblas_fill_17rocblas_diagonal_iiT2_lPT3_llS8_llPT4_lli
	.p2align	8
	.type	_ZL23rocblas_trmm_lTx_kernelILi16ELb0E19rocblas_complex_numIdEPKS1_S2_S1_Ev13rocblas_fill_17rocblas_diagonal_iiT2_lPT3_llS8_llPT4_lli,@function
_ZL23rocblas_trmm_lTx_kernelILi16ELb0E19rocblas_complex_numIdEPKS1_S2_S1_Ev13rocblas_fill_17rocblas_diagonal_iiT2_lPT3_llS8_llPT4_lli: ; @_ZL23rocblas_trmm_lTx_kernelILi16ELb0E19rocblas_complex_numIdEPKS1_S2_S1_Ev13rocblas_fill_17rocblas_diagonal_iiT2_lPT3_llS8_llPT4_lli
; %bb.0:
	s_load_b512 s[16:31], s[0:1], 0x10
	s_waitcnt lgkmcnt(0)
	s_mul_i32 s3, s15, s19
	s_mul_hi_u32 s4, s15, s18
	s_mul_i32 s2, s15, s18
	s_add_i32 s3, s4, s3
	s_delay_alu instid0(SALU_CYCLE_1) | instskip(NEXT) | instid1(SALU_CYCLE_1)
	s_lshl_b64 s[2:3], s[2:3], 4
	s_add_u32 s2, s16, s2
	s_addc_u32 s3, s17, s3
	s_load_b128 s[4:7], s[2:3], 0x0
	s_waitcnt lgkmcnt(0)
	v_cmp_neq_f64_e64 s2, s[4:5], 0
	v_cmp_neq_f64_e64 s3, s[6:7], 0
	s_delay_alu instid0(VALU_DEP_1) | instskip(NEXT) | instid1(SALU_CYCLE_1)
	s_or_b32 s2, s2, s3
	s_and_not1_b32 vcc_lo, exec_lo, s2
	s_cbranch_vccnz .LBB134_15
; %bb.1:
	s_load_b128 s[8:11], s[0:1], 0x0
	v_bfe_u32 v1, v0, 10, 10
	s_mov_b32 s16, 0
	s_delay_alu instid0(SALU_CYCLE_1)
	s_mov_b32 s17, s16
	s_mov_b32 s18, s16
	;; [unrolled: 1-line block ×3, first 2 shown]
	v_dual_mov_b32 v5, s16 :: v_dual_and_b32 v4, 0x3ff, v0
	v_dual_mov_b32 v7, s18 :: v_dual_lshlrev_b32 v2, 4, v1
	v_mov_b32_e32 v6, s17
	v_mov_b32_e32 v8, s19
	s_delay_alu instid0(VALU_DEP_4) | instskip(NEXT) | instid1(VALU_DEP_4)
	v_lshlrev_b32_e32 v0, 4, v4
	v_add_lshl_u32 v3, v2, v4, 4
	ds_store_b128 v3, v[5:8]
	ds_store_b128 v3, v[5:8] offset:4096
	s_waitcnt lgkmcnt(0)
	v_cmp_gt_i32_e64 s2, s10, v1
	v_cmp_gt_i32_e32 vcc_lo, s10, v4
	s_barrier
	buffer_gl0_inv
	s_and_b32 s2, s2, vcc_lo
	s_delay_alu instid0(SALU_CYCLE_1)
	s_and_saveexec_b32 s3, s2
	s_cbranch_execz .LBB134_3
; %bb.2:
	v_mad_u64_u32 v[5:6], null, v1, s22, 0
	s_mul_i32 s2, s15, s25
	s_mul_hi_u32 s10, s15, s24
	s_mul_i32 s12, s15, s24
	s_add_i32 s13, s10, s2
	v_add_lshl_u32 v9, v0, v1, 4
	s_lshl_b64 s[12:13], s[12:13], 4
	s_delay_alu instid0(VALU_DEP_2) | instskip(SKIP_2) | instid1(VALU_DEP_1)
	v_mad_u64_u32 v[7:8], null, v1, s23, v[6:7]
	s_add_u32 s2, s20, s12
	s_addc_u32 s10, s21, s13
	v_mov_b32_e32 v6, v7
	s_delay_alu instid0(VALU_DEP_1) | instskip(NEXT) | instid1(VALU_DEP_1)
	v_lshlrev_b64 v[5:6], 4, v[5:6]
	v_add_co_u32 v5, s2, s2, v5
	s_delay_alu instid0(VALU_DEP_1) | instskip(NEXT) | instid1(VALU_DEP_2)
	v_add_co_ci_u32_e64 v6, s2, s10, v6, s2
	v_add_co_u32 v5, s2, v5, v0
	s_delay_alu instid0(VALU_DEP_1)
	v_add_co_ci_u32_e64 v6, s2, 0, v6, s2
	global_load_b128 v[5:8], v[5:6], off
	s_waitcnt vmcnt(0)
	ds_store_2addr_b64 v9, v[5:6], v[7:8] offset1:1
.LBB134_3:
	s_or_b32 exec_lo, exec_lo, s3
	s_add_i32 s2, s11, -1
	s_delay_alu instid0(SALU_CYCLE_1) | instskip(NEXT) | instid1(SALU_CYCLE_1)
	s_ashr_i32 s3, s2, 31
	s_lshr_b32 s3, s3, 28
	s_delay_alu instid0(SALU_CYCLE_1) | instskip(NEXT) | instid1(SALU_CYCLE_1)
	s_add_i32 s2, s2, s3
	s_and_b32 s3, s2, -16
	s_ashr_i32 s2, s2, 4
	s_sub_i32 s3, s11, s3
	s_cmp_ge_i32 s14, s2
	s_cselect_b32 s2, s3, 16
	s_lshl_b32 s3, s14, 4
	v_cmp_gt_i32_e64 s2, s2, v1
	s_ashr_i32 s10, s3, 31
	s_delay_alu instid0(VALU_DEP_1) | instskip(NEXT) | instid1(SALU_CYCLE_1)
	s_and_b32 s2, vcc_lo, s2
	s_and_saveexec_b32 s11, s2
	s_cbranch_execz .LBB134_5
; %bb.4:
	v_mad_u64_u32 v[5:6], null, v1, s28, 0
	s_mul_i32 s13, s15, s31
	s_mul_hi_u32 s14, s15, s30
	s_mul_i32 s12, s15, s30
	s_add_i32 s13, s14, s13
	s_mul_i32 s16, s3, s29
	s_lshl_b64 s[12:13], s[12:13], 4
	s_delay_alu instid0(VALU_DEP_1)
	v_mad_u64_u32 v[7:8], null, v1, s29, v[6:7]
	s_mul_hi_u32 s14, s3, s28
	s_add_u32 s18, s26, s12
	s_mul_i32 s17, s10, s28
	s_addc_u32 s19, s27, s13
	s_add_i32 s13, s14, s16
	s_mul_i32 s12, s3, s28
	s_delay_alu instid0(VALU_DEP_1) | instskip(SKIP_1) | instid1(SALU_CYCLE_1)
	v_dual_mov_b32 v6, v7 :: v_dual_add_nc_u32 v9, 0x1000, v3
	s_add_i32 s13, s13, s17
	s_lshl_b64 s[12:13], s[12:13], 4
	s_delay_alu instid0(VALU_DEP_1) | instskip(SKIP_2) | instid1(VALU_DEP_1)
	v_lshlrev_b64 v[5:6], 4, v[5:6]
	s_add_u32 s12, s18, s12
	s_addc_u32 s13, s19, s13
	v_add_co_u32 v5, vcc_lo, s12, v5
	s_delay_alu instid0(VALU_DEP_2) | instskip(NEXT) | instid1(VALU_DEP_2)
	v_add_co_ci_u32_e32 v6, vcc_lo, s13, v6, vcc_lo
	v_add_co_u32 v5, vcc_lo, v5, v0
	s_delay_alu instid0(VALU_DEP_2)
	v_add_co_ci_u32_e32 v6, vcc_lo, 0, v6, vcc_lo
	global_load_b128 v[5:8], v[5:6], off
	s_waitcnt vmcnt(0)
	ds_store_2addr_b64 v9, v[5:6], v[7:8] offset1:1
.LBB134_5:
	s_or_b32 exec_lo, exec_lo, s11
	v_cmp_eq_u32_e32 vcc_lo, v1, v4
	s_cmpk_eq_i32 s9, 0x84
	s_cselect_b32 s9, -1, 0
	s_delay_alu instid0(SALU_CYCLE_1) | instskip(NEXT) | instid1(SALU_CYCLE_1)
	s_and_b32 s11, vcc_lo, s9
	s_and_saveexec_b32 s9, s11
	s_cbranch_execz .LBB134_7
; %bb.6:
	v_dual_mov_b32 v5, 0 :: v_dual_mov_b32 v6, 0x3ff00000
	s_delay_alu instid0(VALU_DEP_1)
	v_mov_b32_e32 v7, v5
	v_mov_b32_e32 v8, v5
	ds_store_b128 v3, v[5:8]
.LBB134_7:
	s_or_b32 exec_lo, exec_lo, s9
	s_cmpk_lg_i32 s8, 0x7a
	s_waitcnt lgkmcnt(0)
	s_barrier
	buffer_gl0_inv
	s_cbranch_scc0 .LBB134_9
; %bb.8:
	v_cmp_lt_u32_e32 vcc_lo, v4, v1
	s_and_b32 s8, vcc_lo, exec_lo
	s_cbranch_execz .LBB134_10
	s_branch .LBB134_11
.LBB134_9:
	s_mov_b32 s8, 0
.LBB134_10:
	v_cmp_gt_u32_e32 vcc_lo, v4, v1
	s_and_not1_b32 s8, s8, exec_lo
	s_and_b32 s9, vcc_lo, exec_lo
	s_delay_alu instid0(SALU_CYCLE_1)
	s_or_b32 s8, s8, s9
.LBB134_11:
	s_delay_alu instid0(SALU_CYCLE_1)
	s_and_saveexec_b32 s9, s8
	s_cbranch_execz .LBB134_13
; %bb.12:
	v_mov_b32_e32 v4, 0
	s_delay_alu instid0(VALU_DEP_1)
	v_mov_b32_e32 v5, v4
	v_mov_b32_e32 v6, v4
	;; [unrolled: 1-line block ×3, first 2 shown]
	ds_store_b128 v3, v[4:7]
.LBB134_13:
	s_or_b32 exec_lo, exec_lo, s9
	s_waitcnt lgkmcnt(0)
	s_barrier
	buffer_gl0_inv
	s_and_saveexec_b32 s8, s2
	s_cbranch_execz .LBB134_15
; %bb.14:
	v_lshlrev_b32_e32 v44, 4, v2
	ds_load_b128 v[2:5], v44 offset:4096
	ds_load_b128 v[6:9], v0
	ds_load_b128 v[10:13], v0 offset:256
	ds_load_b128 v[14:17], v44 offset:4112
	s_waitcnt lgkmcnt(2)
	v_mul_f64 v[18:19], v[2:3], v[8:9]
	v_mul_f64 v[8:9], v[4:5], v[8:9]
	s_waitcnt lgkmcnt(0)
	v_mul_f64 v[34:35], v[14:15], v[12:13]
	v_mul_f64 v[12:13], v[16:17], v[12:13]
	s_delay_alu instid0(VALU_DEP_4)
	v_fma_f64 v[4:5], v[4:5], v[6:7], v[18:19]
	ds_load_b128 v[18:21], v44 offset:4128
	ds_load_b128 v[22:25], v0 offset:512
	;; [unrolled: 1-line block ×4, first 2 shown]
	v_fma_f64 v[16:17], v[16:17], v[10:11], v[34:35]
	v_fma_f64 v[2:3], v[2:3], v[6:7], -v[8:9]
	s_waitcnt lgkmcnt(2)
	v_mul_f64 v[36:37], v[18:19], v[24:25]
	v_mul_f64 v[24:25], v[20:21], v[24:25]
	s_waitcnt lgkmcnt(0)
	v_mul_f64 v[34:35], v[30:31], v[28:29]
	v_mul_f64 v[28:29], v[32:33], v[28:29]
	v_add_f64 v[4:5], v[4:5], 0
	v_add_f64 v[38:39], v[2:3], 0
	v_fma_f64 v[20:21], v[20:21], v[22:23], v[36:37]
	v_fma_f64 v[36:37], v[14:15], v[10:11], -v[12:13]
	v_fma_f64 v[32:33], v[32:33], v[26:27], v[34:35]
	v_fma_f64 v[18:19], v[18:19], v[22:23], -v[24:25]
	v_add_f64 v[40:41], v[4:5], v[16:17]
	ds_load_b128 v[2:5], v44 offset:4160
	ds_load_b128 v[6:9], v0 offset:1024
	ds_load_b128 v[10:13], v0 offset:1280
	ds_load_b128 v[14:17], v44 offset:4176
	s_waitcnt lgkmcnt(2)
	v_mul_f64 v[42:43], v[2:3], v[8:9]
	v_add_f64 v[22:23], v[38:39], v[36:37]
	s_waitcnt lgkmcnt(0)
	v_mul_f64 v[34:35], v[14:15], v[12:13]
	v_mul_f64 v[8:9], v[4:5], v[8:9]
	v_fma_f64 v[36:37], v[30:31], v[26:27], -v[28:29]
	v_mul_f64 v[12:13], v[16:17], v[12:13]
	v_add_f64 v[20:21], v[40:41], v[20:21]
	v_fma_f64 v[4:5], v[4:5], v[6:7], v[42:43]
	v_add_f64 v[38:39], v[22:23], v[18:19]
	v_fma_f64 v[16:17], v[16:17], v[10:11], v[34:35]
	v_fma_f64 v[2:3], v[2:3], v[6:7], -v[8:9]
	v_add_f64 v[40:41], v[20:21], v[32:33]
	ds_load_b128 v[18:21], v44 offset:4192
	ds_load_b128 v[22:25], v0 offset:1536
	ds_load_b128 v[26:29], v0 offset:1792
	ds_load_b128 v[30:33], v44 offset:4208
	s_waitcnt lgkmcnt(2)
	v_mul_f64 v[42:43], v[18:19], v[24:25]
	v_add_f64 v[6:7], v[38:39], v[36:37]
	s_waitcnt lgkmcnt(0)
	v_mul_f64 v[34:35], v[30:31], v[28:29]
	v_mul_f64 v[24:25], v[20:21], v[24:25]
	v_fma_f64 v[36:37], v[14:15], v[10:11], -v[12:13]
	v_mul_f64 v[28:29], v[32:33], v[28:29]
	v_add_f64 v[4:5], v[40:41], v[4:5]
	v_fma_f64 v[20:21], v[20:21], v[22:23], v[42:43]
	v_add_f64 v[38:39], v[6:7], v[2:3]
	;; [unrolled: 18-line block ×5, first 2 shown]
	v_fma_f64 v[16:17], v[16:17], v[10:11], v[34:35]
	v_fma_f64 v[2:3], v[2:3], v[6:7], -v[8:9]
	v_fma_f64 v[10:11], v[14:15], v[10:11], -v[12:13]
	v_add_f64 v[40:41], v[20:21], v[32:33]
	ds_load_b128 v[18:21], v44 offset:4320
	ds_load_b128 v[22:25], v0 offset:3584
	;; [unrolled: 1-line block ×4, first 2 shown]
	s_clause 0x1
	s_load_b128 s[16:19], s[0:1], 0x50
	s_load_b64 s[0:1], s[0:1], 0x60
	s_waitcnt lgkmcnt(0)
	v_mul_f64 v[42:43], v[18:19], v[24:25]
	v_add_f64 v[6:7], v[38:39], v[36:37]
	v_mul_f64 v[8:9], v[30:31], v[28:29]
	v_mul_f64 v[24:25], v[20:21], v[24:25]
	s_mul_i32 s1, s15, s1
	s_mul_hi_u32 s2, s15, s0
	s_mul_i32 s0, s15, s0
	s_add_i32 s1, s2, s1
	s_mul_i32 s10, s10, s18
	s_lshl_b64 s[0:1], s[0:1], 4
	s_delay_alu instid0(SALU_CYCLE_1)
	s_add_u32 s2, s16, s0
	s_mul_i32 s0, s3, s19
	v_add_f64 v[4:5], v[40:41], v[4:5]
	v_fma_f64 v[20:21], v[20:21], v[22:23], v[42:43]
	v_add_f64 v[2:3], v[6:7], v[2:3]
	v_mul_f64 v[6:7], v[32:33], v[28:29]
	v_fma_f64 v[8:9], v[32:33], v[26:27], v[8:9]
	v_fma_f64 v[12:13], v[18:19], v[22:23], -v[24:25]
	v_add_f64 v[4:5], v[4:5], v[16:17]
	v_add_f64 v[2:3], v[2:3], v[10:11]
	v_fma_f64 v[6:7], v[30:31], v[26:27], -v[6:7]
	v_mad_u64_u32 v[10:11], null, v1, s18, 0
	s_delay_alu instid0(VALU_DEP_4) | instskip(NEXT) | instid1(VALU_DEP_4)
	v_add_f64 v[4:5], v[4:5], v[20:21]
	v_add_f64 v[2:3], v[2:3], v[12:13]
	s_delay_alu instid0(VALU_DEP_2) | instskip(NEXT) | instid1(VALU_DEP_2)
	v_add_f64 v[4:5], v[4:5], v[8:9]
	v_add_f64 v[2:3], v[2:3], v[6:7]
	s_delay_alu instid0(VALU_DEP_2) | instskip(SKIP_1) | instid1(VALU_DEP_2)
	v_mul_f64 v[6:7], s[4:5], v[4:5]
	v_mul_f64 v[8:9], s[6:7], v[4:5]
	v_fma_f64 v[4:5], s[6:7], v[2:3], v[6:7]
	s_delay_alu instid0(VALU_DEP_2) | instskip(SKIP_4) | instid1(VALU_DEP_1)
	v_fma_f64 v[2:3], s[4:5], v[2:3], -v[8:9]
	v_mov_b32_e32 v6, v11
	s_mul_hi_u32 s4, s3, s18
	s_addc_u32 s5, s17, s1
	s_add_i32 s0, s4, s0
	v_mad_u64_u32 v[7:8], null, v1, s19, v[6:7]
	s_add_i32 s1, s0, s10
	s_mul_i32 s0, s3, s18
	s_delay_alu instid0(SALU_CYCLE_1) | instskip(NEXT) | instid1(SALU_CYCLE_1)
	s_lshl_b64 s[0:1], s[0:1], 4
	s_add_u32 s0, s2, s0
	s_delay_alu instid0(VALU_DEP_1) | instskip(SKIP_1) | instid1(VALU_DEP_1)
	v_mov_b32_e32 v11, v7
	s_addc_u32 s1, s5, s1
	v_lshlrev_b64 v[6:7], 4, v[10:11]
	s_delay_alu instid0(VALU_DEP_1) | instskip(NEXT) | instid1(VALU_DEP_2)
	v_add_co_u32 v1, vcc_lo, s0, v6
	v_add_co_ci_u32_e32 v6, vcc_lo, s1, v7, vcc_lo
	s_delay_alu instid0(VALU_DEP_2) | instskip(NEXT) | instid1(VALU_DEP_2)
	v_add_co_u32 v0, vcc_lo, v1, v0
	v_add_co_ci_u32_e32 v1, vcc_lo, 0, v6, vcc_lo
	global_store_b128 v[0:1], v[2:5], off
.LBB134_15:
	s_nop 0
	s_sendmsg sendmsg(MSG_DEALLOC_VGPRS)
	s_endpgm
	.section	.rodata,"a",@progbits
	.p2align	6, 0x0
	.amdhsa_kernel _ZL23rocblas_trmm_lTx_kernelILi16ELb0E19rocblas_complex_numIdEPKS1_S2_S1_Ev13rocblas_fill_17rocblas_diagonal_iiT2_lPT3_llS8_llPT4_lli
		.amdhsa_group_segment_fixed_size 8192
		.amdhsa_private_segment_fixed_size 0
		.amdhsa_kernarg_size 108
		.amdhsa_user_sgpr_count 14
		.amdhsa_user_sgpr_dispatch_ptr 0
		.amdhsa_user_sgpr_queue_ptr 0
		.amdhsa_user_sgpr_kernarg_segment_ptr 1
		.amdhsa_user_sgpr_dispatch_id 0
		.amdhsa_user_sgpr_private_segment_size 0
		.amdhsa_wavefront_size32 1
		.amdhsa_uses_dynamic_stack 0
		.amdhsa_enable_private_segment 0
		.amdhsa_system_sgpr_workgroup_id_x 1
		.amdhsa_system_sgpr_workgroup_id_y 0
		.amdhsa_system_sgpr_workgroup_id_z 1
		.amdhsa_system_sgpr_workgroup_info 0
		.amdhsa_system_vgpr_workitem_id 1
		.amdhsa_next_free_vgpr 45
		.amdhsa_next_free_sgpr 32
		.amdhsa_reserve_vcc 1
		.amdhsa_float_round_mode_32 0
		.amdhsa_float_round_mode_16_64 0
		.amdhsa_float_denorm_mode_32 3
		.amdhsa_float_denorm_mode_16_64 3
		.amdhsa_dx10_clamp 1
		.amdhsa_ieee_mode 1
		.amdhsa_fp16_overflow 0
		.amdhsa_workgroup_processor_mode 1
		.amdhsa_memory_ordered 1
		.amdhsa_forward_progress 0
		.amdhsa_shared_vgpr_count 0
		.amdhsa_exception_fp_ieee_invalid_op 0
		.amdhsa_exception_fp_denorm_src 0
		.amdhsa_exception_fp_ieee_div_zero 0
		.amdhsa_exception_fp_ieee_overflow 0
		.amdhsa_exception_fp_ieee_underflow 0
		.amdhsa_exception_fp_ieee_inexact 0
		.amdhsa_exception_int_div_zero 0
	.end_amdhsa_kernel
	.section	.text._ZL23rocblas_trmm_lTx_kernelILi16ELb0E19rocblas_complex_numIdEPKS1_S2_S1_Ev13rocblas_fill_17rocblas_diagonal_iiT2_lPT3_llS8_llPT4_lli,"axG",@progbits,_ZL23rocblas_trmm_lTx_kernelILi16ELb0E19rocblas_complex_numIdEPKS1_S2_S1_Ev13rocblas_fill_17rocblas_diagonal_iiT2_lPT3_llS8_llPT4_lli,comdat
.Lfunc_end134:
	.size	_ZL23rocblas_trmm_lTx_kernelILi16ELb0E19rocblas_complex_numIdEPKS1_S2_S1_Ev13rocblas_fill_17rocblas_diagonal_iiT2_lPT3_llS8_llPT4_lli, .Lfunc_end134-_ZL23rocblas_trmm_lTx_kernelILi16ELb0E19rocblas_complex_numIdEPKS1_S2_S1_Ev13rocblas_fill_17rocblas_diagonal_iiT2_lPT3_llS8_llPT4_lli
                                        ; -- End function
	.section	.AMDGPU.csdata,"",@progbits
; Kernel info:
; codeLenInByte = 2124
; NumSgprs: 34
; NumVgprs: 45
; ScratchSize: 0
; MemoryBound: 0
; FloatMode: 240
; IeeeMode: 1
; LDSByteSize: 8192 bytes/workgroup (compile time only)
; SGPRBlocks: 4
; VGPRBlocks: 5
; NumSGPRsForWavesPerEU: 34
; NumVGPRsForWavesPerEU: 45
; Occupancy: 16
; WaveLimiterHint : 0
; COMPUTE_PGM_RSRC2:SCRATCH_EN: 0
; COMPUTE_PGM_RSRC2:USER_SGPR: 14
; COMPUTE_PGM_RSRC2:TRAP_HANDLER: 0
; COMPUTE_PGM_RSRC2:TGID_X_EN: 1
; COMPUTE_PGM_RSRC2:TGID_Y_EN: 0
; COMPUTE_PGM_RSRC2:TGID_Z_EN: 1
; COMPUTE_PGM_RSRC2:TIDIG_COMP_CNT: 1
	.section	.text._ZL23rocblas_trmm_lTx_kernelILi16ELb0E19rocblas_complex_numIdES1_KS1_S1_Ev13rocblas_fill_17rocblas_diagonal_iiT2_lPT3_llS7_llPT4_lli,"axG",@progbits,_ZL23rocblas_trmm_lTx_kernelILi16ELb0E19rocblas_complex_numIdES1_KS1_S1_Ev13rocblas_fill_17rocblas_diagonal_iiT2_lPT3_llS7_llPT4_lli,comdat
	.globl	_ZL23rocblas_trmm_lTx_kernelILi16ELb0E19rocblas_complex_numIdES1_KS1_S1_Ev13rocblas_fill_17rocblas_diagonal_iiT2_lPT3_llS7_llPT4_lli ; -- Begin function _ZL23rocblas_trmm_lTx_kernelILi16ELb0E19rocblas_complex_numIdES1_KS1_S1_Ev13rocblas_fill_17rocblas_diagonal_iiT2_lPT3_llS7_llPT4_lli
	.p2align	8
	.type	_ZL23rocblas_trmm_lTx_kernelILi16ELb0E19rocblas_complex_numIdES1_KS1_S1_Ev13rocblas_fill_17rocblas_diagonal_iiT2_lPT3_llS7_llPT4_lli,@function
_ZL23rocblas_trmm_lTx_kernelILi16ELb0E19rocblas_complex_numIdES1_KS1_S1_Ev13rocblas_fill_17rocblas_diagonal_iiT2_lPT3_llS7_llPT4_lli: ; @_ZL23rocblas_trmm_lTx_kernelILi16ELb0E19rocblas_complex_numIdES1_KS1_S1_Ev13rocblas_fill_17rocblas_diagonal_iiT2_lPT3_llS7_llPT4_lli
; %bb.0:
	s_load_b128 s[4:7], s[0:1], 0x10
	s_waitcnt lgkmcnt(0)
	v_cmp_neq_f64_e64 s2, s[4:5], 0
	v_cmp_neq_f64_e64 s3, s[6:7], 0
	s_delay_alu instid0(VALU_DEP_1) | instskip(NEXT) | instid1(SALU_CYCLE_1)
	s_or_b32 s2, s2, s3
	s_and_not1_b32 vcc_lo, exec_lo, s2
	s_cbranch_vccnz .LBB135_15
; %bb.1:
	s_clause 0x1
	s_load_b128 s[8:11], s[0:1], 0x0
	s_load_b512 s[16:31], s[0:1], 0x28
	v_bfe_u32 v1, v0, 10, 10
	s_mov_b32 s36, 0
	s_delay_alu instid0(SALU_CYCLE_1)
	s_mov_b32 s37, s36
	s_mov_b32 s38, s36
	;; [unrolled: 1-line block ×3, first 2 shown]
	v_dual_mov_b32 v5, s36 :: v_dual_and_b32 v4, 0x3ff, v0
	v_dual_mov_b32 v7, s38 :: v_dual_lshlrev_b32 v2, 4, v1
	v_mov_b32_e32 v6, s37
	v_mov_b32_e32 v8, s39
	s_delay_alu instid0(VALU_DEP_4) | instskip(NEXT) | instid1(VALU_DEP_4)
	v_lshlrev_b32_e32 v0, 4, v4
	v_add_lshl_u32 v3, v2, v4, 4
	ds_store_b128 v3, v[5:8]
	ds_store_b128 v3, v[5:8] offset:4096
	s_waitcnt lgkmcnt(0)
	v_cmp_gt_i32_e64 s2, s10, v1
	v_cmp_gt_i32_e32 vcc_lo, s10, v4
	s_barrier
	buffer_gl0_inv
	s_and_b32 s2, s2, vcc_lo
	s_delay_alu instid0(SALU_CYCLE_1)
	s_and_saveexec_b32 s3, s2
	s_cbranch_execz .LBB135_3
; %bb.2:
	v_mad_u64_u32 v[5:6], null, v1, s18, 0
	s_mul_i32 s2, s15, s21
	s_mul_hi_u32 s10, s15, s20
	s_mul_i32 s12, s15, s20
	s_add_i32 s13, s10, s2
	v_add_lshl_u32 v9, v0, v1, 4
	s_lshl_b64 s[12:13], s[12:13], 4
	s_delay_alu instid0(VALU_DEP_2) | instskip(SKIP_2) | instid1(VALU_DEP_1)
	v_mad_u64_u32 v[7:8], null, v1, s19, v[6:7]
	s_add_u32 s2, s16, s12
	s_addc_u32 s10, s17, s13
	v_mov_b32_e32 v6, v7
	s_delay_alu instid0(VALU_DEP_1) | instskip(NEXT) | instid1(VALU_DEP_1)
	v_lshlrev_b64 v[5:6], 4, v[5:6]
	v_add_co_u32 v5, s2, s2, v5
	s_delay_alu instid0(VALU_DEP_1) | instskip(NEXT) | instid1(VALU_DEP_2)
	v_add_co_ci_u32_e64 v6, s2, s10, v6, s2
	v_add_co_u32 v5, s2, v5, v0
	s_delay_alu instid0(VALU_DEP_1)
	v_add_co_ci_u32_e64 v6, s2, 0, v6, s2
	global_load_b128 v[5:8], v[5:6], off
	s_waitcnt vmcnt(0)
	ds_store_2addr_b64 v9, v[5:6], v[7:8] offset1:1
.LBB135_3:
	s_or_b32 exec_lo, exec_lo, s3
	s_add_i32 s2, s11, -1
	s_delay_alu instid0(SALU_CYCLE_1) | instskip(NEXT) | instid1(SALU_CYCLE_1)
	s_ashr_i32 s3, s2, 31
	s_lshr_b32 s3, s3, 28
	s_delay_alu instid0(SALU_CYCLE_1) | instskip(NEXT) | instid1(SALU_CYCLE_1)
	s_add_i32 s2, s2, s3
	s_and_b32 s3, s2, -16
	s_ashr_i32 s2, s2, 4
	s_sub_i32 s3, s11, s3
	s_cmp_ge_i32 s14, s2
	s_cselect_b32 s2, s3, 16
	s_lshl_b32 s3, s14, 4
	v_cmp_gt_i32_e64 s2, s2, v1
	s_ashr_i32 s10, s3, 31
	s_delay_alu instid0(VALU_DEP_1) | instskip(NEXT) | instid1(SALU_CYCLE_1)
	s_and_b32 s2, vcc_lo, s2
	s_and_saveexec_b32 s11, s2
	s_cbranch_execz .LBB135_5
; %bb.4:
	v_mad_u64_u32 v[5:6], null, v1, s24, 0
	s_mul_i32 s13, s15, s27
	s_mul_hi_u32 s14, s15, s26
	s_mul_i32 s12, s15, s26
	s_add_i32 s13, s14, s13
	s_mul_i32 s16, s3, s25
	s_lshl_b64 s[12:13], s[12:13], 4
	s_delay_alu instid0(VALU_DEP_1)
	v_mad_u64_u32 v[7:8], null, v1, s25, v[6:7]
	s_mul_hi_u32 s14, s3, s24
	s_add_u32 s18, s22, s12
	s_mul_i32 s17, s10, s24
	s_addc_u32 s19, s23, s13
	s_add_i32 s13, s14, s16
	s_mul_i32 s12, s3, s24
	s_delay_alu instid0(VALU_DEP_1) | instskip(SKIP_1) | instid1(SALU_CYCLE_1)
	v_dual_mov_b32 v6, v7 :: v_dual_add_nc_u32 v9, 0x1000, v3
	s_add_i32 s13, s13, s17
	s_lshl_b64 s[12:13], s[12:13], 4
	s_delay_alu instid0(VALU_DEP_1) | instskip(SKIP_2) | instid1(VALU_DEP_1)
	v_lshlrev_b64 v[5:6], 4, v[5:6]
	s_add_u32 s12, s18, s12
	s_addc_u32 s13, s19, s13
	v_add_co_u32 v5, vcc_lo, s12, v5
	s_delay_alu instid0(VALU_DEP_2) | instskip(NEXT) | instid1(VALU_DEP_2)
	v_add_co_ci_u32_e32 v6, vcc_lo, s13, v6, vcc_lo
	v_add_co_u32 v5, vcc_lo, v5, v0
	s_delay_alu instid0(VALU_DEP_2)
	v_add_co_ci_u32_e32 v6, vcc_lo, 0, v6, vcc_lo
	global_load_b128 v[5:8], v[5:6], off
	s_waitcnt vmcnt(0)
	ds_store_2addr_b64 v9, v[5:6], v[7:8] offset1:1
.LBB135_5:
	s_or_b32 exec_lo, exec_lo, s11
	v_cmp_eq_u32_e32 vcc_lo, v1, v4
	s_cmpk_eq_i32 s9, 0x84
	s_cselect_b32 s9, -1, 0
	s_delay_alu instid0(SALU_CYCLE_1) | instskip(NEXT) | instid1(SALU_CYCLE_1)
	s_and_b32 s11, vcc_lo, s9
	s_and_saveexec_b32 s9, s11
	s_cbranch_execz .LBB135_7
; %bb.6:
	v_dual_mov_b32 v5, 0 :: v_dual_mov_b32 v6, 0x3ff00000
	s_delay_alu instid0(VALU_DEP_1)
	v_mov_b32_e32 v7, v5
	v_mov_b32_e32 v8, v5
	ds_store_b128 v3, v[5:8]
.LBB135_7:
	s_or_b32 exec_lo, exec_lo, s9
	s_cmpk_lg_i32 s8, 0x7a
	s_waitcnt lgkmcnt(0)
	s_barrier
	buffer_gl0_inv
	s_cbranch_scc0 .LBB135_9
; %bb.8:
	v_cmp_lt_u32_e32 vcc_lo, v4, v1
	s_and_b32 s8, vcc_lo, exec_lo
	s_cbranch_execz .LBB135_10
	s_branch .LBB135_11
.LBB135_9:
	s_mov_b32 s8, 0
.LBB135_10:
	v_cmp_gt_u32_e32 vcc_lo, v4, v1
	s_and_not1_b32 s8, s8, exec_lo
	s_and_b32 s9, vcc_lo, exec_lo
	s_delay_alu instid0(SALU_CYCLE_1)
	s_or_b32 s8, s8, s9
.LBB135_11:
	s_delay_alu instid0(SALU_CYCLE_1)
	s_and_saveexec_b32 s9, s8
	s_cbranch_execz .LBB135_13
; %bb.12:
	v_mov_b32_e32 v4, 0
	s_delay_alu instid0(VALU_DEP_1)
	v_mov_b32_e32 v5, v4
	v_mov_b32_e32 v6, v4
	;; [unrolled: 1-line block ×3, first 2 shown]
	ds_store_b128 v3, v[4:7]
.LBB135_13:
	s_or_b32 exec_lo, exec_lo, s9
	s_waitcnt lgkmcnt(0)
	s_barrier
	buffer_gl0_inv
	s_and_saveexec_b32 s8, s2
	s_cbranch_execz .LBB135_15
; %bb.14:
	v_lshlrev_b32_e32 v44, 4, v2
	s_load_b64 s[0:1], s[0:1], 0x68
	s_mul_i32 s10, s10, s30
	ds_load_b128 v[2:5], v44 offset:4096
	ds_load_b128 v[6:9], v0
	ds_load_b128 v[10:13], v0 offset:256
	ds_load_b128 v[14:17], v44 offset:4112
	s_waitcnt lgkmcnt(0)
	s_mul_i32 s1, s15, s1
	s_mul_hi_u32 s2, s15, s0
	v_mul_f64 v[18:19], v[2:3], v[8:9]
	v_mul_f64 v[8:9], v[4:5], v[8:9]
	;; [unrolled: 1-line block ×4, first 2 shown]
	s_add_i32 s1, s2, s1
	s_mul_i32 s0, s15, s0
	s_delay_alu instid0(SALU_CYCLE_1) | instskip(NEXT) | instid1(SALU_CYCLE_1)
	s_lshl_b64 s[0:1], s[0:1], 4
	s_add_u32 s2, s28, s0
	s_mul_i32 s0, s3, s31
	s_delay_alu instid0(VALU_DEP_4)
	v_fma_f64 v[4:5], v[4:5], v[6:7], v[18:19]
	ds_load_b128 v[18:21], v44 offset:4128
	ds_load_b128 v[22:25], v0 offset:512
	;; [unrolled: 1-line block ×4, first 2 shown]
	v_fma_f64 v[16:17], v[16:17], v[10:11], v[34:35]
	v_fma_f64 v[2:3], v[2:3], v[6:7], -v[8:9]
	s_waitcnt lgkmcnt(2)
	v_mul_f64 v[36:37], v[18:19], v[24:25]
	v_mul_f64 v[24:25], v[20:21], v[24:25]
	s_waitcnt lgkmcnt(0)
	v_mul_f64 v[34:35], v[30:31], v[28:29]
	v_mul_f64 v[28:29], v[32:33], v[28:29]
	v_add_f64 v[4:5], v[4:5], 0
	v_add_f64 v[38:39], v[2:3], 0
	v_fma_f64 v[20:21], v[20:21], v[22:23], v[36:37]
	v_fma_f64 v[36:37], v[14:15], v[10:11], -v[12:13]
	v_fma_f64 v[32:33], v[32:33], v[26:27], v[34:35]
	v_fma_f64 v[18:19], v[18:19], v[22:23], -v[24:25]
	v_add_f64 v[40:41], v[4:5], v[16:17]
	ds_load_b128 v[2:5], v44 offset:4160
	ds_load_b128 v[6:9], v0 offset:1024
	ds_load_b128 v[10:13], v0 offset:1280
	ds_load_b128 v[14:17], v44 offset:4176
	s_waitcnt lgkmcnt(2)
	v_mul_f64 v[42:43], v[2:3], v[8:9]
	v_add_f64 v[22:23], v[38:39], v[36:37]
	s_waitcnt lgkmcnt(0)
	v_mul_f64 v[34:35], v[14:15], v[12:13]
	v_mul_f64 v[8:9], v[4:5], v[8:9]
	v_fma_f64 v[36:37], v[30:31], v[26:27], -v[28:29]
	v_mul_f64 v[12:13], v[16:17], v[12:13]
	v_add_f64 v[20:21], v[40:41], v[20:21]
	v_fma_f64 v[4:5], v[4:5], v[6:7], v[42:43]
	v_add_f64 v[38:39], v[22:23], v[18:19]
	v_fma_f64 v[16:17], v[16:17], v[10:11], v[34:35]
	v_fma_f64 v[2:3], v[2:3], v[6:7], -v[8:9]
	v_add_f64 v[40:41], v[20:21], v[32:33]
	ds_load_b128 v[18:21], v44 offset:4192
	ds_load_b128 v[22:25], v0 offset:1536
	ds_load_b128 v[26:29], v0 offset:1792
	ds_load_b128 v[30:33], v44 offset:4208
	s_waitcnt lgkmcnt(2)
	v_mul_f64 v[42:43], v[18:19], v[24:25]
	v_add_f64 v[6:7], v[38:39], v[36:37]
	s_waitcnt lgkmcnt(0)
	v_mul_f64 v[34:35], v[30:31], v[28:29]
	v_mul_f64 v[24:25], v[20:21], v[24:25]
	v_fma_f64 v[36:37], v[14:15], v[10:11], -v[12:13]
	v_mul_f64 v[28:29], v[32:33], v[28:29]
	v_add_f64 v[4:5], v[40:41], v[4:5]
	v_fma_f64 v[20:21], v[20:21], v[22:23], v[42:43]
	v_add_f64 v[38:39], v[6:7], v[2:3]
	;; [unrolled: 18-line block ×5, first 2 shown]
	v_fma_f64 v[16:17], v[16:17], v[10:11], v[34:35]
	v_fma_f64 v[2:3], v[2:3], v[6:7], -v[8:9]
	v_fma_f64 v[10:11], v[14:15], v[10:11], -v[12:13]
	v_add_f64 v[40:41], v[20:21], v[32:33]
	ds_load_b128 v[18:21], v44 offset:4320
	ds_load_b128 v[22:25], v0 offset:3584
	;; [unrolled: 1-line block ×4, first 2 shown]
	s_waitcnt lgkmcnt(2)
	v_mul_f64 v[42:43], v[18:19], v[24:25]
	v_add_f64 v[6:7], v[38:39], v[36:37]
	s_waitcnt lgkmcnt(0)
	v_mul_f64 v[8:9], v[30:31], v[28:29]
	v_mul_f64 v[24:25], v[20:21], v[24:25]
	v_add_f64 v[4:5], v[40:41], v[4:5]
	v_fma_f64 v[20:21], v[20:21], v[22:23], v[42:43]
	v_add_f64 v[2:3], v[6:7], v[2:3]
	v_mul_f64 v[6:7], v[32:33], v[28:29]
	v_fma_f64 v[8:9], v[32:33], v[26:27], v[8:9]
	v_fma_f64 v[12:13], v[18:19], v[22:23], -v[24:25]
	v_add_f64 v[4:5], v[4:5], v[16:17]
	v_add_f64 v[2:3], v[2:3], v[10:11]
	v_fma_f64 v[6:7], v[30:31], v[26:27], -v[6:7]
	v_mad_u64_u32 v[10:11], null, v1, s30, 0
	s_delay_alu instid0(VALU_DEP_4) | instskip(NEXT) | instid1(VALU_DEP_4)
	v_add_f64 v[4:5], v[4:5], v[20:21]
	v_add_f64 v[2:3], v[2:3], v[12:13]
	s_delay_alu instid0(VALU_DEP_2) | instskip(NEXT) | instid1(VALU_DEP_2)
	v_add_f64 v[4:5], v[4:5], v[8:9]
	v_add_f64 v[2:3], v[2:3], v[6:7]
	s_delay_alu instid0(VALU_DEP_2) | instskip(SKIP_1) | instid1(VALU_DEP_2)
	v_mul_f64 v[6:7], s[4:5], v[4:5]
	v_mul_f64 v[8:9], s[6:7], v[4:5]
	v_fma_f64 v[4:5], s[6:7], v[2:3], v[6:7]
	s_delay_alu instid0(VALU_DEP_2) | instskip(SKIP_4) | instid1(VALU_DEP_1)
	v_fma_f64 v[2:3], s[4:5], v[2:3], -v[8:9]
	v_mov_b32_e32 v6, v11
	s_mul_hi_u32 s4, s3, s30
	s_addc_u32 s5, s29, s1
	s_add_i32 s0, s4, s0
	v_mad_u64_u32 v[7:8], null, v1, s31, v[6:7]
	s_add_i32 s1, s0, s10
	s_mul_i32 s0, s3, s30
	s_delay_alu instid0(SALU_CYCLE_1) | instskip(NEXT) | instid1(SALU_CYCLE_1)
	s_lshl_b64 s[0:1], s[0:1], 4
	s_add_u32 s0, s2, s0
	s_delay_alu instid0(VALU_DEP_1) | instskip(SKIP_1) | instid1(VALU_DEP_1)
	v_mov_b32_e32 v11, v7
	s_addc_u32 s1, s5, s1
	v_lshlrev_b64 v[6:7], 4, v[10:11]
	s_delay_alu instid0(VALU_DEP_1) | instskip(NEXT) | instid1(VALU_DEP_2)
	v_add_co_u32 v1, vcc_lo, s0, v6
	v_add_co_ci_u32_e32 v6, vcc_lo, s1, v7, vcc_lo
	s_delay_alu instid0(VALU_DEP_2) | instskip(NEXT) | instid1(VALU_DEP_2)
	v_add_co_u32 v0, vcc_lo, v1, v0
	v_add_co_ci_u32_e32 v1, vcc_lo, 0, v6, vcc_lo
	global_store_b128 v[0:1], v[2:5], off
.LBB135_15:
	s_nop 0
	s_sendmsg sendmsg(MSG_DEALLOC_VGPRS)
	s_endpgm
	.section	.rodata,"a",@progbits
	.p2align	6, 0x0
	.amdhsa_kernel _ZL23rocblas_trmm_lTx_kernelILi16ELb0E19rocblas_complex_numIdES1_KS1_S1_Ev13rocblas_fill_17rocblas_diagonal_iiT2_lPT3_llS7_llPT4_lli
		.amdhsa_group_segment_fixed_size 8192
		.amdhsa_private_segment_fixed_size 0
		.amdhsa_kernarg_size 116
		.amdhsa_user_sgpr_count 14
		.amdhsa_user_sgpr_dispatch_ptr 0
		.amdhsa_user_sgpr_queue_ptr 0
		.amdhsa_user_sgpr_kernarg_segment_ptr 1
		.amdhsa_user_sgpr_dispatch_id 0
		.amdhsa_user_sgpr_private_segment_size 0
		.amdhsa_wavefront_size32 1
		.amdhsa_uses_dynamic_stack 0
		.amdhsa_enable_private_segment 0
		.amdhsa_system_sgpr_workgroup_id_x 1
		.amdhsa_system_sgpr_workgroup_id_y 0
		.amdhsa_system_sgpr_workgroup_id_z 1
		.amdhsa_system_sgpr_workgroup_info 0
		.amdhsa_system_vgpr_workitem_id 1
		.amdhsa_next_free_vgpr 45
		.amdhsa_next_free_sgpr 40
		.amdhsa_reserve_vcc 1
		.amdhsa_float_round_mode_32 0
		.amdhsa_float_round_mode_16_64 0
		.amdhsa_float_denorm_mode_32 3
		.amdhsa_float_denorm_mode_16_64 3
		.amdhsa_dx10_clamp 1
		.amdhsa_ieee_mode 1
		.amdhsa_fp16_overflow 0
		.amdhsa_workgroup_processor_mode 1
		.amdhsa_memory_ordered 1
		.amdhsa_forward_progress 0
		.amdhsa_shared_vgpr_count 0
		.amdhsa_exception_fp_ieee_invalid_op 0
		.amdhsa_exception_fp_denorm_src 0
		.amdhsa_exception_fp_ieee_div_zero 0
		.amdhsa_exception_fp_ieee_overflow 0
		.amdhsa_exception_fp_ieee_underflow 0
		.amdhsa_exception_fp_ieee_inexact 0
		.amdhsa_exception_int_div_zero 0
	.end_amdhsa_kernel
	.section	.text._ZL23rocblas_trmm_lTx_kernelILi16ELb0E19rocblas_complex_numIdES1_KS1_S1_Ev13rocblas_fill_17rocblas_diagonal_iiT2_lPT3_llS7_llPT4_lli,"axG",@progbits,_ZL23rocblas_trmm_lTx_kernelILi16ELb0E19rocblas_complex_numIdES1_KS1_S1_Ev13rocblas_fill_17rocblas_diagonal_iiT2_lPT3_llS7_llPT4_lli,comdat
.Lfunc_end135:
	.size	_ZL23rocblas_trmm_lTx_kernelILi16ELb0E19rocblas_complex_numIdES1_KS1_S1_Ev13rocblas_fill_17rocblas_diagonal_iiT2_lPT3_llS7_llPT4_lli, .Lfunc_end135-_ZL23rocblas_trmm_lTx_kernelILi16ELb0E19rocblas_complex_numIdES1_KS1_S1_Ev13rocblas_fill_17rocblas_diagonal_iiT2_lPT3_llS7_llPT4_lli
                                        ; -- End function
	.section	.AMDGPU.csdata,"",@progbits
; Kernel info:
; codeLenInByte = 2080
; NumSgprs: 42
; NumVgprs: 45
; ScratchSize: 0
; MemoryBound: 0
; FloatMode: 240
; IeeeMode: 1
; LDSByteSize: 8192 bytes/workgroup (compile time only)
; SGPRBlocks: 5
; VGPRBlocks: 5
; NumSGPRsForWavesPerEU: 42
; NumVGPRsForWavesPerEU: 45
; Occupancy: 16
; WaveLimiterHint : 0
; COMPUTE_PGM_RSRC2:SCRATCH_EN: 0
; COMPUTE_PGM_RSRC2:USER_SGPR: 14
; COMPUTE_PGM_RSRC2:TRAP_HANDLER: 0
; COMPUTE_PGM_RSRC2:TGID_X_EN: 1
; COMPUTE_PGM_RSRC2:TGID_Y_EN: 0
; COMPUTE_PGM_RSRC2:TGID_Z_EN: 1
; COMPUTE_PGM_RSRC2:TIDIG_COMP_CNT: 1
	.section	.text._ZL23rocblas_trmm_lTx_kernelILi16ELb1E19rocblas_complex_numIdEPKS1_S2_S1_Ev13rocblas_fill_17rocblas_diagonal_iiT2_lPT3_llS8_llPT4_lli,"axG",@progbits,_ZL23rocblas_trmm_lTx_kernelILi16ELb1E19rocblas_complex_numIdEPKS1_S2_S1_Ev13rocblas_fill_17rocblas_diagonal_iiT2_lPT3_llS8_llPT4_lli,comdat
	.globl	_ZL23rocblas_trmm_lTx_kernelILi16ELb1E19rocblas_complex_numIdEPKS1_S2_S1_Ev13rocblas_fill_17rocblas_diagonal_iiT2_lPT3_llS8_llPT4_lli ; -- Begin function _ZL23rocblas_trmm_lTx_kernelILi16ELb1E19rocblas_complex_numIdEPKS1_S2_S1_Ev13rocblas_fill_17rocblas_diagonal_iiT2_lPT3_llS8_llPT4_lli
	.p2align	8
	.type	_ZL23rocblas_trmm_lTx_kernelILi16ELb1E19rocblas_complex_numIdEPKS1_S2_S1_Ev13rocblas_fill_17rocblas_diagonal_iiT2_lPT3_llS8_llPT4_lli,@function
_ZL23rocblas_trmm_lTx_kernelILi16ELb1E19rocblas_complex_numIdEPKS1_S2_S1_Ev13rocblas_fill_17rocblas_diagonal_iiT2_lPT3_llS8_llPT4_lli: ; @_ZL23rocblas_trmm_lTx_kernelILi16ELb1E19rocblas_complex_numIdEPKS1_S2_S1_Ev13rocblas_fill_17rocblas_diagonal_iiT2_lPT3_llS8_llPT4_lli
; %bb.0:
	s_load_b512 s[16:31], s[0:1], 0x10
	s_waitcnt lgkmcnt(0)
	s_mul_i32 s3, s15, s19
	s_mul_hi_u32 s4, s15, s18
	s_mul_i32 s2, s15, s18
	s_add_i32 s3, s4, s3
	s_delay_alu instid0(SALU_CYCLE_1) | instskip(NEXT) | instid1(SALU_CYCLE_1)
	s_lshl_b64 s[2:3], s[2:3], 4
	s_add_u32 s2, s16, s2
	s_addc_u32 s3, s17, s3
	s_load_b128 s[4:7], s[2:3], 0x0
	s_waitcnt lgkmcnt(0)
	v_cmp_neq_f64_e64 s2, s[4:5], 0
	v_cmp_neq_f64_e64 s3, s[6:7], 0
	s_delay_alu instid0(VALU_DEP_1) | instskip(NEXT) | instid1(SALU_CYCLE_1)
	s_or_b32 s2, s2, s3
	s_and_not1_b32 vcc_lo, exec_lo, s2
	s_cbranch_vccnz .LBB136_15
; %bb.1:
	s_load_b128 s[8:11], s[0:1], 0x0
	v_bfe_u32 v1, v0, 10, 10
	s_mov_b32 s16, 0
	s_delay_alu instid0(SALU_CYCLE_1)
	s_mov_b32 s17, s16
	s_mov_b32 s18, s16
	;; [unrolled: 1-line block ×3, first 2 shown]
	v_dual_mov_b32 v5, s16 :: v_dual_and_b32 v4, 0x3ff, v0
	v_dual_mov_b32 v7, s18 :: v_dual_lshlrev_b32 v2, 4, v1
	v_mov_b32_e32 v6, s17
	v_mov_b32_e32 v8, s19
	s_delay_alu instid0(VALU_DEP_4) | instskip(NEXT) | instid1(VALU_DEP_4)
	v_lshlrev_b32_e32 v0, 4, v4
	v_add_lshl_u32 v3, v2, v4, 4
	ds_store_b128 v3, v[5:8]
	ds_store_b128 v3, v[5:8] offset:4096
	s_waitcnt lgkmcnt(0)
	v_cmp_gt_i32_e64 s2, s10, v1
	v_cmp_gt_i32_e32 vcc_lo, s10, v4
	s_barrier
	buffer_gl0_inv
	s_and_b32 s2, s2, vcc_lo
	s_delay_alu instid0(SALU_CYCLE_1)
	s_and_saveexec_b32 s3, s2
	s_cbranch_execz .LBB136_3
; %bb.2:
	v_mad_u64_u32 v[5:6], null, v1, s22, 0
	s_mul_i32 s2, s15, s25
	s_mul_hi_u32 s10, s15, s24
	s_mul_i32 s12, s15, s24
	s_add_i32 s13, s10, s2
	v_add_lshl_u32 v9, v0, v1, 4
	s_lshl_b64 s[12:13], s[12:13], 4
	s_delay_alu instid0(VALU_DEP_2) | instskip(SKIP_2) | instid1(VALU_DEP_1)
	v_mad_u64_u32 v[7:8], null, v1, s23, v[6:7]
	s_add_u32 s2, s20, s12
	s_addc_u32 s10, s21, s13
	v_mov_b32_e32 v6, v7
	s_delay_alu instid0(VALU_DEP_1) | instskip(NEXT) | instid1(VALU_DEP_1)
	v_lshlrev_b64 v[5:6], 4, v[5:6]
	v_add_co_u32 v5, s2, s2, v5
	s_delay_alu instid0(VALU_DEP_1) | instskip(NEXT) | instid1(VALU_DEP_2)
	v_add_co_ci_u32_e64 v6, s2, s10, v6, s2
	v_add_co_u32 v5, s2, v5, v0
	s_delay_alu instid0(VALU_DEP_1)
	v_add_co_ci_u32_e64 v6, s2, 0, v6, s2
	global_load_b128 v[5:8], v[5:6], off
	s_waitcnt vmcnt(0)
	v_xor_b32_e32 v8, 0x80000000, v8
	ds_store_b128 v9, v[5:8]
.LBB136_3:
	s_or_b32 exec_lo, exec_lo, s3
	s_add_i32 s2, s11, -1
	s_delay_alu instid0(SALU_CYCLE_1) | instskip(NEXT) | instid1(SALU_CYCLE_1)
	s_ashr_i32 s3, s2, 31
	s_lshr_b32 s3, s3, 28
	s_delay_alu instid0(SALU_CYCLE_1) | instskip(NEXT) | instid1(SALU_CYCLE_1)
	s_add_i32 s2, s2, s3
	s_and_b32 s3, s2, -16
	s_ashr_i32 s2, s2, 4
	s_sub_i32 s3, s11, s3
	s_cmp_ge_i32 s14, s2
	s_cselect_b32 s2, s3, 16
	s_lshl_b32 s3, s14, 4
	v_cmp_gt_i32_e64 s2, s2, v1
	s_ashr_i32 s10, s3, 31
	s_delay_alu instid0(VALU_DEP_1) | instskip(NEXT) | instid1(SALU_CYCLE_1)
	s_and_b32 s2, vcc_lo, s2
	s_and_saveexec_b32 s11, s2
	s_cbranch_execz .LBB136_5
; %bb.4:
	v_mad_u64_u32 v[5:6], null, v1, s28, 0
	s_mul_i32 s13, s15, s31
	s_mul_hi_u32 s14, s15, s30
	s_mul_i32 s12, s15, s30
	s_add_i32 s13, s14, s13
	s_mul_i32 s16, s3, s29
	s_lshl_b64 s[12:13], s[12:13], 4
	s_delay_alu instid0(VALU_DEP_1)
	v_mad_u64_u32 v[7:8], null, v1, s29, v[6:7]
	s_mul_hi_u32 s14, s3, s28
	s_add_u32 s18, s26, s12
	s_mul_i32 s17, s10, s28
	s_addc_u32 s19, s27, s13
	s_add_i32 s13, s14, s16
	s_mul_i32 s12, s3, s28
	s_delay_alu instid0(VALU_DEP_1) | instskip(SKIP_1) | instid1(SALU_CYCLE_1)
	v_dual_mov_b32 v6, v7 :: v_dual_add_nc_u32 v9, 0x1000, v3
	s_add_i32 s13, s13, s17
	s_lshl_b64 s[12:13], s[12:13], 4
	s_delay_alu instid0(VALU_DEP_1) | instskip(SKIP_2) | instid1(VALU_DEP_1)
	v_lshlrev_b64 v[5:6], 4, v[5:6]
	s_add_u32 s12, s18, s12
	s_addc_u32 s13, s19, s13
	v_add_co_u32 v5, vcc_lo, s12, v5
	s_delay_alu instid0(VALU_DEP_2) | instskip(NEXT) | instid1(VALU_DEP_2)
	v_add_co_ci_u32_e32 v6, vcc_lo, s13, v6, vcc_lo
	v_add_co_u32 v5, vcc_lo, v5, v0
	s_delay_alu instid0(VALU_DEP_2)
	v_add_co_ci_u32_e32 v6, vcc_lo, 0, v6, vcc_lo
	global_load_b128 v[5:8], v[5:6], off
	s_waitcnt vmcnt(0)
	ds_store_2addr_b64 v9, v[5:6], v[7:8] offset1:1
.LBB136_5:
	s_or_b32 exec_lo, exec_lo, s11
	v_cmp_eq_u32_e32 vcc_lo, v1, v4
	s_cmpk_eq_i32 s9, 0x84
	s_cselect_b32 s9, -1, 0
	s_delay_alu instid0(SALU_CYCLE_1) | instskip(NEXT) | instid1(SALU_CYCLE_1)
	s_and_b32 s11, vcc_lo, s9
	s_and_saveexec_b32 s9, s11
	s_cbranch_execz .LBB136_7
; %bb.6:
	v_dual_mov_b32 v5, 0 :: v_dual_mov_b32 v6, 0x3ff00000
	s_delay_alu instid0(VALU_DEP_1)
	v_mov_b32_e32 v7, v5
	v_mov_b32_e32 v8, v5
	ds_store_b128 v3, v[5:8]
.LBB136_7:
	s_or_b32 exec_lo, exec_lo, s9
	s_cmpk_lg_i32 s8, 0x7a
	s_waitcnt lgkmcnt(0)
	s_barrier
	buffer_gl0_inv
	s_cbranch_scc0 .LBB136_9
; %bb.8:
	v_cmp_lt_u32_e32 vcc_lo, v4, v1
	s_and_b32 s8, vcc_lo, exec_lo
	s_cbranch_execz .LBB136_10
	s_branch .LBB136_11
.LBB136_9:
	s_mov_b32 s8, 0
.LBB136_10:
	v_cmp_gt_u32_e32 vcc_lo, v4, v1
	s_and_not1_b32 s8, s8, exec_lo
	s_and_b32 s9, vcc_lo, exec_lo
	s_delay_alu instid0(SALU_CYCLE_1)
	s_or_b32 s8, s8, s9
.LBB136_11:
	s_delay_alu instid0(SALU_CYCLE_1)
	s_and_saveexec_b32 s9, s8
	s_cbranch_execz .LBB136_13
; %bb.12:
	v_mov_b32_e32 v4, 0
	s_delay_alu instid0(VALU_DEP_1)
	v_mov_b32_e32 v5, v4
	v_mov_b32_e32 v6, v4
	;; [unrolled: 1-line block ×3, first 2 shown]
	ds_store_b128 v3, v[4:7]
.LBB136_13:
	s_or_b32 exec_lo, exec_lo, s9
	s_waitcnt lgkmcnt(0)
	s_barrier
	buffer_gl0_inv
	s_and_saveexec_b32 s8, s2
	s_cbranch_execz .LBB136_15
; %bb.14:
	v_lshlrev_b32_e32 v44, 4, v2
	ds_load_b128 v[2:5], v44 offset:4096
	ds_load_b128 v[6:9], v0
	ds_load_b128 v[10:13], v0 offset:256
	ds_load_b128 v[14:17], v44 offset:4112
	s_waitcnt lgkmcnt(2)
	v_mul_f64 v[18:19], v[2:3], v[8:9]
	v_mul_f64 v[8:9], v[4:5], v[8:9]
	s_waitcnt lgkmcnt(0)
	v_mul_f64 v[34:35], v[14:15], v[12:13]
	v_mul_f64 v[12:13], v[16:17], v[12:13]
	s_delay_alu instid0(VALU_DEP_4)
	v_fma_f64 v[4:5], v[4:5], v[6:7], v[18:19]
	ds_load_b128 v[18:21], v44 offset:4128
	ds_load_b128 v[22:25], v0 offset:512
	;; [unrolled: 1-line block ×4, first 2 shown]
	v_fma_f64 v[16:17], v[16:17], v[10:11], v[34:35]
	v_fma_f64 v[2:3], v[2:3], v[6:7], -v[8:9]
	s_waitcnt lgkmcnt(2)
	v_mul_f64 v[36:37], v[18:19], v[24:25]
	v_mul_f64 v[24:25], v[20:21], v[24:25]
	s_waitcnt lgkmcnt(0)
	v_mul_f64 v[34:35], v[30:31], v[28:29]
	v_mul_f64 v[28:29], v[32:33], v[28:29]
	v_add_f64 v[4:5], v[4:5], 0
	v_add_f64 v[38:39], v[2:3], 0
	v_fma_f64 v[20:21], v[20:21], v[22:23], v[36:37]
	v_fma_f64 v[36:37], v[14:15], v[10:11], -v[12:13]
	v_fma_f64 v[32:33], v[32:33], v[26:27], v[34:35]
	v_fma_f64 v[18:19], v[18:19], v[22:23], -v[24:25]
	v_add_f64 v[40:41], v[4:5], v[16:17]
	ds_load_b128 v[2:5], v44 offset:4160
	ds_load_b128 v[6:9], v0 offset:1024
	ds_load_b128 v[10:13], v0 offset:1280
	ds_load_b128 v[14:17], v44 offset:4176
	s_waitcnt lgkmcnt(2)
	v_mul_f64 v[42:43], v[2:3], v[8:9]
	v_add_f64 v[22:23], v[38:39], v[36:37]
	s_waitcnt lgkmcnt(0)
	v_mul_f64 v[34:35], v[14:15], v[12:13]
	v_mul_f64 v[8:9], v[4:5], v[8:9]
	v_fma_f64 v[36:37], v[30:31], v[26:27], -v[28:29]
	v_mul_f64 v[12:13], v[16:17], v[12:13]
	v_add_f64 v[20:21], v[40:41], v[20:21]
	v_fma_f64 v[4:5], v[4:5], v[6:7], v[42:43]
	v_add_f64 v[38:39], v[22:23], v[18:19]
	v_fma_f64 v[16:17], v[16:17], v[10:11], v[34:35]
	v_fma_f64 v[2:3], v[2:3], v[6:7], -v[8:9]
	v_add_f64 v[40:41], v[20:21], v[32:33]
	ds_load_b128 v[18:21], v44 offset:4192
	ds_load_b128 v[22:25], v0 offset:1536
	ds_load_b128 v[26:29], v0 offset:1792
	ds_load_b128 v[30:33], v44 offset:4208
	s_waitcnt lgkmcnt(2)
	v_mul_f64 v[42:43], v[18:19], v[24:25]
	v_add_f64 v[6:7], v[38:39], v[36:37]
	s_waitcnt lgkmcnt(0)
	v_mul_f64 v[34:35], v[30:31], v[28:29]
	v_mul_f64 v[24:25], v[20:21], v[24:25]
	v_fma_f64 v[36:37], v[14:15], v[10:11], -v[12:13]
	v_mul_f64 v[28:29], v[32:33], v[28:29]
	v_add_f64 v[4:5], v[40:41], v[4:5]
	v_fma_f64 v[20:21], v[20:21], v[22:23], v[42:43]
	v_add_f64 v[38:39], v[6:7], v[2:3]
	v_fma_f64 v[32:33], v[32:33], v[26:27], v[34:35]
	v_fma_f64 v[18:19], v[18:19], v[22:23], -v[24:25]
	v_add_f64 v[40:41], v[4:5], v[16:17]
	ds_load_b128 v[2:5], v44 offset:4224
	ds_load_b128 v[6:9], v0 offset:2048
	ds_load_b128 v[10:13], v0 offset:2304
	ds_load_b128 v[14:17], v44 offset:4240
	s_waitcnt lgkmcnt(2)
	v_mul_f64 v[42:43], v[2:3], v[8:9]
	v_add_f64 v[22:23], v[38:39], v[36:37]
	s_waitcnt lgkmcnt(0)
	v_mul_f64 v[34:35], v[14:15], v[12:13]
	v_mul_f64 v[8:9], v[4:5], v[8:9]
	v_fma_f64 v[36:37], v[30:31], v[26:27], -v[28:29]
	v_mul_f64 v[12:13], v[16:17], v[12:13]
	v_add_f64 v[20:21], v[40:41], v[20:21]
	v_fma_f64 v[4:5], v[4:5], v[6:7], v[42:43]
	v_add_f64 v[38:39], v[22:23], v[18:19]
	v_fma_f64 v[16:17], v[16:17], v[10:11], v[34:35]
	v_fma_f64 v[2:3], v[2:3], v[6:7], -v[8:9]
	v_add_f64 v[40:41], v[20:21], v[32:33]
	ds_load_b128 v[18:21], v44 offset:4256
	ds_load_b128 v[22:25], v0 offset:2560
	ds_load_b128 v[26:29], v0 offset:2816
	ds_load_b128 v[30:33], v44 offset:4272
	s_waitcnt lgkmcnt(2)
	v_mul_f64 v[42:43], v[18:19], v[24:25]
	v_add_f64 v[6:7], v[38:39], v[36:37]
	s_waitcnt lgkmcnt(0)
	v_mul_f64 v[34:35], v[30:31], v[28:29]
	v_mul_f64 v[24:25], v[20:21], v[24:25]
	v_fma_f64 v[36:37], v[14:15], v[10:11], -v[12:13]
	v_mul_f64 v[28:29], v[32:33], v[28:29]
	v_add_f64 v[4:5], v[40:41], v[4:5]
	v_fma_f64 v[20:21], v[20:21], v[22:23], v[42:43]
	v_add_f64 v[38:39], v[6:7], v[2:3]
	v_fma_f64 v[32:33], v[32:33], v[26:27], v[34:35]
	v_fma_f64 v[18:19], v[18:19], v[22:23], -v[24:25]
	v_add_f64 v[40:41], v[4:5], v[16:17]
	ds_load_b128 v[2:5], v44 offset:4288
	ds_load_b128 v[6:9], v0 offset:3072
	ds_load_b128 v[10:13], v0 offset:3328
	ds_load_b128 v[14:17], v44 offset:4304
	s_waitcnt lgkmcnt(2)
	v_mul_f64 v[42:43], v[2:3], v[8:9]
	v_add_f64 v[22:23], v[38:39], v[36:37]
	s_waitcnt lgkmcnt(0)
	v_mul_f64 v[34:35], v[14:15], v[12:13]
	v_mul_f64 v[8:9], v[4:5], v[8:9]
	v_fma_f64 v[36:37], v[30:31], v[26:27], -v[28:29]
	v_mul_f64 v[12:13], v[16:17], v[12:13]
	v_add_f64 v[20:21], v[40:41], v[20:21]
	v_fma_f64 v[4:5], v[4:5], v[6:7], v[42:43]
	v_add_f64 v[38:39], v[22:23], v[18:19]
	v_fma_f64 v[16:17], v[16:17], v[10:11], v[34:35]
	v_fma_f64 v[2:3], v[2:3], v[6:7], -v[8:9]
	v_fma_f64 v[10:11], v[14:15], v[10:11], -v[12:13]
	v_add_f64 v[40:41], v[20:21], v[32:33]
	ds_load_b128 v[18:21], v44 offset:4320
	ds_load_b128 v[22:25], v0 offset:3584
	ds_load_b128 v[26:29], v0 offset:3840
	ds_load_b128 v[30:33], v44 offset:4336
	s_clause 0x1
	s_load_b128 s[16:19], s[0:1], 0x50
	s_load_b64 s[0:1], s[0:1], 0x60
	s_waitcnt lgkmcnt(0)
	v_mul_f64 v[42:43], v[18:19], v[24:25]
	v_add_f64 v[6:7], v[38:39], v[36:37]
	v_mul_f64 v[8:9], v[30:31], v[28:29]
	v_mul_f64 v[24:25], v[20:21], v[24:25]
	s_mul_i32 s1, s15, s1
	s_mul_hi_u32 s2, s15, s0
	s_mul_i32 s0, s15, s0
	s_add_i32 s1, s2, s1
	s_mul_i32 s10, s10, s18
	s_lshl_b64 s[0:1], s[0:1], 4
	s_delay_alu instid0(SALU_CYCLE_1)
	s_add_u32 s2, s16, s0
	s_mul_i32 s0, s3, s19
	v_add_f64 v[4:5], v[40:41], v[4:5]
	v_fma_f64 v[20:21], v[20:21], v[22:23], v[42:43]
	v_add_f64 v[2:3], v[6:7], v[2:3]
	v_mul_f64 v[6:7], v[32:33], v[28:29]
	v_fma_f64 v[8:9], v[32:33], v[26:27], v[8:9]
	v_fma_f64 v[12:13], v[18:19], v[22:23], -v[24:25]
	v_add_f64 v[4:5], v[4:5], v[16:17]
	v_add_f64 v[2:3], v[2:3], v[10:11]
	v_fma_f64 v[6:7], v[30:31], v[26:27], -v[6:7]
	v_mad_u64_u32 v[10:11], null, v1, s18, 0
	s_delay_alu instid0(VALU_DEP_4) | instskip(NEXT) | instid1(VALU_DEP_4)
	v_add_f64 v[4:5], v[4:5], v[20:21]
	v_add_f64 v[2:3], v[2:3], v[12:13]
	s_delay_alu instid0(VALU_DEP_2) | instskip(NEXT) | instid1(VALU_DEP_2)
	v_add_f64 v[4:5], v[4:5], v[8:9]
	v_add_f64 v[2:3], v[2:3], v[6:7]
	s_delay_alu instid0(VALU_DEP_2) | instskip(SKIP_1) | instid1(VALU_DEP_2)
	v_mul_f64 v[6:7], s[4:5], v[4:5]
	v_mul_f64 v[8:9], s[6:7], v[4:5]
	v_fma_f64 v[4:5], s[6:7], v[2:3], v[6:7]
	s_delay_alu instid0(VALU_DEP_2) | instskip(SKIP_4) | instid1(VALU_DEP_1)
	v_fma_f64 v[2:3], s[4:5], v[2:3], -v[8:9]
	v_mov_b32_e32 v6, v11
	s_mul_hi_u32 s4, s3, s18
	s_addc_u32 s5, s17, s1
	s_add_i32 s0, s4, s0
	v_mad_u64_u32 v[7:8], null, v1, s19, v[6:7]
	s_add_i32 s1, s0, s10
	s_mul_i32 s0, s3, s18
	s_delay_alu instid0(SALU_CYCLE_1) | instskip(NEXT) | instid1(SALU_CYCLE_1)
	s_lshl_b64 s[0:1], s[0:1], 4
	s_add_u32 s0, s2, s0
	s_delay_alu instid0(VALU_DEP_1) | instskip(SKIP_1) | instid1(VALU_DEP_1)
	v_mov_b32_e32 v11, v7
	s_addc_u32 s1, s5, s1
	v_lshlrev_b64 v[6:7], 4, v[10:11]
	s_delay_alu instid0(VALU_DEP_1) | instskip(NEXT) | instid1(VALU_DEP_2)
	v_add_co_u32 v1, vcc_lo, s0, v6
	v_add_co_ci_u32_e32 v6, vcc_lo, s1, v7, vcc_lo
	s_delay_alu instid0(VALU_DEP_2) | instskip(NEXT) | instid1(VALU_DEP_2)
	v_add_co_u32 v0, vcc_lo, v1, v0
	v_add_co_ci_u32_e32 v1, vcc_lo, 0, v6, vcc_lo
	global_store_b128 v[0:1], v[2:5], off
.LBB136_15:
	s_nop 0
	s_sendmsg sendmsg(MSG_DEALLOC_VGPRS)
	s_endpgm
	.section	.rodata,"a",@progbits
	.p2align	6, 0x0
	.amdhsa_kernel _ZL23rocblas_trmm_lTx_kernelILi16ELb1E19rocblas_complex_numIdEPKS1_S2_S1_Ev13rocblas_fill_17rocblas_diagonal_iiT2_lPT3_llS8_llPT4_lli
		.amdhsa_group_segment_fixed_size 8192
		.amdhsa_private_segment_fixed_size 0
		.amdhsa_kernarg_size 108
		.amdhsa_user_sgpr_count 14
		.amdhsa_user_sgpr_dispatch_ptr 0
		.amdhsa_user_sgpr_queue_ptr 0
		.amdhsa_user_sgpr_kernarg_segment_ptr 1
		.amdhsa_user_sgpr_dispatch_id 0
		.amdhsa_user_sgpr_private_segment_size 0
		.amdhsa_wavefront_size32 1
		.amdhsa_uses_dynamic_stack 0
		.amdhsa_enable_private_segment 0
		.amdhsa_system_sgpr_workgroup_id_x 1
		.amdhsa_system_sgpr_workgroup_id_y 0
		.amdhsa_system_sgpr_workgroup_id_z 1
		.amdhsa_system_sgpr_workgroup_info 0
		.amdhsa_system_vgpr_workitem_id 1
		.amdhsa_next_free_vgpr 45
		.amdhsa_next_free_sgpr 32
		.amdhsa_reserve_vcc 1
		.amdhsa_float_round_mode_32 0
		.amdhsa_float_round_mode_16_64 0
		.amdhsa_float_denorm_mode_32 3
		.amdhsa_float_denorm_mode_16_64 3
		.amdhsa_dx10_clamp 1
		.amdhsa_ieee_mode 1
		.amdhsa_fp16_overflow 0
		.amdhsa_workgroup_processor_mode 1
		.amdhsa_memory_ordered 1
		.amdhsa_forward_progress 0
		.amdhsa_shared_vgpr_count 0
		.amdhsa_exception_fp_ieee_invalid_op 0
		.amdhsa_exception_fp_denorm_src 0
		.amdhsa_exception_fp_ieee_div_zero 0
		.amdhsa_exception_fp_ieee_overflow 0
		.amdhsa_exception_fp_ieee_underflow 0
		.amdhsa_exception_fp_ieee_inexact 0
		.amdhsa_exception_int_div_zero 0
	.end_amdhsa_kernel
	.section	.text._ZL23rocblas_trmm_lTx_kernelILi16ELb1E19rocblas_complex_numIdEPKS1_S2_S1_Ev13rocblas_fill_17rocblas_diagonal_iiT2_lPT3_llS8_llPT4_lli,"axG",@progbits,_ZL23rocblas_trmm_lTx_kernelILi16ELb1E19rocblas_complex_numIdEPKS1_S2_S1_Ev13rocblas_fill_17rocblas_diagonal_iiT2_lPT3_llS8_llPT4_lli,comdat
.Lfunc_end136:
	.size	_ZL23rocblas_trmm_lTx_kernelILi16ELb1E19rocblas_complex_numIdEPKS1_S2_S1_Ev13rocblas_fill_17rocblas_diagonal_iiT2_lPT3_llS8_llPT4_lli, .Lfunc_end136-_ZL23rocblas_trmm_lTx_kernelILi16ELb1E19rocblas_complex_numIdEPKS1_S2_S1_Ev13rocblas_fill_17rocblas_diagonal_iiT2_lPT3_llS8_llPT4_lli
                                        ; -- End function
	.section	.AMDGPU.csdata,"",@progbits
; Kernel info:
; codeLenInByte = 2132
; NumSgprs: 34
; NumVgprs: 45
; ScratchSize: 0
; MemoryBound: 0
; FloatMode: 240
; IeeeMode: 1
; LDSByteSize: 8192 bytes/workgroup (compile time only)
; SGPRBlocks: 4
; VGPRBlocks: 5
; NumSGPRsForWavesPerEU: 34
; NumVGPRsForWavesPerEU: 45
; Occupancy: 16
; WaveLimiterHint : 0
; COMPUTE_PGM_RSRC2:SCRATCH_EN: 0
; COMPUTE_PGM_RSRC2:USER_SGPR: 14
; COMPUTE_PGM_RSRC2:TRAP_HANDLER: 0
; COMPUTE_PGM_RSRC2:TGID_X_EN: 1
; COMPUTE_PGM_RSRC2:TGID_Y_EN: 0
; COMPUTE_PGM_RSRC2:TGID_Z_EN: 1
; COMPUTE_PGM_RSRC2:TIDIG_COMP_CNT: 1
	.section	.text._ZL23rocblas_trmm_lTx_kernelILi16ELb1E19rocblas_complex_numIdES1_KS1_S1_Ev13rocblas_fill_17rocblas_diagonal_iiT2_lPT3_llS7_llPT4_lli,"axG",@progbits,_ZL23rocblas_trmm_lTx_kernelILi16ELb1E19rocblas_complex_numIdES1_KS1_S1_Ev13rocblas_fill_17rocblas_diagonal_iiT2_lPT3_llS7_llPT4_lli,comdat
	.globl	_ZL23rocblas_trmm_lTx_kernelILi16ELb1E19rocblas_complex_numIdES1_KS1_S1_Ev13rocblas_fill_17rocblas_diagonal_iiT2_lPT3_llS7_llPT4_lli ; -- Begin function _ZL23rocblas_trmm_lTx_kernelILi16ELb1E19rocblas_complex_numIdES1_KS1_S1_Ev13rocblas_fill_17rocblas_diagonal_iiT2_lPT3_llS7_llPT4_lli
	.p2align	8
	.type	_ZL23rocblas_trmm_lTx_kernelILi16ELb1E19rocblas_complex_numIdES1_KS1_S1_Ev13rocblas_fill_17rocblas_diagonal_iiT2_lPT3_llS7_llPT4_lli,@function
_ZL23rocblas_trmm_lTx_kernelILi16ELb1E19rocblas_complex_numIdES1_KS1_S1_Ev13rocblas_fill_17rocblas_diagonal_iiT2_lPT3_llS7_llPT4_lli: ; @_ZL23rocblas_trmm_lTx_kernelILi16ELb1E19rocblas_complex_numIdES1_KS1_S1_Ev13rocblas_fill_17rocblas_diagonal_iiT2_lPT3_llS7_llPT4_lli
; %bb.0:
	s_load_b128 s[4:7], s[0:1], 0x10
	s_waitcnt lgkmcnt(0)
	v_cmp_neq_f64_e64 s2, s[4:5], 0
	v_cmp_neq_f64_e64 s3, s[6:7], 0
	s_delay_alu instid0(VALU_DEP_1) | instskip(NEXT) | instid1(SALU_CYCLE_1)
	s_or_b32 s2, s2, s3
	s_and_not1_b32 vcc_lo, exec_lo, s2
	s_cbranch_vccnz .LBB137_15
; %bb.1:
	s_clause 0x1
	s_load_b128 s[8:11], s[0:1], 0x0
	s_load_b512 s[16:31], s[0:1], 0x28
	v_bfe_u32 v1, v0, 10, 10
	s_mov_b32 s36, 0
	s_delay_alu instid0(SALU_CYCLE_1)
	s_mov_b32 s37, s36
	s_mov_b32 s38, s36
	;; [unrolled: 1-line block ×3, first 2 shown]
	v_dual_mov_b32 v5, s36 :: v_dual_and_b32 v4, 0x3ff, v0
	v_dual_mov_b32 v7, s38 :: v_dual_lshlrev_b32 v2, 4, v1
	v_mov_b32_e32 v6, s37
	v_mov_b32_e32 v8, s39
	s_delay_alu instid0(VALU_DEP_4) | instskip(NEXT) | instid1(VALU_DEP_4)
	v_lshlrev_b32_e32 v0, 4, v4
	v_add_lshl_u32 v3, v2, v4, 4
	ds_store_b128 v3, v[5:8]
	ds_store_b128 v3, v[5:8] offset:4096
	s_waitcnt lgkmcnt(0)
	v_cmp_gt_i32_e64 s2, s10, v1
	v_cmp_gt_i32_e32 vcc_lo, s10, v4
	s_barrier
	buffer_gl0_inv
	s_and_b32 s2, s2, vcc_lo
	s_delay_alu instid0(SALU_CYCLE_1)
	s_and_saveexec_b32 s3, s2
	s_cbranch_execz .LBB137_3
; %bb.2:
	v_mad_u64_u32 v[5:6], null, v1, s18, 0
	s_mul_i32 s2, s15, s21
	s_mul_hi_u32 s10, s15, s20
	s_mul_i32 s12, s15, s20
	s_add_i32 s13, s10, s2
	v_add_lshl_u32 v9, v0, v1, 4
	s_lshl_b64 s[12:13], s[12:13], 4
	s_delay_alu instid0(VALU_DEP_2) | instskip(SKIP_2) | instid1(VALU_DEP_1)
	v_mad_u64_u32 v[7:8], null, v1, s19, v[6:7]
	s_add_u32 s2, s16, s12
	s_addc_u32 s10, s17, s13
	v_mov_b32_e32 v6, v7
	s_delay_alu instid0(VALU_DEP_1) | instskip(NEXT) | instid1(VALU_DEP_1)
	v_lshlrev_b64 v[5:6], 4, v[5:6]
	v_add_co_u32 v5, s2, s2, v5
	s_delay_alu instid0(VALU_DEP_1) | instskip(NEXT) | instid1(VALU_DEP_2)
	v_add_co_ci_u32_e64 v6, s2, s10, v6, s2
	v_add_co_u32 v5, s2, v5, v0
	s_delay_alu instid0(VALU_DEP_1)
	v_add_co_ci_u32_e64 v6, s2, 0, v6, s2
	global_load_b128 v[5:8], v[5:6], off
	s_waitcnt vmcnt(0)
	v_xor_b32_e32 v8, 0x80000000, v8
	ds_store_b128 v9, v[5:8]
.LBB137_3:
	s_or_b32 exec_lo, exec_lo, s3
	s_add_i32 s2, s11, -1
	s_delay_alu instid0(SALU_CYCLE_1) | instskip(NEXT) | instid1(SALU_CYCLE_1)
	s_ashr_i32 s3, s2, 31
	s_lshr_b32 s3, s3, 28
	s_delay_alu instid0(SALU_CYCLE_1) | instskip(NEXT) | instid1(SALU_CYCLE_1)
	s_add_i32 s2, s2, s3
	s_and_b32 s3, s2, -16
	s_ashr_i32 s2, s2, 4
	s_sub_i32 s3, s11, s3
	s_cmp_ge_i32 s14, s2
	s_cselect_b32 s2, s3, 16
	s_lshl_b32 s3, s14, 4
	v_cmp_gt_i32_e64 s2, s2, v1
	s_ashr_i32 s10, s3, 31
	s_delay_alu instid0(VALU_DEP_1) | instskip(NEXT) | instid1(SALU_CYCLE_1)
	s_and_b32 s2, vcc_lo, s2
	s_and_saveexec_b32 s11, s2
	s_cbranch_execz .LBB137_5
; %bb.4:
	v_mad_u64_u32 v[5:6], null, v1, s24, 0
	s_mul_i32 s13, s15, s27
	s_mul_hi_u32 s14, s15, s26
	s_mul_i32 s12, s15, s26
	s_add_i32 s13, s14, s13
	s_mul_i32 s16, s3, s25
	s_lshl_b64 s[12:13], s[12:13], 4
	s_delay_alu instid0(VALU_DEP_1)
	v_mad_u64_u32 v[7:8], null, v1, s25, v[6:7]
	s_mul_hi_u32 s14, s3, s24
	s_add_u32 s18, s22, s12
	s_mul_i32 s17, s10, s24
	s_addc_u32 s19, s23, s13
	s_add_i32 s13, s14, s16
	s_mul_i32 s12, s3, s24
	s_delay_alu instid0(VALU_DEP_1) | instskip(SKIP_1) | instid1(SALU_CYCLE_1)
	v_dual_mov_b32 v6, v7 :: v_dual_add_nc_u32 v9, 0x1000, v3
	s_add_i32 s13, s13, s17
	s_lshl_b64 s[12:13], s[12:13], 4
	s_delay_alu instid0(VALU_DEP_1) | instskip(SKIP_2) | instid1(VALU_DEP_1)
	v_lshlrev_b64 v[5:6], 4, v[5:6]
	s_add_u32 s12, s18, s12
	s_addc_u32 s13, s19, s13
	v_add_co_u32 v5, vcc_lo, s12, v5
	s_delay_alu instid0(VALU_DEP_2) | instskip(NEXT) | instid1(VALU_DEP_2)
	v_add_co_ci_u32_e32 v6, vcc_lo, s13, v6, vcc_lo
	v_add_co_u32 v5, vcc_lo, v5, v0
	s_delay_alu instid0(VALU_DEP_2)
	v_add_co_ci_u32_e32 v6, vcc_lo, 0, v6, vcc_lo
	global_load_b128 v[5:8], v[5:6], off
	s_waitcnt vmcnt(0)
	ds_store_2addr_b64 v9, v[5:6], v[7:8] offset1:1
.LBB137_5:
	s_or_b32 exec_lo, exec_lo, s11
	v_cmp_eq_u32_e32 vcc_lo, v1, v4
	s_cmpk_eq_i32 s9, 0x84
	s_cselect_b32 s9, -1, 0
	s_delay_alu instid0(SALU_CYCLE_1) | instskip(NEXT) | instid1(SALU_CYCLE_1)
	s_and_b32 s11, vcc_lo, s9
	s_and_saveexec_b32 s9, s11
	s_cbranch_execz .LBB137_7
; %bb.6:
	v_dual_mov_b32 v5, 0 :: v_dual_mov_b32 v6, 0x3ff00000
	s_delay_alu instid0(VALU_DEP_1)
	v_mov_b32_e32 v7, v5
	v_mov_b32_e32 v8, v5
	ds_store_b128 v3, v[5:8]
.LBB137_7:
	s_or_b32 exec_lo, exec_lo, s9
	s_cmpk_lg_i32 s8, 0x7a
	s_waitcnt lgkmcnt(0)
	s_barrier
	buffer_gl0_inv
	s_cbranch_scc0 .LBB137_9
; %bb.8:
	v_cmp_lt_u32_e32 vcc_lo, v4, v1
	s_and_b32 s8, vcc_lo, exec_lo
	s_cbranch_execz .LBB137_10
	s_branch .LBB137_11
.LBB137_9:
	s_mov_b32 s8, 0
.LBB137_10:
	v_cmp_gt_u32_e32 vcc_lo, v4, v1
	s_and_not1_b32 s8, s8, exec_lo
	s_and_b32 s9, vcc_lo, exec_lo
	s_delay_alu instid0(SALU_CYCLE_1)
	s_or_b32 s8, s8, s9
.LBB137_11:
	s_delay_alu instid0(SALU_CYCLE_1)
	s_and_saveexec_b32 s9, s8
	s_cbranch_execz .LBB137_13
; %bb.12:
	v_mov_b32_e32 v4, 0
	s_delay_alu instid0(VALU_DEP_1)
	v_mov_b32_e32 v5, v4
	v_mov_b32_e32 v6, v4
	;; [unrolled: 1-line block ×3, first 2 shown]
	ds_store_b128 v3, v[4:7]
.LBB137_13:
	s_or_b32 exec_lo, exec_lo, s9
	s_waitcnt lgkmcnt(0)
	s_barrier
	buffer_gl0_inv
	s_and_saveexec_b32 s8, s2
	s_cbranch_execz .LBB137_15
; %bb.14:
	v_lshlrev_b32_e32 v44, 4, v2
	s_load_b64 s[0:1], s[0:1], 0x68
	s_mul_i32 s10, s10, s30
	ds_load_b128 v[2:5], v44 offset:4096
	ds_load_b128 v[6:9], v0
	ds_load_b128 v[10:13], v0 offset:256
	ds_load_b128 v[14:17], v44 offset:4112
	s_waitcnt lgkmcnt(0)
	s_mul_i32 s1, s15, s1
	s_mul_hi_u32 s2, s15, s0
	v_mul_f64 v[18:19], v[2:3], v[8:9]
	v_mul_f64 v[8:9], v[4:5], v[8:9]
	;; [unrolled: 1-line block ×4, first 2 shown]
	s_add_i32 s1, s2, s1
	s_mul_i32 s0, s15, s0
	s_delay_alu instid0(SALU_CYCLE_1) | instskip(NEXT) | instid1(SALU_CYCLE_1)
	s_lshl_b64 s[0:1], s[0:1], 4
	s_add_u32 s2, s28, s0
	s_mul_i32 s0, s3, s31
	s_delay_alu instid0(VALU_DEP_4)
	v_fma_f64 v[4:5], v[4:5], v[6:7], v[18:19]
	ds_load_b128 v[18:21], v44 offset:4128
	ds_load_b128 v[22:25], v0 offset:512
	;; [unrolled: 1-line block ×4, first 2 shown]
	v_fma_f64 v[16:17], v[16:17], v[10:11], v[34:35]
	v_fma_f64 v[2:3], v[2:3], v[6:7], -v[8:9]
	s_waitcnt lgkmcnt(2)
	v_mul_f64 v[36:37], v[18:19], v[24:25]
	v_mul_f64 v[24:25], v[20:21], v[24:25]
	s_waitcnt lgkmcnt(0)
	v_mul_f64 v[34:35], v[30:31], v[28:29]
	v_mul_f64 v[28:29], v[32:33], v[28:29]
	v_add_f64 v[4:5], v[4:5], 0
	v_add_f64 v[38:39], v[2:3], 0
	v_fma_f64 v[20:21], v[20:21], v[22:23], v[36:37]
	v_fma_f64 v[36:37], v[14:15], v[10:11], -v[12:13]
	v_fma_f64 v[32:33], v[32:33], v[26:27], v[34:35]
	v_fma_f64 v[18:19], v[18:19], v[22:23], -v[24:25]
	v_add_f64 v[40:41], v[4:5], v[16:17]
	ds_load_b128 v[2:5], v44 offset:4160
	ds_load_b128 v[6:9], v0 offset:1024
	ds_load_b128 v[10:13], v0 offset:1280
	ds_load_b128 v[14:17], v44 offset:4176
	s_waitcnt lgkmcnt(2)
	v_mul_f64 v[42:43], v[2:3], v[8:9]
	v_add_f64 v[22:23], v[38:39], v[36:37]
	s_waitcnt lgkmcnt(0)
	v_mul_f64 v[34:35], v[14:15], v[12:13]
	v_mul_f64 v[8:9], v[4:5], v[8:9]
	v_fma_f64 v[36:37], v[30:31], v[26:27], -v[28:29]
	v_mul_f64 v[12:13], v[16:17], v[12:13]
	v_add_f64 v[20:21], v[40:41], v[20:21]
	v_fma_f64 v[4:5], v[4:5], v[6:7], v[42:43]
	v_add_f64 v[38:39], v[22:23], v[18:19]
	v_fma_f64 v[16:17], v[16:17], v[10:11], v[34:35]
	v_fma_f64 v[2:3], v[2:3], v[6:7], -v[8:9]
	v_add_f64 v[40:41], v[20:21], v[32:33]
	ds_load_b128 v[18:21], v44 offset:4192
	ds_load_b128 v[22:25], v0 offset:1536
	ds_load_b128 v[26:29], v0 offset:1792
	ds_load_b128 v[30:33], v44 offset:4208
	s_waitcnt lgkmcnt(2)
	v_mul_f64 v[42:43], v[18:19], v[24:25]
	v_add_f64 v[6:7], v[38:39], v[36:37]
	s_waitcnt lgkmcnt(0)
	v_mul_f64 v[34:35], v[30:31], v[28:29]
	v_mul_f64 v[24:25], v[20:21], v[24:25]
	v_fma_f64 v[36:37], v[14:15], v[10:11], -v[12:13]
	v_mul_f64 v[28:29], v[32:33], v[28:29]
	v_add_f64 v[4:5], v[40:41], v[4:5]
	v_fma_f64 v[20:21], v[20:21], v[22:23], v[42:43]
	v_add_f64 v[38:39], v[6:7], v[2:3]
	;; [unrolled: 18-line block ×5, first 2 shown]
	v_fma_f64 v[16:17], v[16:17], v[10:11], v[34:35]
	v_fma_f64 v[2:3], v[2:3], v[6:7], -v[8:9]
	v_fma_f64 v[10:11], v[14:15], v[10:11], -v[12:13]
	v_add_f64 v[40:41], v[20:21], v[32:33]
	ds_load_b128 v[18:21], v44 offset:4320
	ds_load_b128 v[22:25], v0 offset:3584
	ds_load_b128 v[26:29], v0 offset:3840
	ds_load_b128 v[30:33], v44 offset:4336
	s_waitcnt lgkmcnt(2)
	v_mul_f64 v[42:43], v[18:19], v[24:25]
	v_add_f64 v[6:7], v[38:39], v[36:37]
	s_waitcnt lgkmcnt(0)
	v_mul_f64 v[8:9], v[30:31], v[28:29]
	v_mul_f64 v[24:25], v[20:21], v[24:25]
	v_add_f64 v[4:5], v[40:41], v[4:5]
	v_fma_f64 v[20:21], v[20:21], v[22:23], v[42:43]
	v_add_f64 v[2:3], v[6:7], v[2:3]
	v_mul_f64 v[6:7], v[32:33], v[28:29]
	v_fma_f64 v[8:9], v[32:33], v[26:27], v[8:9]
	v_fma_f64 v[12:13], v[18:19], v[22:23], -v[24:25]
	v_add_f64 v[4:5], v[4:5], v[16:17]
	v_add_f64 v[2:3], v[2:3], v[10:11]
	v_fma_f64 v[6:7], v[30:31], v[26:27], -v[6:7]
	v_mad_u64_u32 v[10:11], null, v1, s30, 0
	s_delay_alu instid0(VALU_DEP_4) | instskip(NEXT) | instid1(VALU_DEP_4)
	v_add_f64 v[4:5], v[4:5], v[20:21]
	v_add_f64 v[2:3], v[2:3], v[12:13]
	s_delay_alu instid0(VALU_DEP_2) | instskip(NEXT) | instid1(VALU_DEP_2)
	v_add_f64 v[4:5], v[4:5], v[8:9]
	v_add_f64 v[2:3], v[2:3], v[6:7]
	s_delay_alu instid0(VALU_DEP_2) | instskip(SKIP_1) | instid1(VALU_DEP_2)
	v_mul_f64 v[6:7], s[4:5], v[4:5]
	v_mul_f64 v[8:9], s[6:7], v[4:5]
	v_fma_f64 v[4:5], s[6:7], v[2:3], v[6:7]
	s_delay_alu instid0(VALU_DEP_2) | instskip(SKIP_4) | instid1(VALU_DEP_1)
	v_fma_f64 v[2:3], s[4:5], v[2:3], -v[8:9]
	v_mov_b32_e32 v6, v11
	s_mul_hi_u32 s4, s3, s30
	s_addc_u32 s5, s29, s1
	s_add_i32 s0, s4, s0
	v_mad_u64_u32 v[7:8], null, v1, s31, v[6:7]
	s_add_i32 s1, s0, s10
	s_mul_i32 s0, s3, s30
	s_delay_alu instid0(SALU_CYCLE_1) | instskip(NEXT) | instid1(SALU_CYCLE_1)
	s_lshl_b64 s[0:1], s[0:1], 4
	s_add_u32 s0, s2, s0
	s_delay_alu instid0(VALU_DEP_1) | instskip(SKIP_1) | instid1(VALU_DEP_1)
	v_mov_b32_e32 v11, v7
	s_addc_u32 s1, s5, s1
	v_lshlrev_b64 v[6:7], 4, v[10:11]
	s_delay_alu instid0(VALU_DEP_1) | instskip(NEXT) | instid1(VALU_DEP_2)
	v_add_co_u32 v1, vcc_lo, s0, v6
	v_add_co_ci_u32_e32 v6, vcc_lo, s1, v7, vcc_lo
	s_delay_alu instid0(VALU_DEP_2) | instskip(NEXT) | instid1(VALU_DEP_2)
	v_add_co_u32 v0, vcc_lo, v1, v0
	v_add_co_ci_u32_e32 v1, vcc_lo, 0, v6, vcc_lo
	global_store_b128 v[0:1], v[2:5], off
.LBB137_15:
	s_nop 0
	s_sendmsg sendmsg(MSG_DEALLOC_VGPRS)
	s_endpgm
	.section	.rodata,"a",@progbits
	.p2align	6, 0x0
	.amdhsa_kernel _ZL23rocblas_trmm_lTx_kernelILi16ELb1E19rocblas_complex_numIdES1_KS1_S1_Ev13rocblas_fill_17rocblas_diagonal_iiT2_lPT3_llS7_llPT4_lli
		.amdhsa_group_segment_fixed_size 8192
		.amdhsa_private_segment_fixed_size 0
		.amdhsa_kernarg_size 116
		.amdhsa_user_sgpr_count 14
		.amdhsa_user_sgpr_dispatch_ptr 0
		.amdhsa_user_sgpr_queue_ptr 0
		.amdhsa_user_sgpr_kernarg_segment_ptr 1
		.amdhsa_user_sgpr_dispatch_id 0
		.amdhsa_user_sgpr_private_segment_size 0
		.amdhsa_wavefront_size32 1
		.amdhsa_uses_dynamic_stack 0
		.amdhsa_enable_private_segment 0
		.amdhsa_system_sgpr_workgroup_id_x 1
		.amdhsa_system_sgpr_workgroup_id_y 0
		.amdhsa_system_sgpr_workgroup_id_z 1
		.amdhsa_system_sgpr_workgroup_info 0
		.amdhsa_system_vgpr_workitem_id 1
		.amdhsa_next_free_vgpr 45
		.amdhsa_next_free_sgpr 40
		.amdhsa_reserve_vcc 1
		.amdhsa_float_round_mode_32 0
		.amdhsa_float_round_mode_16_64 0
		.amdhsa_float_denorm_mode_32 3
		.amdhsa_float_denorm_mode_16_64 3
		.amdhsa_dx10_clamp 1
		.amdhsa_ieee_mode 1
		.amdhsa_fp16_overflow 0
		.amdhsa_workgroup_processor_mode 1
		.amdhsa_memory_ordered 1
		.amdhsa_forward_progress 0
		.amdhsa_shared_vgpr_count 0
		.amdhsa_exception_fp_ieee_invalid_op 0
		.amdhsa_exception_fp_denorm_src 0
		.amdhsa_exception_fp_ieee_div_zero 0
		.amdhsa_exception_fp_ieee_overflow 0
		.amdhsa_exception_fp_ieee_underflow 0
		.amdhsa_exception_fp_ieee_inexact 0
		.amdhsa_exception_int_div_zero 0
	.end_amdhsa_kernel
	.section	.text._ZL23rocblas_trmm_lTx_kernelILi16ELb1E19rocblas_complex_numIdES1_KS1_S1_Ev13rocblas_fill_17rocblas_diagonal_iiT2_lPT3_llS7_llPT4_lli,"axG",@progbits,_ZL23rocblas_trmm_lTx_kernelILi16ELb1E19rocblas_complex_numIdES1_KS1_S1_Ev13rocblas_fill_17rocblas_diagonal_iiT2_lPT3_llS7_llPT4_lli,comdat
.Lfunc_end137:
	.size	_ZL23rocblas_trmm_lTx_kernelILi16ELb1E19rocblas_complex_numIdES1_KS1_S1_Ev13rocblas_fill_17rocblas_diagonal_iiT2_lPT3_llS7_llPT4_lli, .Lfunc_end137-_ZL23rocblas_trmm_lTx_kernelILi16ELb1E19rocblas_complex_numIdES1_KS1_S1_Ev13rocblas_fill_17rocblas_diagonal_iiT2_lPT3_llS7_llPT4_lli
                                        ; -- End function
	.section	.AMDGPU.csdata,"",@progbits
; Kernel info:
; codeLenInByte = 2088
; NumSgprs: 42
; NumVgprs: 45
; ScratchSize: 0
; MemoryBound: 0
; FloatMode: 240
; IeeeMode: 1
; LDSByteSize: 8192 bytes/workgroup (compile time only)
; SGPRBlocks: 5
; VGPRBlocks: 5
; NumSGPRsForWavesPerEU: 42
; NumVGPRsForWavesPerEU: 45
; Occupancy: 16
; WaveLimiterHint : 0
; COMPUTE_PGM_RSRC2:SCRATCH_EN: 0
; COMPUTE_PGM_RSRC2:USER_SGPR: 14
; COMPUTE_PGM_RSRC2:TRAP_HANDLER: 0
; COMPUTE_PGM_RSRC2:TGID_X_EN: 1
; COMPUTE_PGM_RSRC2:TGID_Y_EN: 0
; COMPUTE_PGM_RSRC2:TGID_Z_EN: 1
; COMPUTE_PGM_RSRC2:TIDIG_COMP_CNT: 1
	.section	.text._ZL23rocblas_trmm_rNx_kernelILi16E19rocblas_complex_numIdEPKS1_S2_S1_Ev13rocblas_fill_17rocblas_diagonal_iiT1_lPT2_llS8_llPT3_lli,"axG",@progbits,_ZL23rocblas_trmm_rNx_kernelILi16E19rocblas_complex_numIdEPKS1_S2_S1_Ev13rocblas_fill_17rocblas_diagonal_iiT1_lPT2_llS8_llPT3_lli,comdat
	.globl	_ZL23rocblas_trmm_rNx_kernelILi16E19rocblas_complex_numIdEPKS1_S2_S1_Ev13rocblas_fill_17rocblas_diagonal_iiT1_lPT2_llS8_llPT3_lli ; -- Begin function _ZL23rocblas_trmm_rNx_kernelILi16E19rocblas_complex_numIdEPKS1_S2_S1_Ev13rocblas_fill_17rocblas_diagonal_iiT1_lPT2_llS8_llPT3_lli
	.p2align	8
	.type	_ZL23rocblas_trmm_rNx_kernelILi16E19rocblas_complex_numIdEPKS1_S2_S1_Ev13rocblas_fill_17rocblas_diagonal_iiT1_lPT2_llS8_llPT3_lli,@function
_ZL23rocblas_trmm_rNx_kernelILi16E19rocblas_complex_numIdEPKS1_S2_S1_Ev13rocblas_fill_17rocblas_diagonal_iiT1_lPT2_llS8_llPT3_lli: ; @_ZL23rocblas_trmm_rNx_kernelILi16E19rocblas_complex_numIdEPKS1_S2_S1_Ev13rocblas_fill_17rocblas_diagonal_iiT1_lPT2_llS8_llPT3_lli
; %bb.0:
	s_load_b512 s[16:31], s[0:1], 0x10
	s_waitcnt lgkmcnt(0)
	s_mul_i32 s3, s15, s19
	s_mul_hi_u32 s4, s15, s18
	s_mul_i32 s2, s15, s18
	s_add_i32 s3, s4, s3
	s_delay_alu instid0(SALU_CYCLE_1) | instskip(NEXT) | instid1(SALU_CYCLE_1)
	s_lshl_b64 s[2:3], s[2:3], 4
	s_add_u32 s2, s16, s2
	s_addc_u32 s3, s17, s3
	s_load_b128 s[4:7], s[2:3], 0x0
	s_waitcnt lgkmcnt(0)
	v_cmp_neq_f64_e64 s2, s[4:5], 0
	v_cmp_neq_f64_e64 s3, s[6:7], 0
	s_delay_alu instid0(VALU_DEP_1) | instskip(NEXT) | instid1(SALU_CYCLE_1)
	s_or_b32 s2, s2, s3
	s_and_not1_b32 vcc_lo, exec_lo, s2
	s_cbranch_vccnz .LBB138_15
; %bb.1:
	s_load_b128 s[8:11], s[0:1], 0x0
	v_bfe_u32 v1, v0, 10, 10
	s_mov_b32 s16, 0
	s_delay_alu instid0(SALU_CYCLE_1)
	s_mov_b32 s17, s16
	s_mov_b32 s18, s16
	;; [unrolled: 1-line block ×3, first 2 shown]
	v_dual_mov_b32 v5, s16 :: v_dual_and_b32 v4, 0x3ff, v0
	v_dual_mov_b32 v7, s18 :: v_dual_lshlrev_b32 v2, 4, v1
	v_mov_b32_e32 v6, s17
	v_mov_b32_e32 v8, s19
	s_delay_alu instid0(VALU_DEP_4) | instskip(NEXT) | instid1(VALU_DEP_4)
	v_lshlrev_b32_e32 v0, 4, v4
	v_add_lshl_u32 v3, v2, v4, 4
	ds_store_b128 v3, v[5:8]
	ds_store_b128 v3, v[5:8] offset:4096
	s_waitcnt lgkmcnt(0)
	v_cmp_gt_i32_e32 vcc_lo, s11, v1
	v_cmp_gt_i32_e64 s2, s11, v4
	s_delay_alu instid0(VALU_DEP_1) | instskip(NEXT) | instid1(SALU_CYCLE_1)
	s_and_b32 s2, vcc_lo, s2
	s_and_saveexec_b32 s3, s2
	s_cbranch_execz .LBB138_3
; %bb.2:
	v_mad_u64_u32 v[5:6], null, v1, s22, 0
	s_mul_i32 s2, s15, s25
	s_mul_hi_u32 s11, s15, s24
	s_mul_i32 s12, s15, s24
	s_add_i32 s13, s11, s2
	s_delay_alu instid0(SALU_CYCLE_1) | instskip(NEXT) | instid1(VALU_DEP_1)
	s_lshl_b64 s[12:13], s[12:13], 4
	v_mad_u64_u32 v[7:8], null, v1, s23, v[6:7]
	s_add_u32 s2, s20, s12
	s_addc_u32 s11, s21, s13
	s_delay_alu instid0(VALU_DEP_1) | instskip(NEXT) | instid1(VALU_DEP_1)
	v_mov_b32_e32 v6, v7
	v_lshlrev_b64 v[5:6], 4, v[5:6]
	s_delay_alu instid0(VALU_DEP_1) | instskip(NEXT) | instid1(VALU_DEP_1)
	v_add_co_u32 v5, s2, s2, v5
	v_add_co_ci_u32_e64 v6, s2, s11, v6, s2
	s_delay_alu instid0(VALU_DEP_2) | instskip(NEXT) | instid1(VALU_DEP_1)
	v_add_co_u32 v5, s2, v5, v0
	v_add_co_ci_u32_e64 v6, s2, 0, v6, s2
	global_load_b128 v[5:8], v[5:6], off
	s_waitcnt vmcnt(0)
	ds_store_2addr_b64 v3, v[5:6], v[7:8] offset1:1
.LBB138_3:
	s_or_b32 exec_lo, exec_lo, s3
	s_add_i32 s2, s10, -1
	s_delay_alu instid0(SALU_CYCLE_1) | instskip(NEXT) | instid1(SALU_CYCLE_1)
	s_ashr_i32 s3, s2, 31
	s_lshr_b32 s3, s3, 28
	s_delay_alu instid0(SALU_CYCLE_1) | instskip(NEXT) | instid1(SALU_CYCLE_1)
	s_add_i32 s2, s2, s3
	s_and_b32 s3, s2, -16
	s_ashr_i32 s2, s2, 4
	s_sub_i32 s3, s10, s3
	s_cmp_ge_i32 s14, s2
	s_cselect_b32 s2, s3, 16
	s_lshl_b32 s10, s14, 4
	v_cmp_gt_i32_e64 s2, s2, v4
	s_ashr_i32 s11, s10, 31
	s_delay_alu instid0(VALU_DEP_1) | instskip(NEXT) | instid1(SALU_CYCLE_1)
	s_and_b32 s2, vcc_lo, s2
	s_and_saveexec_b32 s3, s2
	s_cbranch_execz .LBB138_5
; %bb.4:
	v_mad_u64_u32 v[5:6], null, v1, s28, 0
	s_mul_i32 s13, s15, s31
	s_mul_hi_u32 s14, s15, s30
	s_mul_i32 s12, s15, s30
	s_add_i32 s13, s14, s13
	v_add_nc_u32_e32 v9, 0x1000, v3
	s_lshl_b64 s[12:13], s[12:13], 4
	s_delay_alu instid0(VALU_DEP_2) | instskip(SKIP_3) | instid1(SALU_CYCLE_1)
	v_mad_u64_u32 v[7:8], null, v1, s29, v[6:7]
	s_add_u32 s14, s26, s12
	s_addc_u32 s16, s27, s13
	s_lshl_b64 s[12:13], s[10:11], 4
	s_add_u32 s12, s14, s12
	s_addc_u32 s13, s16, s13
	s_delay_alu instid0(VALU_DEP_1) | instskip(NEXT) | instid1(VALU_DEP_1)
	v_mov_b32_e32 v6, v7
	v_lshlrev_b64 v[5:6], 4, v[5:6]
	s_delay_alu instid0(VALU_DEP_1) | instskip(NEXT) | instid1(VALU_DEP_2)
	v_add_co_u32 v5, vcc_lo, s12, v5
	v_add_co_ci_u32_e32 v6, vcc_lo, s13, v6, vcc_lo
	s_delay_alu instid0(VALU_DEP_2) | instskip(NEXT) | instid1(VALU_DEP_2)
	v_add_co_u32 v5, vcc_lo, v5, v0
	v_add_co_ci_u32_e32 v6, vcc_lo, 0, v6, vcc_lo
	global_load_b128 v[5:8], v[5:6], off
	s_waitcnt vmcnt(0)
	ds_store_2addr_b64 v9, v[5:6], v[7:8] offset1:1
.LBB138_5:
	s_or_b32 exec_lo, exec_lo, s3
	v_cmp_eq_u32_e32 vcc_lo, v1, v4
	s_cmpk_eq_i32 s9, 0x84
	s_cselect_b32 s3, -1, 0
	s_delay_alu instid0(SALU_CYCLE_1) | instskip(NEXT) | instid1(SALU_CYCLE_1)
	s_and_b32 s9, vcc_lo, s3
	s_and_saveexec_b32 s3, s9
	s_cbranch_execz .LBB138_7
; %bb.6:
	v_dual_mov_b32 v5, 0 :: v_dual_mov_b32 v6, 0x3ff00000
	s_delay_alu instid0(VALU_DEP_1)
	v_mov_b32_e32 v7, v5
	v_mov_b32_e32 v8, v5
	ds_store_b128 v3, v[5:8]
.LBB138_7:
	s_or_b32 exec_lo, exec_lo, s3
	s_cmpk_lg_i32 s8, 0x79
	s_cbranch_scc0 .LBB138_9
; %bb.8:
	v_cmp_lt_u32_e32 vcc_lo, v4, v1
	s_and_b32 s3, vcc_lo, exec_lo
	s_cbranch_execz .LBB138_10
	s_branch .LBB138_11
.LBB138_9:
	s_mov_b32 s3, 0
.LBB138_10:
	v_cmp_gt_u32_e32 vcc_lo, v4, v1
	s_and_not1_b32 s3, s3, exec_lo
	s_and_b32 s8, vcc_lo, exec_lo
	s_delay_alu instid0(SALU_CYCLE_1)
	s_or_b32 s3, s3, s8
.LBB138_11:
	s_delay_alu instid0(SALU_CYCLE_1)
	s_and_saveexec_b32 s8, s3
	s_cbranch_execz .LBB138_13
; %bb.12:
	v_mov_b32_e32 v4, 0
	s_delay_alu instid0(VALU_DEP_1)
	v_mov_b32_e32 v5, v4
	v_mov_b32_e32 v6, v4
	;; [unrolled: 1-line block ×3, first 2 shown]
	ds_store_b128 v3, v[4:7]
.LBB138_13:
	s_or_b32 exec_lo, exec_lo, s8
	s_waitcnt lgkmcnt(0)
	s_barrier
	buffer_gl0_inv
	s_and_saveexec_b32 s3, s2
	s_cbranch_execz .LBB138_15
; %bb.14:
	v_lshlrev_b32_e32 v44, 4, v2
	ds_load_b128 v[2:5], v44
	ds_load_b128 v[6:9], v0 offset:4096
	ds_load_b128 v[10:13], v0 offset:4352
	ds_load_b128 v[14:17], v44 offset:16
	s_waitcnt lgkmcnt(2)
	v_mul_f64 v[18:19], v[2:3], v[8:9]
	v_mul_f64 v[8:9], v[4:5], v[8:9]
	s_waitcnt lgkmcnt(0)
	v_mul_f64 v[34:35], v[14:15], v[12:13]
	v_mul_f64 v[12:13], v[16:17], v[12:13]
	s_delay_alu instid0(VALU_DEP_4)
	v_fma_f64 v[4:5], v[4:5], v[6:7], v[18:19]
	ds_load_b128 v[18:21], v44 offset:32
	ds_load_b128 v[22:25], v0 offset:4608
	;; [unrolled: 1-line block ×4, first 2 shown]
	v_fma_f64 v[16:17], v[16:17], v[10:11], v[34:35]
	v_fma_f64 v[2:3], v[2:3], v[6:7], -v[8:9]
	s_waitcnt lgkmcnt(2)
	v_mul_f64 v[36:37], v[18:19], v[24:25]
	v_mul_f64 v[24:25], v[20:21], v[24:25]
	s_waitcnt lgkmcnt(0)
	v_mul_f64 v[34:35], v[30:31], v[28:29]
	v_mul_f64 v[28:29], v[32:33], v[28:29]
	v_add_f64 v[4:5], v[4:5], 0
	v_add_f64 v[38:39], v[2:3], 0
	v_fma_f64 v[20:21], v[20:21], v[22:23], v[36:37]
	v_fma_f64 v[36:37], v[14:15], v[10:11], -v[12:13]
	v_fma_f64 v[32:33], v[32:33], v[26:27], v[34:35]
	v_fma_f64 v[18:19], v[18:19], v[22:23], -v[24:25]
	v_add_f64 v[40:41], v[4:5], v[16:17]
	ds_load_b128 v[2:5], v44 offset:64
	ds_load_b128 v[6:9], v0 offset:5120
	ds_load_b128 v[10:13], v0 offset:5376
	ds_load_b128 v[14:17], v44 offset:80
	s_waitcnt lgkmcnt(2)
	v_mul_f64 v[42:43], v[2:3], v[8:9]
	v_add_f64 v[22:23], v[38:39], v[36:37]
	s_waitcnt lgkmcnt(0)
	v_mul_f64 v[34:35], v[14:15], v[12:13]
	v_mul_f64 v[8:9], v[4:5], v[8:9]
	v_fma_f64 v[36:37], v[30:31], v[26:27], -v[28:29]
	v_mul_f64 v[12:13], v[16:17], v[12:13]
	v_add_f64 v[20:21], v[40:41], v[20:21]
	v_fma_f64 v[4:5], v[4:5], v[6:7], v[42:43]
	v_add_f64 v[38:39], v[22:23], v[18:19]
	v_fma_f64 v[16:17], v[16:17], v[10:11], v[34:35]
	v_fma_f64 v[2:3], v[2:3], v[6:7], -v[8:9]
	v_add_f64 v[40:41], v[20:21], v[32:33]
	ds_load_b128 v[18:21], v44 offset:96
	ds_load_b128 v[22:25], v0 offset:5632
	ds_load_b128 v[26:29], v0 offset:5888
	ds_load_b128 v[30:33], v44 offset:112
	s_waitcnt lgkmcnt(2)
	v_mul_f64 v[42:43], v[18:19], v[24:25]
	v_add_f64 v[6:7], v[38:39], v[36:37]
	s_waitcnt lgkmcnt(0)
	v_mul_f64 v[34:35], v[30:31], v[28:29]
	v_mul_f64 v[24:25], v[20:21], v[24:25]
	v_fma_f64 v[36:37], v[14:15], v[10:11], -v[12:13]
	v_mul_f64 v[28:29], v[32:33], v[28:29]
	v_add_f64 v[4:5], v[40:41], v[4:5]
	v_fma_f64 v[20:21], v[20:21], v[22:23], v[42:43]
	v_add_f64 v[38:39], v[6:7], v[2:3]
	;; [unrolled: 18-line block ×5, first 2 shown]
	v_fma_f64 v[16:17], v[16:17], v[10:11], v[34:35]
	v_fma_f64 v[2:3], v[2:3], v[6:7], -v[8:9]
	v_fma_f64 v[10:11], v[14:15], v[10:11], -v[12:13]
	v_add_f64 v[40:41], v[20:21], v[32:33]
	ds_load_b128 v[18:21], v44 offset:224
	ds_load_b128 v[22:25], v0 offset:7680
	;; [unrolled: 1-line block ×4, first 2 shown]
	s_clause 0x1
	s_load_b128 s[16:19], s[0:1], 0x50
	s_load_b64 s[0:1], s[0:1], 0x60
	s_waitcnt lgkmcnt(0)
	v_mul_f64 v[42:43], v[18:19], v[24:25]
	v_add_f64 v[6:7], v[38:39], v[36:37]
	v_mul_f64 v[8:9], v[30:31], v[28:29]
	v_mul_f64 v[24:25], v[20:21], v[24:25]
	s_mul_i32 s1, s15, s1
	s_mul_hi_u32 s2, s15, s0
	s_mul_i32 s0, s15, s0
	s_add_i32 s1, s2, s1
	s_delay_alu instid0(SALU_CYCLE_1) | instskip(NEXT) | instid1(SALU_CYCLE_1)
	s_lshl_b64 s[0:1], s[0:1], 4
	s_add_u32 s2, s16, s0
	s_addc_u32 s3, s17, s1
	s_lshl_b64 s[0:1], s[10:11], 4
	s_delay_alu instid0(SALU_CYCLE_1)
	s_add_u32 s0, s2, s0
	s_addc_u32 s1, s3, s1
	v_add_f64 v[4:5], v[40:41], v[4:5]
	v_fma_f64 v[20:21], v[20:21], v[22:23], v[42:43]
	v_add_f64 v[2:3], v[6:7], v[2:3]
	v_mul_f64 v[6:7], v[32:33], v[28:29]
	v_fma_f64 v[8:9], v[32:33], v[26:27], v[8:9]
	v_fma_f64 v[12:13], v[18:19], v[22:23], -v[24:25]
	v_add_f64 v[4:5], v[4:5], v[16:17]
	v_add_f64 v[2:3], v[2:3], v[10:11]
	v_fma_f64 v[6:7], v[30:31], v[26:27], -v[6:7]
	v_mad_u64_u32 v[10:11], null, v1, s18, 0
	s_delay_alu instid0(VALU_DEP_4) | instskip(NEXT) | instid1(VALU_DEP_4)
	v_add_f64 v[4:5], v[4:5], v[20:21]
	v_add_f64 v[2:3], v[2:3], v[12:13]
	s_delay_alu instid0(VALU_DEP_2) | instskip(NEXT) | instid1(VALU_DEP_2)
	v_add_f64 v[4:5], v[4:5], v[8:9]
	v_add_f64 v[2:3], v[2:3], v[6:7]
	s_delay_alu instid0(VALU_DEP_2) | instskip(SKIP_1) | instid1(VALU_DEP_2)
	v_mul_f64 v[6:7], s[4:5], v[4:5]
	v_mul_f64 v[8:9], s[6:7], v[4:5]
	v_fma_f64 v[4:5], s[6:7], v[2:3], v[6:7]
	s_delay_alu instid0(VALU_DEP_2) | instskip(SKIP_1) | instid1(VALU_DEP_1)
	v_fma_f64 v[2:3], s[4:5], v[2:3], -v[8:9]
	v_mov_b32_e32 v6, v11
	v_mad_u64_u32 v[7:8], null, v1, s19, v[6:7]
	s_delay_alu instid0(VALU_DEP_1) | instskip(NEXT) | instid1(VALU_DEP_1)
	v_mov_b32_e32 v11, v7
	v_lshlrev_b64 v[6:7], 4, v[10:11]
	s_delay_alu instid0(VALU_DEP_1) | instskip(NEXT) | instid1(VALU_DEP_2)
	v_add_co_u32 v1, vcc_lo, s0, v6
	v_add_co_ci_u32_e32 v6, vcc_lo, s1, v7, vcc_lo
	s_delay_alu instid0(VALU_DEP_2) | instskip(NEXT) | instid1(VALU_DEP_2)
	v_add_co_u32 v0, vcc_lo, v1, v0
	v_add_co_ci_u32_e32 v1, vcc_lo, 0, v6, vcc_lo
	global_store_b128 v[0:1], v[2:5], off
.LBB138_15:
	s_nop 0
	s_sendmsg sendmsg(MSG_DEALLOC_VGPRS)
	s_endpgm
	.section	.rodata,"a",@progbits
	.p2align	6, 0x0
	.amdhsa_kernel _ZL23rocblas_trmm_rNx_kernelILi16E19rocblas_complex_numIdEPKS1_S2_S1_Ev13rocblas_fill_17rocblas_diagonal_iiT1_lPT2_llS8_llPT3_lli
		.amdhsa_group_segment_fixed_size 8192
		.amdhsa_private_segment_fixed_size 0
		.amdhsa_kernarg_size 108
		.amdhsa_user_sgpr_count 14
		.amdhsa_user_sgpr_dispatch_ptr 0
		.amdhsa_user_sgpr_queue_ptr 0
		.amdhsa_user_sgpr_kernarg_segment_ptr 1
		.amdhsa_user_sgpr_dispatch_id 0
		.amdhsa_user_sgpr_private_segment_size 0
		.amdhsa_wavefront_size32 1
		.amdhsa_uses_dynamic_stack 0
		.amdhsa_enable_private_segment 0
		.amdhsa_system_sgpr_workgroup_id_x 1
		.amdhsa_system_sgpr_workgroup_id_y 0
		.amdhsa_system_sgpr_workgroup_id_z 1
		.amdhsa_system_sgpr_workgroup_info 0
		.amdhsa_system_vgpr_workitem_id 1
		.amdhsa_next_free_vgpr 45
		.amdhsa_next_free_sgpr 32
		.amdhsa_reserve_vcc 1
		.amdhsa_float_round_mode_32 0
		.amdhsa_float_round_mode_16_64 0
		.amdhsa_float_denorm_mode_32 3
		.amdhsa_float_denorm_mode_16_64 3
		.amdhsa_dx10_clamp 1
		.amdhsa_ieee_mode 1
		.amdhsa_fp16_overflow 0
		.amdhsa_workgroup_processor_mode 1
		.amdhsa_memory_ordered 1
		.amdhsa_forward_progress 0
		.amdhsa_shared_vgpr_count 0
		.amdhsa_exception_fp_ieee_invalid_op 0
		.amdhsa_exception_fp_denorm_src 0
		.amdhsa_exception_fp_ieee_div_zero 0
		.amdhsa_exception_fp_ieee_overflow 0
		.amdhsa_exception_fp_ieee_underflow 0
		.amdhsa_exception_fp_ieee_inexact 0
		.amdhsa_exception_int_div_zero 0
	.end_amdhsa_kernel
	.section	.text._ZL23rocblas_trmm_rNx_kernelILi16E19rocblas_complex_numIdEPKS1_S2_S1_Ev13rocblas_fill_17rocblas_diagonal_iiT1_lPT2_llS8_llPT3_lli,"axG",@progbits,_ZL23rocblas_trmm_rNx_kernelILi16E19rocblas_complex_numIdEPKS1_S2_S1_Ev13rocblas_fill_17rocblas_diagonal_iiT1_lPT2_llS8_llPT3_lli,comdat
.Lfunc_end138:
	.size	_ZL23rocblas_trmm_rNx_kernelILi16E19rocblas_complex_numIdEPKS1_S2_S1_Ev13rocblas_fill_17rocblas_diagonal_iiT1_lPT2_llS8_llPT3_lli, .Lfunc_end138-_ZL23rocblas_trmm_rNx_kernelILi16E19rocblas_complex_numIdEPKS1_S2_S1_Ev13rocblas_fill_17rocblas_diagonal_iiT1_lPT2_llS8_llPT3_lli
                                        ; -- End function
	.section	.AMDGPU.csdata,"",@progbits
; Kernel info:
; codeLenInByte = 2036
; NumSgprs: 34
; NumVgprs: 45
; ScratchSize: 0
; MemoryBound: 0
; FloatMode: 240
; IeeeMode: 1
; LDSByteSize: 8192 bytes/workgroup (compile time only)
; SGPRBlocks: 4
; VGPRBlocks: 5
; NumSGPRsForWavesPerEU: 34
; NumVGPRsForWavesPerEU: 45
; Occupancy: 16
; WaveLimiterHint : 0
; COMPUTE_PGM_RSRC2:SCRATCH_EN: 0
; COMPUTE_PGM_RSRC2:USER_SGPR: 14
; COMPUTE_PGM_RSRC2:TRAP_HANDLER: 0
; COMPUTE_PGM_RSRC2:TGID_X_EN: 1
; COMPUTE_PGM_RSRC2:TGID_Y_EN: 0
; COMPUTE_PGM_RSRC2:TGID_Z_EN: 1
; COMPUTE_PGM_RSRC2:TIDIG_COMP_CNT: 1
	.section	.text._ZL23rocblas_trmm_rNx_kernelILi16E19rocblas_complex_numIdES1_KS1_S1_Ev13rocblas_fill_17rocblas_diagonal_iiT1_lPT2_llS7_llPT3_lli,"axG",@progbits,_ZL23rocblas_trmm_rNx_kernelILi16E19rocblas_complex_numIdES1_KS1_S1_Ev13rocblas_fill_17rocblas_diagonal_iiT1_lPT2_llS7_llPT3_lli,comdat
	.globl	_ZL23rocblas_trmm_rNx_kernelILi16E19rocblas_complex_numIdES1_KS1_S1_Ev13rocblas_fill_17rocblas_diagonal_iiT1_lPT2_llS7_llPT3_lli ; -- Begin function _ZL23rocblas_trmm_rNx_kernelILi16E19rocblas_complex_numIdES1_KS1_S1_Ev13rocblas_fill_17rocblas_diagonal_iiT1_lPT2_llS7_llPT3_lli
	.p2align	8
	.type	_ZL23rocblas_trmm_rNx_kernelILi16E19rocblas_complex_numIdES1_KS1_S1_Ev13rocblas_fill_17rocblas_diagonal_iiT1_lPT2_llS7_llPT3_lli,@function
_ZL23rocblas_trmm_rNx_kernelILi16E19rocblas_complex_numIdES1_KS1_S1_Ev13rocblas_fill_17rocblas_diagonal_iiT1_lPT2_llS7_llPT3_lli: ; @_ZL23rocblas_trmm_rNx_kernelILi16E19rocblas_complex_numIdES1_KS1_S1_Ev13rocblas_fill_17rocblas_diagonal_iiT1_lPT2_llS7_llPT3_lli
; %bb.0:
	s_load_b128 s[4:7], s[0:1], 0x10
	s_waitcnt lgkmcnt(0)
	v_cmp_neq_f64_e64 s2, s[4:5], 0
	v_cmp_neq_f64_e64 s3, s[6:7], 0
	s_delay_alu instid0(VALU_DEP_1) | instskip(NEXT) | instid1(SALU_CYCLE_1)
	s_or_b32 s2, s2, s3
	s_and_not1_b32 vcc_lo, exec_lo, s2
	s_cbranch_vccnz .LBB139_15
; %bb.1:
	s_clause 0x1
	s_load_b128 s[8:11], s[0:1], 0x0
	s_load_b512 s[16:31], s[0:1], 0x28
	v_bfe_u32 v1, v0, 10, 10
	s_mov_b32 s36, 0
	s_delay_alu instid0(SALU_CYCLE_1)
	s_mov_b32 s37, s36
	s_mov_b32 s38, s36
	;; [unrolled: 1-line block ×3, first 2 shown]
	v_dual_mov_b32 v5, s36 :: v_dual_and_b32 v4, 0x3ff, v0
	v_dual_mov_b32 v7, s38 :: v_dual_lshlrev_b32 v2, 4, v1
	v_mov_b32_e32 v6, s37
	v_mov_b32_e32 v8, s39
	s_delay_alu instid0(VALU_DEP_4) | instskip(NEXT) | instid1(VALU_DEP_4)
	v_lshlrev_b32_e32 v0, 4, v4
	v_add_lshl_u32 v3, v2, v4, 4
	ds_store_b128 v3, v[5:8]
	ds_store_b128 v3, v[5:8] offset:4096
	s_waitcnt lgkmcnt(0)
	v_cmp_gt_i32_e32 vcc_lo, s11, v1
	v_cmp_gt_i32_e64 s2, s11, v4
	s_delay_alu instid0(VALU_DEP_1) | instskip(NEXT) | instid1(SALU_CYCLE_1)
	s_and_b32 s2, vcc_lo, s2
	s_and_saveexec_b32 s3, s2
	s_cbranch_execz .LBB139_3
; %bb.2:
	v_mad_u64_u32 v[5:6], null, v1, s18, 0
	s_mul_i32 s2, s15, s21
	s_mul_hi_u32 s11, s15, s20
	s_mul_i32 s12, s15, s20
	s_add_i32 s13, s11, s2
	s_delay_alu instid0(SALU_CYCLE_1) | instskip(NEXT) | instid1(VALU_DEP_1)
	s_lshl_b64 s[12:13], s[12:13], 4
	v_mad_u64_u32 v[7:8], null, v1, s19, v[6:7]
	s_add_u32 s2, s16, s12
	s_addc_u32 s11, s17, s13
	s_delay_alu instid0(VALU_DEP_1) | instskip(NEXT) | instid1(VALU_DEP_1)
	v_mov_b32_e32 v6, v7
	v_lshlrev_b64 v[5:6], 4, v[5:6]
	s_delay_alu instid0(VALU_DEP_1) | instskip(NEXT) | instid1(VALU_DEP_1)
	v_add_co_u32 v5, s2, s2, v5
	v_add_co_ci_u32_e64 v6, s2, s11, v6, s2
	s_delay_alu instid0(VALU_DEP_2) | instskip(NEXT) | instid1(VALU_DEP_1)
	v_add_co_u32 v5, s2, v5, v0
	v_add_co_ci_u32_e64 v6, s2, 0, v6, s2
	global_load_b128 v[5:8], v[5:6], off
	s_waitcnt vmcnt(0)
	ds_store_2addr_b64 v3, v[5:6], v[7:8] offset1:1
.LBB139_3:
	s_or_b32 exec_lo, exec_lo, s3
	s_add_i32 s2, s10, -1
	s_delay_alu instid0(SALU_CYCLE_1) | instskip(NEXT) | instid1(SALU_CYCLE_1)
	s_ashr_i32 s3, s2, 31
	s_lshr_b32 s3, s3, 28
	s_delay_alu instid0(SALU_CYCLE_1) | instskip(NEXT) | instid1(SALU_CYCLE_1)
	s_add_i32 s2, s2, s3
	s_and_b32 s3, s2, -16
	s_ashr_i32 s2, s2, 4
	s_sub_i32 s3, s10, s3
	s_cmp_ge_i32 s14, s2
	s_cselect_b32 s2, s3, 16
	s_lshl_b32 s10, s14, 4
	v_cmp_gt_i32_e64 s2, s2, v4
	s_ashr_i32 s11, s10, 31
	s_delay_alu instid0(VALU_DEP_1) | instskip(NEXT) | instid1(SALU_CYCLE_1)
	s_and_b32 s2, vcc_lo, s2
	s_and_saveexec_b32 s3, s2
	s_cbranch_execz .LBB139_5
; %bb.4:
	v_mad_u64_u32 v[5:6], null, v1, s24, 0
	s_mul_i32 s13, s15, s27
	s_mul_hi_u32 s14, s15, s26
	s_mul_i32 s12, s15, s26
	s_add_i32 s13, s14, s13
	v_add_nc_u32_e32 v9, 0x1000, v3
	s_lshl_b64 s[12:13], s[12:13], 4
	s_delay_alu instid0(VALU_DEP_2) | instskip(SKIP_3) | instid1(SALU_CYCLE_1)
	v_mad_u64_u32 v[7:8], null, v1, s25, v[6:7]
	s_add_u32 s14, s22, s12
	s_addc_u32 s16, s23, s13
	s_lshl_b64 s[12:13], s[10:11], 4
	s_add_u32 s12, s14, s12
	s_addc_u32 s13, s16, s13
	s_delay_alu instid0(VALU_DEP_1) | instskip(NEXT) | instid1(VALU_DEP_1)
	v_mov_b32_e32 v6, v7
	v_lshlrev_b64 v[5:6], 4, v[5:6]
	s_delay_alu instid0(VALU_DEP_1) | instskip(NEXT) | instid1(VALU_DEP_2)
	v_add_co_u32 v5, vcc_lo, s12, v5
	v_add_co_ci_u32_e32 v6, vcc_lo, s13, v6, vcc_lo
	s_delay_alu instid0(VALU_DEP_2) | instskip(NEXT) | instid1(VALU_DEP_2)
	v_add_co_u32 v5, vcc_lo, v5, v0
	v_add_co_ci_u32_e32 v6, vcc_lo, 0, v6, vcc_lo
	global_load_b128 v[5:8], v[5:6], off
	s_waitcnt vmcnt(0)
	ds_store_2addr_b64 v9, v[5:6], v[7:8] offset1:1
.LBB139_5:
	s_or_b32 exec_lo, exec_lo, s3
	v_cmp_eq_u32_e32 vcc_lo, v1, v4
	s_cmpk_eq_i32 s9, 0x84
	s_cselect_b32 s3, -1, 0
	s_delay_alu instid0(SALU_CYCLE_1) | instskip(NEXT) | instid1(SALU_CYCLE_1)
	s_and_b32 s9, vcc_lo, s3
	s_and_saveexec_b32 s3, s9
	s_cbranch_execz .LBB139_7
; %bb.6:
	v_dual_mov_b32 v5, 0 :: v_dual_mov_b32 v6, 0x3ff00000
	s_delay_alu instid0(VALU_DEP_1)
	v_mov_b32_e32 v7, v5
	v_mov_b32_e32 v8, v5
	ds_store_b128 v3, v[5:8]
.LBB139_7:
	s_or_b32 exec_lo, exec_lo, s3
	s_cmpk_lg_i32 s8, 0x79
	s_cbranch_scc0 .LBB139_9
; %bb.8:
	v_cmp_lt_u32_e32 vcc_lo, v4, v1
	s_and_b32 s3, vcc_lo, exec_lo
	s_cbranch_execz .LBB139_10
	s_branch .LBB139_11
.LBB139_9:
	s_mov_b32 s3, 0
.LBB139_10:
	v_cmp_gt_u32_e32 vcc_lo, v4, v1
	s_and_not1_b32 s3, s3, exec_lo
	s_and_b32 s8, vcc_lo, exec_lo
	s_delay_alu instid0(SALU_CYCLE_1)
	s_or_b32 s3, s3, s8
.LBB139_11:
	s_delay_alu instid0(SALU_CYCLE_1)
	s_and_saveexec_b32 s8, s3
	s_cbranch_execz .LBB139_13
; %bb.12:
	v_mov_b32_e32 v4, 0
	s_delay_alu instid0(VALU_DEP_1)
	v_mov_b32_e32 v5, v4
	v_mov_b32_e32 v6, v4
	;; [unrolled: 1-line block ×3, first 2 shown]
	ds_store_b128 v3, v[4:7]
.LBB139_13:
	s_or_b32 exec_lo, exec_lo, s8
	s_waitcnt lgkmcnt(0)
	s_barrier
	buffer_gl0_inv
	s_and_saveexec_b32 s3, s2
	s_cbranch_execz .LBB139_15
; %bb.14:
	v_lshlrev_b32_e32 v44, 4, v2
	s_load_b64 s[0:1], s[0:1], 0x68
	ds_load_b128 v[2:5], v44
	ds_load_b128 v[6:9], v0 offset:4096
	ds_load_b128 v[10:13], v0 offset:4352
	;; [unrolled: 1-line block ×3, first 2 shown]
	s_waitcnt lgkmcnt(0)
	s_mul_i32 s1, s15, s1
	s_mul_hi_u32 s2, s15, s0
	v_mul_f64 v[18:19], v[2:3], v[8:9]
	v_mul_f64 v[8:9], v[4:5], v[8:9]
	v_mul_f64 v[34:35], v[14:15], v[12:13]
	v_mul_f64 v[12:13], v[16:17], v[12:13]
	s_add_i32 s1, s2, s1
	s_mul_i32 s0, s15, s0
	s_delay_alu instid0(SALU_CYCLE_1) | instskip(NEXT) | instid1(SALU_CYCLE_1)
	s_lshl_b64 s[0:1], s[0:1], 4
	s_add_u32 s2, s28, s0
	s_addc_u32 s3, s29, s1
	s_lshl_b64 s[0:1], s[10:11], 4
	s_delay_alu instid0(SALU_CYCLE_1) | instskip(SKIP_1) | instid1(VALU_DEP_4)
	s_add_u32 s0, s2, s0
	s_addc_u32 s1, s3, s1
	v_fma_f64 v[4:5], v[4:5], v[6:7], v[18:19]
	ds_load_b128 v[18:21], v44 offset:32
	ds_load_b128 v[22:25], v0 offset:4608
	;; [unrolled: 1-line block ×4, first 2 shown]
	v_fma_f64 v[16:17], v[16:17], v[10:11], v[34:35]
	v_fma_f64 v[2:3], v[2:3], v[6:7], -v[8:9]
	s_waitcnt lgkmcnt(2)
	v_mul_f64 v[36:37], v[18:19], v[24:25]
	v_mul_f64 v[24:25], v[20:21], v[24:25]
	s_waitcnt lgkmcnt(0)
	v_mul_f64 v[34:35], v[30:31], v[28:29]
	v_mul_f64 v[28:29], v[32:33], v[28:29]
	v_add_f64 v[4:5], v[4:5], 0
	v_add_f64 v[38:39], v[2:3], 0
	v_fma_f64 v[20:21], v[20:21], v[22:23], v[36:37]
	v_fma_f64 v[36:37], v[14:15], v[10:11], -v[12:13]
	v_fma_f64 v[32:33], v[32:33], v[26:27], v[34:35]
	v_fma_f64 v[18:19], v[18:19], v[22:23], -v[24:25]
	v_add_f64 v[40:41], v[4:5], v[16:17]
	ds_load_b128 v[2:5], v44 offset:64
	ds_load_b128 v[6:9], v0 offset:5120
	ds_load_b128 v[10:13], v0 offset:5376
	ds_load_b128 v[14:17], v44 offset:80
	s_waitcnt lgkmcnt(2)
	v_mul_f64 v[42:43], v[2:3], v[8:9]
	v_add_f64 v[22:23], v[38:39], v[36:37]
	s_waitcnt lgkmcnt(0)
	v_mul_f64 v[34:35], v[14:15], v[12:13]
	v_mul_f64 v[8:9], v[4:5], v[8:9]
	v_fma_f64 v[36:37], v[30:31], v[26:27], -v[28:29]
	v_mul_f64 v[12:13], v[16:17], v[12:13]
	v_add_f64 v[20:21], v[40:41], v[20:21]
	v_fma_f64 v[4:5], v[4:5], v[6:7], v[42:43]
	v_add_f64 v[38:39], v[22:23], v[18:19]
	v_fma_f64 v[16:17], v[16:17], v[10:11], v[34:35]
	v_fma_f64 v[2:3], v[2:3], v[6:7], -v[8:9]
	v_add_f64 v[40:41], v[20:21], v[32:33]
	ds_load_b128 v[18:21], v44 offset:96
	ds_load_b128 v[22:25], v0 offset:5632
	ds_load_b128 v[26:29], v0 offset:5888
	ds_load_b128 v[30:33], v44 offset:112
	s_waitcnt lgkmcnt(2)
	v_mul_f64 v[42:43], v[18:19], v[24:25]
	v_add_f64 v[6:7], v[38:39], v[36:37]
	s_waitcnt lgkmcnt(0)
	v_mul_f64 v[34:35], v[30:31], v[28:29]
	v_mul_f64 v[24:25], v[20:21], v[24:25]
	v_fma_f64 v[36:37], v[14:15], v[10:11], -v[12:13]
	v_mul_f64 v[28:29], v[32:33], v[28:29]
	v_add_f64 v[4:5], v[40:41], v[4:5]
	v_fma_f64 v[20:21], v[20:21], v[22:23], v[42:43]
	v_add_f64 v[38:39], v[6:7], v[2:3]
	;; [unrolled: 18-line block ×5, first 2 shown]
	v_fma_f64 v[16:17], v[16:17], v[10:11], v[34:35]
	v_fma_f64 v[2:3], v[2:3], v[6:7], -v[8:9]
	v_fma_f64 v[10:11], v[14:15], v[10:11], -v[12:13]
	v_add_f64 v[40:41], v[20:21], v[32:33]
	ds_load_b128 v[18:21], v44 offset:224
	ds_load_b128 v[22:25], v0 offset:7680
	;; [unrolled: 1-line block ×4, first 2 shown]
	s_waitcnt lgkmcnt(2)
	v_mul_f64 v[42:43], v[18:19], v[24:25]
	v_add_f64 v[6:7], v[38:39], v[36:37]
	s_waitcnt lgkmcnt(0)
	v_mul_f64 v[8:9], v[30:31], v[28:29]
	v_mul_f64 v[24:25], v[20:21], v[24:25]
	v_add_f64 v[4:5], v[40:41], v[4:5]
	v_fma_f64 v[20:21], v[20:21], v[22:23], v[42:43]
	v_add_f64 v[2:3], v[6:7], v[2:3]
	v_mul_f64 v[6:7], v[32:33], v[28:29]
	v_fma_f64 v[8:9], v[32:33], v[26:27], v[8:9]
	v_fma_f64 v[12:13], v[18:19], v[22:23], -v[24:25]
	v_add_f64 v[4:5], v[4:5], v[16:17]
	v_add_f64 v[2:3], v[2:3], v[10:11]
	v_fma_f64 v[6:7], v[30:31], v[26:27], -v[6:7]
	v_mad_u64_u32 v[10:11], null, v1, s30, 0
	s_delay_alu instid0(VALU_DEP_4) | instskip(NEXT) | instid1(VALU_DEP_4)
	v_add_f64 v[4:5], v[4:5], v[20:21]
	v_add_f64 v[2:3], v[2:3], v[12:13]
	s_delay_alu instid0(VALU_DEP_2) | instskip(NEXT) | instid1(VALU_DEP_2)
	v_add_f64 v[4:5], v[4:5], v[8:9]
	v_add_f64 v[2:3], v[2:3], v[6:7]
	s_delay_alu instid0(VALU_DEP_2) | instskip(SKIP_1) | instid1(VALU_DEP_2)
	v_mul_f64 v[6:7], s[4:5], v[4:5]
	v_mul_f64 v[8:9], s[6:7], v[4:5]
	v_fma_f64 v[4:5], s[6:7], v[2:3], v[6:7]
	s_delay_alu instid0(VALU_DEP_2) | instskip(SKIP_1) | instid1(VALU_DEP_1)
	v_fma_f64 v[2:3], s[4:5], v[2:3], -v[8:9]
	v_mov_b32_e32 v6, v11
	v_mad_u64_u32 v[7:8], null, v1, s31, v[6:7]
	s_delay_alu instid0(VALU_DEP_1) | instskip(NEXT) | instid1(VALU_DEP_1)
	v_mov_b32_e32 v11, v7
	v_lshlrev_b64 v[6:7], 4, v[10:11]
	s_delay_alu instid0(VALU_DEP_1) | instskip(NEXT) | instid1(VALU_DEP_2)
	v_add_co_u32 v1, vcc_lo, s0, v6
	v_add_co_ci_u32_e32 v6, vcc_lo, s1, v7, vcc_lo
	s_delay_alu instid0(VALU_DEP_2) | instskip(NEXT) | instid1(VALU_DEP_2)
	v_add_co_u32 v0, vcc_lo, v1, v0
	v_add_co_ci_u32_e32 v1, vcc_lo, 0, v6, vcc_lo
	global_store_b128 v[0:1], v[2:5], off
.LBB139_15:
	s_nop 0
	s_sendmsg sendmsg(MSG_DEALLOC_VGPRS)
	s_endpgm
	.section	.rodata,"a",@progbits
	.p2align	6, 0x0
	.amdhsa_kernel _ZL23rocblas_trmm_rNx_kernelILi16E19rocblas_complex_numIdES1_KS1_S1_Ev13rocblas_fill_17rocblas_diagonal_iiT1_lPT2_llS7_llPT3_lli
		.amdhsa_group_segment_fixed_size 8192
		.amdhsa_private_segment_fixed_size 0
		.amdhsa_kernarg_size 116
		.amdhsa_user_sgpr_count 14
		.amdhsa_user_sgpr_dispatch_ptr 0
		.amdhsa_user_sgpr_queue_ptr 0
		.amdhsa_user_sgpr_kernarg_segment_ptr 1
		.amdhsa_user_sgpr_dispatch_id 0
		.amdhsa_user_sgpr_private_segment_size 0
		.amdhsa_wavefront_size32 1
		.amdhsa_uses_dynamic_stack 0
		.amdhsa_enable_private_segment 0
		.amdhsa_system_sgpr_workgroup_id_x 1
		.amdhsa_system_sgpr_workgroup_id_y 0
		.amdhsa_system_sgpr_workgroup_id_z 1
		.amdhsa_system_sgpr_workgroup_info 0
		.amdhsa_system_vgpr_workitem_id 1
		.amdhsa_next_free_vgpr 45
		.amdhsa_next_free_sgpr 40
		.amdhsa_reserve_vcc 1
		.amdhsa_float_round_mode_32 0
		.amdhsa_float_round_mode_16_64 0
		.amdhsa_float_denorm_mode_32 3
		.amdhsa_float_denorm_mode_16_64 3
		.amdhsa_dx10_clamp 1
		.amdhsa_ieee_mode 1
		.amdhsa_fp16_overflow 0
		.amdhsa_workgroup_processor_mode 1
		.amdhsa_memory_ordered 1
		.amdhsa_forward_progress 0
		.amdhsa_shared_vgpr_count 0
		.amdhsa_exception_fp_ieee_invalid_op 0
		.amdhsa_exception_fp_denorm_src 0
		.amdhsa_exception_fp_ieee_div_zero 0
		.amdhsa_exception_fp_ieee_overflow 0
		.amdhsa_exception_fp_ieee_underflow 0
		.amdhsa_exception_fp_ieee_inexact 0
		.amdhsa_exception_int_div_zero 0
	.end_amdhsa_kernel
	.section	.text._ZL23rocblas_trmm_rNx_kernelILi16E19rocblas_complex_numIdES1_KS1_S1_Ev13rocblas_fill_17rocblas_diagonal_iiT1_lPT2_llS7_llPT3_lli,"axG",@progbits,_ZL23rocblas_trmm_rNx_kernelILi16E19rocblas_complex_numIdES1_KS1_S1_Ev13rocblas_fill_17rocblas_diagonal_iiT1_lPT2_llS7_llPT3_lli,comdat
.Lfunc_end139:
	.size	_ZL23rocblas_trmm_rNx_kernelILi16E19rocblas_complex_numIdES1_KS1_S1_Ev13rocblas_fill_17rocblas_diagonal_iiT1_lPT2_llS7_llPT3_lli, .Lfunc_end139-_ZL23rocblas_trmm_rNx_kernelILi16E19rocblas_complex_numIdES1_KS1_S1_Ev13rocblas_fill_17rocblas_diagonal_iiT1_lPT2_llS7_llPT3_lli
                                        ; -- End function
	.section	.AMDGPU.csdata,"",@progbits
; Kernel info:
; codeLenInByte = 1988
; NumSgprs: 42
; NumVgprs: 45
; ScratchSize: 0
; MemoryBound: 0
; FloatMode: 240
; IeeeMode: 1
; LDSByteSize: 8192 bytes/workgroup (compile time only)
; SGPRBlocks: 5
; VGPRBlocks: 5
; NumSGPRsForWavesPerEU: 42
; NumVGPRsForWavesPerEU: 45
; Occupancy: 16
; WaveLimiterHint : 0
; COMPUTE_PGM_RSRC2:SCRATCH_EN: 0
; COMPUTE_PGM_RSRC2:USER_SGPR: 14
; COMPUTE_PGM_RSRC2:TRAP_HANDLER: 0
; COMPUTE_PGM_RSRC2:TGID_X_EN: 1
; COMPUTE_PGM_RSRC2:TGID_Y_EN: 0
; COMPUTE_PGM_RSRC2:TGID_Z_EN: 1
; COMPUTE_PGM_RSRC2:TIDIG_COMP_CNT: 1
	.section	.text._ZL23rocblas_trmm_rTx_kernelILi16ELb0E19rocblas_complex_numIdEPKS1_S2_S1_Ev13rocblas_fill_17rocblas_diagonal_iiT2_lPT3_llS8_llPT4_lli,"axG",@progbits,_ZL23rocblas_trmm_rTx_kernelILi16ELb0E19rocblas_complex_numIdEPKS1_S2_S1_Ev13rocblas_fill_17rocblas_diagonal_iiT2_lPT3_llS8_llPT4_lli,comdat
	.globl	_ZL23rocblas_trmm_rTx_kernelILi16ELb0E19rocblas_complex_numIdEPKS1_S2_S1_Ev13rocblas_fill_17rocblas_diagonal_iiT2_lPT3_llS8_llPT4_lli ; -- Begin function _ZL23rocblas_trmm_rTx_kernelILi16ELb0E19rocblas_complex_numIdEPKS1_S2_S1_Ev13rocblas_fill_17rocblas_diagonal_iiT2_lPT3_llS8_llPT4_lli
	.p2align	8
	.type	_ZL23rocblas_trmm_rTx_kernelILi16ELb0E19rocblas_complex_numIdEPKS1_S2_S1_Ev13rocblas_fill_17rocblas_diagonal_iiT2_lPT3_llS8_llPT4_lli,@function
_ZL23rocblas_trmm_rTx_kernelILi16ELb0E19rocblas_complex_numIdEPKS1_S2_S1_Ev13rocblas_fill_17rocblas_diagonal_iiT2_lPT3_llS8_llPT4_lli: ; @_ZL23rocblas_trmm_rTx_kernelILi16ELb0E19rocblas_complex_numIdEPKS1_S2_S1_Ev13rocblas_fill_17rocblas_diagonal_iiT2_lPT3_llS8_llPT4_lli
; %bb.0:
	s_load_b512 s[16:31], s[0:1], 0x10
	s_waitcnt lgkmcnt(0)
	s_mul_i32 s3, s15, s19
	s_mul_hi_u32 s4, s15, s18
	s_mul_i32 s2, s15, s18
	s_add_i32 s3, s4, s3
	s_delay_alu instid0(SALU_CYCLE_1) | instskip(NEXT) | instid1(SALU_CYCLE_1)
	s_lshl_b64 s[2:3], s[2:3], 4
	s_add_u32 s2, s16, s2
	s_addc_u32 s3, s17, s3
	s_load_b128 s[4:7], s[2:3], 0x0
	s_waitcnt lgkmcnt(0)
	v_cmp_neq_f64_e64 s2, s[4:5], 0
	v_cmp_neq_f64_e64 s3, s[6:7], 0
	s_delay_alu instid0(VALU_DEP_1) | instskip(NEXT) | instid1(SALU_CYCLE_1)
	s_or_b32 s2, s2, s3
	s_and_not1_b32 vcc_lo, exec_lo, s2
	s_cbranch_vccnz .LBB140_15
; %bb.1:
	s_load_b128 s[8:11], s[0:1], 0x0
	v_bfe_u32 v1, v0, 10, 10
	s_mov_b32 s16, 0
	s_delay_alu instid0(SALU_CYCLE_1)
	s_mov_b32 s17, s16
	s_mov_b32 s18, s16
	;; [unrolled: 1-line block ×3, first 2 shown]
	v_dual_mov_b32 v5, s16 :: v_dual_and_b32 v4, 0x3ff, v0
	v_dual_mov_b32 v7, s18 :: v_dual_lshlrev_b32 v2, 4, v1
	v_mov_b32_e32 v6, s17
	v_mov_b32_e32 v8, s19
	s_delay_alu instid0(VALU_DEP_4) | instskip(NEXT) | instid1(VALU_DEP_4)
	v_lshlrev_b32_e32 v0, 4, v4
	v_add_lshl_u32 v3, v2, v4, 4
	ds_store_b128 v3, v[5:8]
	ds_store_b128 v3, v[5:8] offset:4096
	s_waitcnt lgkmcnt(0)
	v_cmp_gt_i32_e32 vcc_lo, s11, v1
	v_cmp_gt_i32_e64 s2, s11, v4
	s_delay_alu instid0(VALU_DEP_1) | instskip(NEXT) | instid1(SALU_CYCLE_1)
	s_and_b32 s2, vcc_lo, s2
	s_and_saveexec_b32 s3, s2
	s_cbranch_execz .LBB140_3
; %bb.2:
	v_mad_u64_u32 v[5:6], null, v1, s22, 0
	s_mul_i32 s2, s15, s25
	s_mul_hi_u32 s11, s15, s24
	s_mul_i32 s12, s15, s24
	s_add_i32 s13, s11, s2
	s_delay_alu instid0(SALU_CYCLE_1) | instskip(NEXT) | instid1(VALU_DEP_1)
	s_lshl_b64 s[12:13], s[12:13], 4
	v_mad_u64_u32 v[7:8], null, v1, s23, v[6:7]
	s_add_u32 s2, s20, s12
	s_addc_u32 s11, s21, s13
	s_delay_alu instid0(VALU_DEP_1) | instskip(NEXT) | instid1(VALU_DEP_1)
	v_mov_b32_e32 v6, v7
	v_lshlrev_b64 v[5:6], 4, v[5:6]
	s_delay_alu instid0(VALU_DEP_1) | instskip(NEXT) | instid1(VALU_DEP_1)
	v_add_co_u32 v5, s2, s2, v5
	v_add_co_ci_u32_e64 v6, s2, s11, v6, s2
	s_delay_alu instid0(VALU_DEP_2) | instskip(NEXT) | instid1(VALU_DEP_1)
	v_add_co_u32 v5, s2, v5, v0
	v_add_co_ci_u32_e64 v6, s2, 0, v6, s2
	global_load_b128 v[5:8], v[5:6], off
	s_waitcnt vmcnt(0)
	ds_store_2addr_b64 v3, v[5:6], v[7:8] offset1:1
.LBB140_3:
	s_or_b32 exec_lo, exec_lo, s3
	s_add_i32 s2, s10, -1
	s_delay_alu instid0(SALU_CYCLE_1) | instskip(NEXT) | instid1(SALU_CYCLE_1)
	s_ashr_i32 s3, s2, 31
	s_lshr_b32 s3, s3, 28
	s_delay_alu instid0(SALU_CYCLE_1) | instskip(NEXT) | instid1(SALU_CYCLE_1)
	s_add_i32 s2, s2, s3
	s_and_b32 s3, s2, -16
	s_ashr_i32 s2, s2, 4
	s_sub_i32 s3, s10, s3
	s_cmp_ge_i32 s14, s2
	s_cselect_b32 s2, s3, 16
	s_lshl_b32 s10, s14, 4
	v_cmp_gt_i32_e64 s2, s2, v4
	s_ashr_i32 s11, s10, 31
	s_delay_alu instid0(VALU_DEP_1) | instskip(NEXT) | instid1(SALU_CYCLE_1)
	s_and_b32 s2, vcc_lo, s2
	s_and_saveexec_b32 s3, s2
	s_cbranch_execz .LBB140_5
; %bb.4:
	v_mad_u64_u32 v[5:6], null, v1, s28, 0
	s_mul_i32 s13, s15, s31
	s_mul_hi_u32 s14, s15, s30
	s_mul_i32 s12, s15, s30
	s_add_i32 s13, s14, s13
	v_add_nc_u32_e32 v9, 0x1000, v3
	s_lshl_b64 s[12:13], s[12:13], 4
	s_delay_alu instid0(VALU_DEP_2) | instskip(SKIP_3) | instid1(SALU_CYCLE_1)
	v_mad_u64_u32 v[7:8], null, v1, s29, v[6:7]
	s_add_u32 s14, s26, s12
	s_addc_u32 s16, s27, s13
	s_lshl_b64 s[12:13], s[10:11], 4
	s_add_u32 s12, s14, s12
	s_addc_u32 s13, s16, s13
	s_delay_alu instid0(VALU_DEP_1) | instskip(NEXT) | instid1(VALU_DEP_1)
	v_mov_b32_e32 v6, v7
	v_lshlrev_b64 v[5:6], 4, v[5:6]
	s_delay_alu instid0(VALU_DEP_1) | instskip(NEXT) | instid1(VALU_DEP_2)
	v_add_co_u32 v5, vcc_lo, s12, v5
	v_add_co_ci_u32_e32 v6, vcc_lo, s13, v6, vcc_lo
	s_delay_alu instid0(VALU_DEP_2) | instskip(NEXT) | instid1(VALU_DEP_2)
	v_add_co_u32 v5, vcc_lo, v5, v0
	v_add_co_ci_u32_e32 v6, vcc_lo, 0, v6, vcc_lo
	global_load_b128 v[5:8], v[5:6], off
	s_waitcnt vmcnt(0)
	ds_store_2addr_b64 v9, v[5:6], v[7:8] offset1:1
.LBB140_5:
	s_or_b32 exec_lo, exec_lo, s3
	v_cmp_eq_u32_e32 vcc_lo, v1, v4
	s_cmpk_eq_i32 s9, 0x84
	s_cselect_b32 s3, -1, 0
	s_delay_alu instid0(SALU_CYCLE_1) | instskip(NEXT) | instid1(SALU_CYCLE_1)
	s_and_b32 s9, vcc_lo, s3
	s_and_saveexec_b32 s3, s9
	s_cbranch_execz .LBB140_7
; %bb.6:
	v_dual_mov_b32 v5, 0 :: v_dual_mov_b32 v6, 0x3ff00000
	s_delay_alu instid0(VALU_DEP_1)
	v_mov_b32_e32 v7, v5
	v_mov_b32_e32 v8, v5
	ds_store_b128 v3, v[5:8]
.LBB140_7:
	s_or_b32 exec_lo, exec_lo, s3
	s_cmpk_lg_i32 s8, 0x79
	s_cbranch_scc0 .LBB140_9
; %bb.8:
	v_cmp_lt_u32_e32 vcc_lo, v4, v1
	s_and_b32 s3, vcc_lo, exec_lo
	s_cbranch_execz .LBB140_10
	s_branch .LBB140_11
.LBB140_9:
	s_mov_b32 s3, 0
.LBB140_10:
	v_cmp_gt_u32_e32 vcc_lo, v4, v1
	s_and_not1_b32 s3, s3, exec_lo
	s_and_b32 s8, vcc_lo, exec_lo
	s_delay_alu instid0(SALU_CYCLE_1)
	s_or_b32 s3, s3, s8
.LBB140_11:
	s_delay_alu instid0(SALU_CYCLE_1)
	s_and_saveexec_b32 s8, s3
	s_cbranch_execz .LBB140_13
; %bb.12:
	v_mov_b32_e32 v4, 0
	s_delay_alu instid0(VALU_DEP_1)
	v_mov_b32_e32 v5, v4
	v_mov_b32_e32 v6, v4
	;; [unrolled: 1-line block ×3, first 2 shown]
	ds_store_b128 v3, v[4:7]
.LBB140_13:
	s_or_b32 exec_lo, exec_lo, s8
	s_waitcnt lgkmcnt(0)
	s_barrier
	buffer_gl0_inv
	s_and_saveexec_b32 s3, s2
	s_cbranch_execz .LBB140_15
; %bb.14:
	ds_load_b128 v[3:6], v0 offset:4096
	ds_load_b128 v[7:10], v2
	ds_load_b128 v[11:14], v2 offset:256
	ds_load_b128 v[15:18], v0 offset:4352
	s_waitcnt lgkmcnt(2)
	v_mul_f64 v[19:20], v[7:8], v[5:6]
	v_mul_f64 v[5:6], v[9:10], v[5:6]
	s_waitcnt lgkmcnt(0)
	v_mul_f64 v[35:36], v[11:12], v[17:18]
	v_mul_f64 v[17:18], v[13:14], v[17:18]
	s_delay_alu instid0(VALU_DEP_4)
	v_fma_f64 v[9:10], v[9:10], v[3:4], v[19:20]
	ds_load_b128 v[19:22], v0 offset:4608
	ds_load_b128 v[23:26], v2 offset:512
	;; [unrolled: 1-line block ×4, first 2 shown]
	v_fma_f64 v[13:14], v[13:14], v[15:16], v[35:36]
	v_fma_f64 v[3:4], v[7:8], v[3:4], -v[5:6]
	s_waitcnt lgkmcnt(2)
	v_mul_f64 v[37:38], v[23:24], v[21:22]
	v_mul_f64 v[21:22], v[25:26], v[21:22]
	s_waitcnt lgkmcnt(0)
	v_mul_f64 v[35:36], v[27:28], v[33:34]
	v_mul_f64 v[33:34], v[29:30], v[33:34]
	v_add_f64 v[5:6], v[9:10], 0
	v_add_f64 v[39:40], v[3:4], 0
	v_fma_f64 v[25:26], v[25:26], v[19:20], v[37:38]
	v_fma_f64 v[37:38], v[11:12], v[15:16], -v[17:18]
	v_fma_f64 v[29:30], v[29:30], v[31:32], v[35:36]
	v_fma_f64 v[19:20], v[23:24], v[19:20], -v[21:22]
	v_add_f64 v[41:42], v[5:6], v[13:14]
	ds_load_b128 v[3:6], v0 offset:5120
	ds_load_b128 v[7:10], v2 offset:1024
	ds_load_b128 v[11:14], v2 offset:1280
	ds_load_b128 v[15:18], v0 offset:5376
	s_waitcnt lgkmcnt(2)
	v_mul_f64 v[43:44], v[7:8], v[5:6]
	v_add_f64 v[21:22], v[39:40], v[37:38]
	s_waitcnt lgkmcnt(0)
	v_mul_f64 v[35:36], v[11:12], v[17:18]
	v_mul_f64 v[5:6], v[9:10], v[5:6]
	v_fma_f64 v[37:38], v[27:28], v[31:32], -v[33:34]
	v_mul_f64 v[17:18], v[13:14], v[17:18]
	v_add_f64 v[23:24], v[41:42], v[25:26]
	v_fma_f64 v[9:10], v[9:10], v[3:4], v[43:44]
	v_add_f64 v[39:40], v[21:22], v[19:20]
	v_fma_f64 v[13:14], v[13:14], v[15:16], v[35:36]
	v_fma_f64 v[3:4], v[7:8], v[3:4], -v[5:6]
	v_add_f64 v[41:42], v[23:24], v[29:30]
	ds_load_b128 v[19:22], v0 offset:5632
	ds_load_b128 v[23:26], v2 offset:1536
	ds_load_b128 v[27:30], v2 offset:1792
	ds_load_b128 v[31:34], v0 offset:5888
	s_waitcnt lgkmcnt(2)
	v_mul_f64 v[43:44], v[23:24], v[21:22]
	v_add_f64 v[5:6], v[39:40], v[37:38]
	s_waitcnt lgkmcnt(0)
	v_mul_f64 v[35:36], v[27:28], v[33:34]
	v_mul_f64 v[21:22], v[25:26], v[21:22]
	v_fma_f64 v[37:38], v[11:12], v[15:16], -v[17:18]
	v_mul_f64 v[33:34], v[29:30], v[33:34]
	v_add_f64 v[7:8], v[41:42], v[9:10]
	v_fma_f64 v[25:26], v[25:26], v[19:20], v[43:44]
	v_add_f64 v[39:40], v[5:6], v[3:4]
	;; [unrolled: 18-line block ×5, first 2 shown]
	v_fma_f64 v[13:14], v[13:14], v[15:16], v[35:36]
	s_delay_alu instid0(VALU_DEP_4)
	v_add_f64 v[41:42], v[23:24], v[29:30]
	ds_load_b128 v[19:22], v0 offset:7680
	ds_load_b128 v[23:26], v2 offset:3584
	;; [unrolled: 1-line block ×4, first 2 shown]
	v_fma_f64 v[2:3], v[7:8], v[3:4], -v[5:6]
	s_clause 0x1
	s_load_b128 s[16:19], s[0:1], 0x50
	s_load_b64 s[0:1], s[0:1], 0x60
	s_waitcnt lgkmcnt(0)
	v_mul_f64 v[43:44], v[23:24], v[21:22]
	v_add_f64 v[4:5], v[39:40], v[37:38]
	v_mul_f64 v[21:22], v[25:26], v[21:22]
	s_mul_i32 s1, s15, s1
	s_mul_hi_u32 s2, s15, s0
	s_mul_i32 s0, s15, s0
	s_add_i32 s1, s2, s1
	s_delay_alu instid0(SALU_CYCLE_1) | instskip(NEXT) | instid1(SALU_CYCLE_1)
	s_lshl_b64 s[0:1], s[0:1], 4
	s_add_u32 s2, s16, s0
	s_addc_u32 s3, s17, s1
	s_lshl_b64 s[0:1], s[10:11], 4
	s_delay_alu instid0(SALU_CYCLE_1)
	s_add_u32 s0, s2, s0
	s_addc_u32 s1, s3, s1
	v_add_f64 v[6:7], v[41:42], v[9:10]
	v_mul_f64 v[8:9], v[27:28], v[33:34]
	v_fma_f64 v[10:11], v[11:12], v[15:16], -v[17:18]
	v_fma_f64 v[25:26], v[25:26], v[19:20], v[43:44]
	v_add_f64 v[2:3], v[4:5], v[2:3]
	v_add_f64 v[4:5], v[6:7], v[13:14]
	v_mul_f64 v[6:7], v[29:30], v[33:34]
	v_fma_f64 v[8:9], v[29:30], v[31:32], v[8:9]
	v_fma_f64 v[12:13], v[23:24], v[19:20], -v[21:22]
	v_add_f64 v[2:3], v[2:3], v[10:11]
	v_mad_u64_u32 v[10:11], null, v1, s18, 0
	v_add_f64 v[4:5], v[4:5], v[25:26]
	v_fma_f64 v[6:7], v[27:28], v[31:32], -v[6:7]
	s_delay_alu instid0(VALU_DEP_4) | instskip(NEXT) | instid1(VALU_DEP_3)
	v_add_f64 v[2:3], v[2:3], v[12:13]
	v_add_f64 v[4:5], v[4:5], v[8:9]
	s_delay_alu instid0(VALU_DEP_2) | instskip(NEXT) | instid1(VALU_DEP_2)
	v_add_f64 v[2:3], v[2:3], v[6:7]
	v_mul_f64 v[6:7], s[4:5], v[4:5]
	v_mul_f64 v[8:9], s[6:7], v[4:5]
	s_delay_alu instid0(VALU_DEP_2) | instskip(NEXT) | instid1(VALU_DEP_2)
	v_fma_f64 v[4:5], s[6:7], v[2:3], v[6:7]
	v_fma_f64 v[2:3], s[4:5], v[2:3], -v[8:9]
	v_mov_b32_e32 v6, v11
	s_delay_alu instid0(VALU_DEP_1) | instskip(NEXT) | instid1(VALU_DEP_1)
	v_mad_u64_u32 v[7:8], null, v1, s19, v[6:7]
	v_mov_b32_e32 v11, v7
	s_delay_alu instid0(VALU_DEP_1) | instskip(NEXT) | instid1(VALU_DEP_1)
	v_lshlrev_b64 v[6:7], 4, v[10:11]
	v_add_co_u32 v1, vcc_lo, s0, v6
	s_delay_alu instid0(VALU_DEP_2) | instskip(NEXT) | instid1(VALU_DEP_2)
	v_add_co_ci_u32_e32 v6, vcc_lo, s1, v7, vcc_lo
	v_add_co_u32 v0, vcc_lo, v1, v0
	s_delay_alu instid0(VALU_DEP_2)
	v_add_co_ci_u32_e32 v1, vcc_lo, 0, v6, vcc_lo
	global_store_b128 v[0:1], v[2:5], off
.LBB140_15:
	s_nop 0
	s_sendmsg sendmsg(MSG_DEALLOC_VGPRS)
	s_endpgm
	.section	.rodata,"a",@progbits
	.p2align	6, 0x0
	.amdhsa_kernel _ZL23rocblas_trmm_rTx_kernelILi16ELb0E19rocblas_complex_numIdEPKS1_S2_S1_Ev13rocblas_fill_17rocblas_diagonal_iiT2_lPT3_llS8_llPT4_lli
		.amdhsa_group_segment_fixed_size 8192
		.amdhsa_private_segment_fixed_size 0
		.amdhsa_kernarg_size 108
		.amdhsa_user_sgpr_count 14
		.amdhsa_user_sgpr_dispatch_ptr 0
		.amdhsa_user_sgpr_queue_ptr 0
		.amdhsa_user_sgpr_kernarg_segment_ptr 1
		.amdhsa_user_sgpr_dispatch_id 0
		.amdhsa_user_sgpr_private_segment_size 0
		.amdhsa_wavefront_size32 1
		.amdhsa_uses_dynamic_stack 0
		.amdhsa_enable_private_segment 0
		.amdhsa_system_sgpr_workgroup_id_x 1
		.amdhsa_system_sgpr_workgroup_id_y 0
		.amdhsa_system_sgpr_workgroup_id_z 1
		.amdhsa_system_sgpr_workgroup_info 0
		.amdhsa_system_vgpr_workitem_id 1
		.amdhsa_next_free_vgpr 45
		.amdhsa_next_free_sgpr 32
		.amdhsa_reserve_vcc 1
		.amdhsa_float_round_mode_32 0
		.amdhsa_float_round_mode_16_64 0
		.amdhsa_float_denorm_mode_32 3
		.amdhsa_float_denorm_mode_16_64 3
		.amdhsa_dx10_clamp 1
		.amdhsa_ieee_mode 1
		.amdhsa_fp16_overflow 0
		.amdhsa_workgroup_processor_mode 1
		.amdhsa_memory_ordered 1
		.amdhsa_forward_progress 0
		.amdhsa_shared_vgpr_count 0
		.amdhsa_exception_fp_ieee_invalid_op 0
		.amdhsa_exception_fp_denorm_src 0
		.amdhsa_exception_fp_ieee_div_zero 0
		.amdhsa_exception_fp_ieee_overflow 0
		.amdhsa_exception_fp_ieee_underflow 0
		.amdhsa_exception_fp_ieee_inexact 0
		.amdhsa_exception_int_div_zero 0
	.end_amdhsa_kernel
	.section	.text._ZL23rocblas_trmm_rTx_kernelILi16ELb0E19rocblas_complex_numIdEPKS1_S2_S1_Ev13rocblas_fill_17rocblas_diagonal_iiT2_lPT3_llS8_llPT4_lli,"axG",@progbits,_ZL23rocblas_trmm_rTx_kernelILi16ELb0E19rocblas_complex_numIdEPKS1_S2_S1_Ev13rocblas_fill_17rocblas_diagonal_iiT2_lPT3_llS8_llPT4_lli,comdat
.Lfunc_end140:
	.size	_ZL23rocblas_trmm_rTx_kernelILi16ELb0E19rocblas_complex_numIdEPKS1_S2_S1_Ev13rocblas_fill_17rocblas_diagonal_iiT2_lPT3_llS8_llPT4_lli, .Lfunc_end140-_ZL23rocblas_trmm_rTx_kernelILi16ELb0E19rocblas_complex_numIdEPKS1_S2_S1_Ev13rocblas_fill_17rocblas_diagonal_iiT2_lPT3_llS8_llPT4_lli
                                        ; -- End function
	.section	.AMDGPU.csdata,"",@progbits
; Kernel info:
; codeLenInByte = 2036
; NumSgprs: 34
; NumVgprs: 45
; ScratchSize: 0
; MemoryBound: 0
; FloatMode: 240
; IeeeMode: 1
; LDSByteSize: 8192 bytes/workgroup (compile time only)
; SGPRBlocks: 4
; VGPRBlocks: 5
; NumSGPRsForWavesPerEU: 34
; NumVGPRsForWavesPerEU: 45
; Occupancy: 16
; WaveLimiterHint : 0
; COMPUTE_PGM_RSRC2:SCRATCH_EN: 0
; COMPUTE_PGM_RSRC2:USER_SGPR: 14
; COMPUTE_PGM_RSRC2:TRAP_HANDLER: 0
; COMPUTE_PGM_RSRC2:TGID_X_EN: 1
; COMPUTE_PGM_RSRC2:TGID_Y_EN: 0
; COMPUTE_PGM_RSRC2:TGID_Z_EN: 1
; COMPUTE_PGM_RSRC2:TIDIG_COMP_CNT: 1
	.section	.text._ZL23rocblas_trmm_rTx_kernelILi16ELb0E19rocblas_complex_numIdES1_KS1_S1_Ev13rocblas_fill_17rocblas_diagonal_iiT2_lPT3_llS7_llPT4_lli,"axG",@progbits,_ZL23rocblas_trmm_rTx_kernelILi16ELb0E19rocblas_complex_numIdES1_KS1_S1_Ev13rocblas_fill_17rocblas_diagonal_iiT2_lPT3_llS7_llPT4_lli,comdat
	.globl	_ZL23rocblas_trmm_rTx_kernelILi16ELb0E19rocblas_complex_numIdES1_KS1_S1_Ev13rocblas_fill_17rocblas_diagonal_iiT2_lPT3_llS7_llPT4_lli ; -- Begin function _ZL23rocblas_trmm_rTx_kernelILi16ELb0E19rocblas_complex_numIdES1_KS1_S1_Ev13rocblas_fill_17rocblas_diagonal_iiT2_lPT3_llS7_llPT4_lli
	.p2align	8
	.type	_ZL23rocblas_trmm_rTx_kernelILi16ELb0E19rocblas_complex_numIdES1_KS1_S1_Ev13rocblas_fill_17rocblas_diagonal_iiT2_lPT3_llS7_llPT4_lli,@function
_ZL23rocblas_trmm_rTx_kernelILi16ELb0E19rocblas_complex_numIdES1_KS1_S1_Ev13rocblas_fill_17rocblas_diagonal_iiT2_lPT3_llS7_llPT4_lli: ; @_ZL23rocblas_trmm_rTx_kernelILi16ELb0E19rocblas_complex_numIdES1_KS1_S1_Ev13rocblas_fill_17rocblas_diagonal_iiT2_lPT3_llS7_llPT4_lli
; %bb.0:
	s_load_b128 s[4:7], s[0:1], 0x10
	s_waitcnt lgkmcnt(0)
	v_cmp_neq_f64_e64 s2, s[4:5], 0
	v_cmp_neq_f64_e64 s3, s[6:7], 0
	s_delay_alu instid0(VALU_DEP_1) | instskip(NEXT) | instid1(SALU_CYCLE_1)
	s_or_b32 s2, s2, s3
	s_and_not1_b32 vcc_lo, exec_lo, s2
	s_cbranch_vccnz .LBB141_15
; %bb.1:
	s_clause 0x1
	s_load_b128 s[8:11], s[0:1], 0x0
	s_load_b512 s[16:31], s[0:1], 0x28
	v_bfe_u32 v1, v0, 10, 10
	s_mov_b32 s36, 0
	s_delay_alu instid0(SALU_CYCLE_1)
	s_mov_b32 s37, s36
	s_mov_b32 s38, s36
	;; [unrolled: 1-line block ×3, first 2 shown]
	v_dual_mov_b32 v5, s36 :: v_dual_and_b32 v4, 0x3ff, v0
	v_dual_mov_b32 v7, s38 :: v_dual_lshlrev_b32 v2, 4, v1
	v_mov_b32_e32 v6, s37
	v_mov_b32_e32 v8, s39
	s_delay_alu instid0(VALU_DEP_4) | instskip(NEXT) | instid1(VALU_DEP_4)
	v_lshlrev_b32_e32 v0, 4, v4
	v_add_lshl_u32 v3, v2, v4, 4
	ds_store_b128 v3, v[5:8]
	ds_store_b128 v3, v[5:8] offset:4096
	s_waitcnt lgkmcnt(0)
	v_cmp_gt_i32_e32 vcc_lo, s11, v1
	v_cmp_gt_i32_e64 s2, s11, v4
	s_delay_alu instid0(VALU_DEP_1) | instskip(NEXT) | instid1(SALU_CYCLE_1)
	s_and_b32 s2, vcc_lo, s2
	s_and_saveexec_b32 s3, s2
	s_cbranch_execz .LBB141_3
; %bb.2:
	v_mad_u64_u32 v[5:6], null, v1, s18, 0
	s_mul_i32 s2, s15, s21
	s_mul_hi_u32 s11, s15, s20
	s_mul_i32 s12, s15, s20
	s_add_i32 s13, s11, s2
	s_delay_alu instid0(SALU_CYCLE_1) | instskip(NEXT) | instid1(VALU_DEP_1)
	s_lshl_b64 s[12:13], s[12:13], 4
	v_mad_u64_u32 v[7:8], null, v1, s19, v[6:7]
	s_add_u32 s2, s16, s12
	s_addc_u32 s11, s17, s13
	s_delay_alu instid0(VALU_DEP_1) | instskip(NEXT) | instid1(VALU_DEP_1)
	v_mov_b32_e32 v6, v7
	v_lshlrev_b64 v[5:6], 4, v[5:6]
	s_delay_alu instid0(VALU_DEP_1) | instskip(NEXT) | instid1(VALU_DEP_1)
	v_add_co_u32 v5, s2, s2, v5
	v_add_co_ci_u32_e64 v6, s2, s11, v6, s2
	s_delay_alu instid0(VALU_DEP_2) | instskip(NEXT) | instid1(VALU_DEP_1)
	v_add_co_u32 v5, s2, v5, v0
	v_add_co_ci_u32_e64 v6, s2, 0, v6, s2
	global_load_b128 v[5:8], v[5:6], off
	s_waitcnt vmcnt(0)
	ds_store_2addr_b64 v3, v[5:6], v[7:8] offset1:1
.LBB141_3:
	s_or_b32 exec_lo, exec_lo, s3
	s_add_i32 s2, s10, -1
	s_delay_alu instid0(SALU_CYCLE_1) | instskip(NEXT) | instid1(SALU_CYCLE_1)
	s_ashr_i32 s3, s2, 31
	s_lshr_b32 s3, s3, 28
	s_delay_alu instid0(SALU_CYCLE_1) | instskip(NEXT) | instid1(SALU_CYCLE_1)
	s_add_i32 s2, s2, s3
	s_and_b32 s3, s2, -16
	s_ashr_i32 s2, s2, 4
	s_sub_i32 s3, s10, s3
	s_cmp_ge_i32 s14, s2
	s_cselect_b32 s2, s3, 16
	s_lshl_b32 s10, s14, 4
	v_cmp_gt_i32_e64 s2, s2, v4
	s_ashr_i32 s11, s10, 31
	s_delay_alu instid0(VALU_DEP_1) | instskip(NEXT) | instid1(SALU_CYCLE_1)
	s_and_b32 s2, vcc_lo, s2
	s_and_saveexec_b32 s3, s2
	s_cbranch_execz .LBB141_5
; %bb.4:
	v_mad_u64_u32 v[5:6], null, v1, s24, 0
	s_mul_i32 s13, s15, s27
	s_mul_hi_u32 s14, s15, s26
	s_mul_i32 s12, s15, s26
	s_add_i32 s13, s14, s13
	v_add_nc_u32_e32 v9, 0x1000, v3
	s_lshl_b64 s[12:13], s[12:13], 4
	s_delay_alu instid0(VALU_DEP_2) | instskip(SKIP_3) | instid1(SALU_CYCLE_1)
	v_mad_u64_u32 v[7:8], null, v1, s25, v[6:7]
	s_add_u32 s14, s22, s12
	s_addc_u32 s16, s23, s13
	s_lshl_b64 s[12:13], s[10:11], 4
	s_add_u32 s12, s14, s12
	s_addc_u32 s13, s16, s13
	s_delay_alu instid0(VALU_DEP_1) | instskip(NEXT) | instid1(VALU_DEP_1)
	v_mov_b32_e32 v6, v7
	v_lshlrev_b64 v[5:6], 4, v[5:6]
	s_delay_alu instid0(VALU_DEP_1) | instskip(NEXT) | instid1(VALU_DEP_2)
	v_add_co_u32 v5, vcc_lo, s12, v5
	v_add_co_ci_u32_e32 v6, vcc_lo, s13, v6, vcc_lo
	s_delay_alu instid0(VALU_DEP_2) | instskip(NEXT) | instid1(VALU_DEP_2)
	v_add_co_u32 v5, vcc_lo, v5, v0
	v_add_co_ci_u32_e32 v6, vcc_lo, 0, v6, vcc_lo
	global_load_b128 v[5:8], v[5:6], off
	s_waitcnt vmcnt(0)
	ds_store_2addr_b64 v9, v[5:6], v[7:8] offset1:1
.LBB141_5:
	s_or_b32 exec_lo, exec_lo, s3
	v_cmp_eq_u32_e32 vcc_lo, v1, v4
	s_cmpk_eq_i32 s9, 0x84
	s_cselect_b32 s3, -1, 0
	s_delay_alu instid0(SALU_CYCLE_1) | instskip(NEXT) | instid1(SALU_CYCLE_1)
	s_and_b32 s9, vcc_lo, s3
	s_and_saveexec_b32 s3, s9
	s_cbranch_execz .LBB141_7
; %bb.6:
	v_dual_mov_b32 v5, 0 :: v_dual_mov_b32 v6, 0x3ff00000
	s_delay_alu instid0(VALU_DEP_1)
	v_mov_b32_e32 v7, v5
	v_mov_b32_e32 v8, v5
	ds_store_b128 v3, v[5:8]
.LBB141_7:
	s_or_b32 exec_lo, exec_lo, s3
	s_cmpk_lg_i32 s8, 0x79
	s_cbranch_scc0 .LBB141_9
; %bb.8:
	v_cmp_lt_u32_e32 vcc_lo, v4, v1
	s_and_b32 s3, vcc_lo, exec_lo
	s_cbranch_execz .LBB141_10
	s_branch .LBB141_11
.LBB141_9:
	s_mov_b32 s3, 0
.LBB141_10:
	v_cmp_gt_u32_e32 vcc_lo, v4, v1
	s_and_not1_b32 s3, s3, exec_lo
	s_and_b32 s8, vcc_lo, exec_lo
	s_delay_alu instid0(SALU_CYCLE_1)
	s_or_b32 s3, s3, s8
.LBB141_11:
	s_delay_alu instid0(SALU_CYCLE_1)
	s_and_saveexec_b32 s8, s3
	s_cbranch_execz .LBB141_13
; %bb.12:
	v_mov_b32_e32 v4, 0
	s_delay_alu instid0(VALU_DEP_1)
	v_mov_b32_e32 v5, v4
	v_mov_b32_e32 v6, v4
	;; [unrolled: 1-line block ×3, first 2 shown]
	ds_store_b128 v3, v[4:7]
.LBB141_13:
	s_or_b32 exec_lo, exec_lo, s8
	s_waitcnt lgkmcnt(0)
	s_barrier
	buffer_gl0_inv
	s_and_saveexec_b32 s3, s2
	s_cbranch_execz .LBB141_15
; %bb.14:
	ds_load_b128 v[3:6], v0 offset:4096
	ds_load_b128 v[7:10], v2
	ds_load_b128 v[11:14], v2 offset:256
	ds_load_b128 v[15:18], v0 offset:4352
	s_load_b64 s[0:1], s[0:1], 0x68
	s_waitcnt lgkmcnt(0)
	v_mul_f64 v[19:20], v[7:8], v[5:6]
	v_mul_f64 v[5:6], v[9:10], v[5:6]
	v_mul_f64 v[35:36], v[11:12], v[17:18]
	v_mul_f64 v[17:18], v[13:14], v[17:18]
	s_mul_i32 s1, s15, s1
	s_mul_hi_u32 s2, s15, s0
	s_mul_i32 s0, s15, s0
	s_add_i32 s1, s2, s1
	s_delay_alu instid0(SALU_CYCLE_1) | instskip(NEXT) | instid1(SALU_CYCLE_1)
	s_lshl_b64 s[0:1], s[0:1], 4
	s_add_u32 s2, s28, s0
	s_addc_u32 s3, s29, s1
	s_lshl_b64 s[0:1], s[10:11], 4
	s_delay_alu instid0(SALU_CYCLE_1) | instskip(SKIP_1) | instid1(VALU_DEP_4)
	s_add_u32 s0, s2, s0
	s_addc_u32 s1, s3, s1
	v_fma_f64 v[9:10], v[9:10], v[3:4], v[19:20]
	ds_load_b128 v[19:22], v0 offset:4608
	ds_load_b128 v[23:26], v2 offset:512
	;; [unrolled: 1-line block ×4, first 2 shown]
	v_fma_f64 v[13:14], v[13:14], v[15:16], v[35:36]
	v_fma_f64 v[3:4], v[7:8], v[3:4], -v[5:6]
	s_waitcnt lgkmcnt(2)
	v_mul_f64 v[37:38], v[23:24], v[21:22]
	v_mul_f64 v[21:22], v[25:26], v[21:22]
	s_waitcnt lgkmcnt(0)
	v_mul_f64 v[35:36], v[27:28], v[33:34]
	v_mul_f64 v[33:34], v[29:30], v[33:34]
	v_add_f64 v[5:6], v[9:10], 0
	v_add_f64 v[39:40], v[3:4], 0
	v_fma_f64 v[25:26], v[25:26], v[19:20], v[37:38]
	v_fma_f64 v[37:38], v[11:12], v[15:16], -v[17:18]
	v_fma_f64 v[29:30], v[29:30], v[31:32], v[35:36]
	v_fma_f64 v[19:20], v[23:24], v[19:20], -v[21:22]
	v_add_f64 v[41:42], v[5:6], v[13:14]
	ds_load_b128 v[3:6], v0 offset:5120
	ds_load_b128 v[7:10], v2 offset:1024
	ds_load_b128 v[11:14], v2 offset:1280
	ds_load_b128 v[15:18], v0 offset:5376
	s_waitcnt lgkmcnt(2)
	v_mul_f64 v[43:44], v[7:8], v[5:6]
	v_add_f64 v[21:22], v[39:40], v[37:38]
	s_waitcnt lgkmcnt(0)
	v_mul_f64 v[35:36], v[11:12], v[17:18]
	v_mul_f64 v[5:6], v[9:10], v[5:6]
	v_fma_f64 v[37:38], v[27:28], v[31:32], -v[33:34]
	v_mul_f64 v[17:18], v[13:14], v[17:18]
	v_add_f64 v[23:24], v[41:42], v[25:26]
	v_fma_f64 v[9:10], v[9:10], v[3:4], v[43:44]
	v_add_f64 v[39:40], v[21:22], v[19:20]
	v_fma_f64 v[13:14], v[13:14], v[15:16], v[35:36]
	v_fma_f64 v[3:4], v[7:8], v[3:4], -v[5:6]
	v_add_f64 v[41:42], v[23:24], v[29:30]
	ds_load_b128 v[19:22], v0 offset:5632
	ds_load_b128 v[23:26], v2 offset:1536
	ds_load_b128 v[27:30], v2 offset:1792
	ds_load_b128 v[31:34], v0 offset:5888
	s_waitcnt lgkmcnt(2)
	v_mul_f64 v[43:44], v[23:24], v[21:22]
	v_add_f64 v[5:6], v[39:40], v[37:38]
	s_waitcnt lgkmcnt(0)
	v_mul_f64 v[35:36], v[27:28], v[33:34]
	v_mul_f64 v[21:22], v[25:26], v[21:22]
	v_fma_f64 v[37:38], v[11:12], v[15:16], -v[17:18]
	v_mul_f64 v[33:34], v[29:30], v[33:34]
	v_add_f64 v[7:8], v[41:42], v[9:10]
	v_fma_f64 v[25:26], v[25:26], v[19:20], v[43:44]
	v_add_f64 v[39:40], v[5:6], v[3:4]
	;; [unrolled: 18-line block ×5, first 2 shown]
	v_fma_f64 v[13:14], v[13:14], v[15:16], v[35:36]
	s_delay_alu instid0(VALU_DEP_4)
	v_add_f64 v[41:42], v[23:24], v[29:30]
	ds_load_b128 v[19:22], v0 offset:7680
	ds_load_b128 v[23:26], v2 offset:3584
	;; [unrolled: 1-line block ×4, first 2 shown]
	v_fma_f64 v[2:3], v[7:8], v[3:4], -v[5:6]
	s_waitcnt lgkmcnt(2)
	v_mul_f64 v[43:44], v[23:24], v[21:22]
	v_add_f64 v[4:5], v[39:40], v[37:38]
	v_mul_f64 v[21:22], v[25:26], v[21:22]
	v_add_f64 v[6:7], v[41:42], v[9:10]
	s_waitcnt lgkmcnt(0)
	v_mul_f64 v[8:9], v[27:28], v[33:34]
	v_fma_f64 v[10:11], v[11:12], v[15:16], -v[17:18]
	v_fma_f64 v[25:26], v[25:26], v[19:20], v[43:44]
	v_add_f64 v[2:3], v[4:5], v[2:3]
	v_add_f64 v[4:5], v[6:7], v[13:14]
	v_mul_f64 v[6:7], v[29:30], v[33:34]
	v_fma_f64 v[8:9], v[29:30], v[31:32], v[8:9]
	v_fma_f64 v[12:13], v[23:24], v[19:20], -v[21:22]
	v_add_f64 v[2:3], v[2:3], v[10:11]
	v_mad_u64_u32 v[10:11], null, v1, s30, 0
	v_add_f64 v[4:5], v[4:5], v[25:26]
	v_fma_f64 v[6:7], v[27:28], v[31:32], -v[6:7]
	s_delay_alu instid0(VALU_DEP_4) | instskip(NEXT) | instid1(VALU_DEP_3)
	v_add_f64 v[2:3], v[2:3], v[12:13]
	v_add_f64 v[4:5], v[4:5], v[8:9]
	s_delay_alu instid0(VALU_DEP_2) | instskip(NEXT) | instid1(VALU_DEP_2)
	v_add_f64 v[2:3], v[2:3], v[6:7]
	v_mul_f64 v[6:7], s[4:5], v[4:5]
	v_mul_f64 v[8:9], s[6:7], v[4:5]
	s_delay_alu instid0(VALU_DEP_2) | instskip(NEXT) | instid1(VALU_DEP_2)
	v_fma_f64 v[4:5], s[6:7], v[2:3], v[6:7]
	v_fma_f64 v[2:3], s[4:5], v[2:3], -v[8:9]
	v_mov_b32_e32 v6, v11
	s_delay_alu instid0(VALU_DEP_1) | instskip(NEXT) | instid1(VALU_DEP_1)
	v_mad_u64_u32 v[7:8], null, v1, s31, v[6:7]
	v_mov_b32_e32 v11, v7
	s_delay_alu instid0(VALU_DEP_1) | instskip(NEXT) | instid1(VALU_DEP_1)
	v_lshlrev_b64 v[6:7], 4, v[10:11]
	v_add_co_u32 v1, vcc_lo, s0, v6
	s_delay_alu instid0(VALU_DEP_2) | instskip(NEXT) | instid1(VALU_DEP_2)
	v_add_co_ci_u32_e32 v6, vcc_lo, s1, v7, vcc_lo
	v_add_co_u32 v0, vcc_lo, v1, v0
	s_delay_alu instid0(VALU_DEP_2)
	v_add_co_ci_u32_e32 v1, vcc_lo, 0, v6, vcc_lo
	global_store_b128 v[0:1], v[2:5], off
.LBB141_15:
	s_nop 0
	s_sendmsg sendmsg(MSG_DEALLOC_VGPRS)
	s_endpgm
	.section	.rodata,"a",@progbits
	.p2align	6, 0x0
	.amdhsa_kernel _ZL23rocblas_trmm_rTx_kernelILi16ELb0E19rocblas_complex_numIdES1_KS1_S1_Ev13rocblas_fill_17rocblas_diagonal_iiT2_lPT3_llS7_llPT4_lli
		.amdhsa_group_segment_fixed_size 8192
		.amdhsa_private_segment_fixed_size 0
		.amdhsa_kernarg_size 116
		.amdhsa_user_sgpr_count 14
		.amdhsa_user_sgpr_dispatch_ptr 0
		.amdhsa_user_sgpr_queue_ptr 0
		.amdhsa_user_sgpr_kernarg_segment_ptr 1
		.amdhsa_user_sgpr_dispatch_id 0
		.amdhsa_user_sgpr_private_segment_size 0
		.amdhsa_wavefront_size32 1
		.amdhsa_uses_dynamic_stack 0
		.amdhsa_enable_private_segment 0
		.amdhsa_system_sgpr_workgroup_id_x 1
		.amdhsa_system_sgpr_workgroup_id_y 0
		.amdhsa_system_sgpr_workgroup_id_z 1
		.amdhsa_system_sgpr_workgroup_info 0
		.amdhsa_system_vgpr_workitem_id 1
		.amdhsa_next_free_vgpr 45
		.amdhsa_next_free_sgpr 40
		.amdhsa_reserve_vcc 1
		.amdhsa_float_round_mode_32 0
		.amdhsa_float_round_mode_16_64 0
		.amdhsa_float_denorm_mode_32 3
		.amdhsa_float_denorm_mode_16_64 3
		.amdhsa_dx10_clamp 1
		.amdhsa_ieee_mode 1
		.amdhsa_fp16_overflow 0
		.amdhsa_workgroup_processor_mode 1
		.amdhsa_memory_ordered 1
		.amdhsa_forward_progress 0
		.amdhsa_shared_vgpr_count 0
		.amdhsa_exception_fp_ieee_invalid_op 0
		.amdhsa_exception_fp_denorm_src 0
		.amdhsa_exception_fp_ieee_div_zero 0
		.amdhsa_exception_fp_ieee_overflow 0
		.amdhsa_exception_fp_ieee_underflow 0
		.amdhsa_exception_fp_ieee_inexact 0
		.amdhsa_exception_int_div_zero 0
	.end_amdhsa_kernel
	.section	.text._ZL23rocblas_trmm_rTx_kernelILi16ELb0E19rocblas_complex_numIdES1_KS1_S1_Ev13rocblas_fill_17rocblas_diagonal_iiT2_lPT3_llS7_llPT4_lli,"axG",@progbits,_ZL23rocblas_trmm_rTx_kernelILi16ELb0E19rocblas_complex_numIdES1_KS1_S1_Ev13rocblas_fill_17rocblas_diagonal_iiT2_lPT3_llS7_llPT4_lli,comdat
.Lfunc_end141:
	.size	_ZL23rocblas_trmm_rTx_kernelILi16ELb0E19rocblas_complex_numIdES1_KS1_S1_Ev13rocblas_fill_17rocblas_diagonal_iiT2_lPT3_llS7_llPT4_lli, .Lfunc_end141-_ZL23rocblas_trmm_rTx_kernelILi16ELb0E19rocblas_complex_numIdES1_KS1_S1_Ev13rocblas_fill_17rocblas_diagonal_iiT2_lPT3_llS7_llPT4_lli
                                        ; -- End function
	.section	.AMDGPU.csdata,"",@progbits
; Kernel info:
; codeLenInByte = 1988
; NumSgprs: 42
; NumVgprs: 45
; ScratchSize: 0
; MemoryBound: 0
; FloatMode: 240
; IeeeMode: 1
; LDSByteSize: 8192 bytes/workgroup (compile time only)
; SGPRBlocks: 5
; VGPRBlocks: 5
; NumSGPRsForWavesPerEU: 42
; NumVGPRsForWavesPerEU: 45
; Occupancy: 16
; WaveLimiterHint : 0
; COMPUTE_PGM_RSRC2:SCRATCH_EN: 0
; COMPUTE_PGM_RSRC2:USER_SGPR: 14
; COMPUTE_PGM_RSRC2:TRAP_HANDLER: 0
; COMPUTE_PGM_RSRC2:TGID_X_EN: 1
; COMPUTE_PGM_RSRC2:TGID_Y_EN: 0
; COMPUTE_PGM_RSRC2:TGID_Z_EN: 1
; COMPUTE_PGM_RSRC2:TIDIG_COMP_CNT: 1
	.section	.text._ZL23rocblas_trmm_rTx_kernelILi16ELb1E19rocblas_complex_numIdEPKS1_S2_S1_Ev13rocblas_fill_17rocblas_diagonal_iiT2_lPT3_llS8_llPT4_lli,"axG",@progbits,_ZL23rocblas_trmm_rTx_kernelILi16ELb1E19rocblas_complex_numIdEPKS1_S2_S1_Ev13rocblas_fill_17rocblas_diagonal_iiT2_lPT3_llS8_llPT4_lli,comdat
	.globl	_ZL23rocblas_trmm_rTx_kernelILi16ELb1E19rocblas_complex_numIdEPKS1_S2_S1_Ev13rocblas_fill_17rocblas_diagonal_iiT2_lPT3_llS8_llPT4_lli ; -- Begin function _ZL23rocblas_trmm_rTx_kernelILi16ELb1E19rocblas_complex_numIdEPKS1_S2_S1_Ev13rocblas_fill_17rocblas_diagonal_iiT2_lPT3_llS8_llPT4_lli
	.p2align	8
	.type	_ZL23rocblas_trmm_rTx_kernelILi16ELb1E19rocblas_complex_numIdEPKS1_S2_S1_Ev13rocblas_fill_17rocblas_diagonal_iiT2_lPT3_llS8_llPT4_lli,@function
_ZL23rocblas_trmm_rTx_kernelILi16ELb1E19rocblas_complex_numIdEPKS1_S2_S1_Ev13rocblas_fill_17rocblas_diagonal_iiT2_lPT3_llS8_llPT4_lli: ; @_ZL23rocblas_trmm_rTx_kernelILi16ELb1E19rocblas_complex_numIdEPKS1_S2_S1_Ev13rocblas_fill_17rocblas_diagonal_iiT2_lPT3_llS8_llPT4_lli
; %bb.0:
	s_load_b512 s[16:31], s[0:1], 0x10
	s_waitcnt lgkmcnt(0)
	s_mul_i32 s3, s15, s19
	s_mul_hi_u32 s4, s15, s18
	s_mul_i32 s2, s15, s18
	s_add_i32 s3, s4, s3
	s_delay_alu instid0(SALU_CYCLE_1) | instskip(NEXT) | instid1(SALU_CYCLE_1)
	s_lshl_b64 s[2:3], s[2:3], 4
	s_add_u32 s2, s16, s2
	s_addc_u32 s3, s17, s3
	s_load_b128 s[4:7], s[2:3], 0x0
	s_waitcnt lgkmcnt(0)
	v_cmp_neq_f64_e64 s2, s[4:5], 0
	v_cmp_neq_f64_e64 s3, s[6:7], 0
	s_delay_alu instid0(VALU_DEP_1) | instskip(NEXT) | instid1(SALU_CYCLE_1)
	s_or_b32 s2, s2, s3
	s_and_not1_b32 vcc_lo, exec_lo, s2
	s_cbranch_vccnz .LBB142_15
; %bb.1:
	s_load_b128 s[8:11], s[0:1], 0x0
	v_bfe_u32 v1, v0, 10, 10
	s_mov_b32 s16, 0
	s_delay_alu instid0(SALU_CYCLE_1)
	s_mov_b32 s17, s16
	s_mov_b32 s18, s16
	;; [unrolled: 1-line block ×3, first 2 shown]
	v_dual_mov_b32 v5, s16 :: v_dual_and_b32 v4, 0x3ff, v0
	v_dual_mov_b32 v7, s18 :: v_dual_lshlrev_b32 v2, 4, v1
	v_mov_b32_e32 v6, s17
	v_mov_b32_e32 v8, s19
	s_delay_alu instid0(VALU_DEP_4) | instskip(NEXT) | instid1(VALU_DEP_4)
	v_lshlrev_b32_e32 v0, 4, v4
	v_add_lshl_u32 v3, v2, v4, 4
	ds_store_b128 v3, v[5:8]
	ds_store_b128 v3, v[5:8] offset:4096
	s_waitcnt lgkmcnt(0)
	v_cmp_gt_i32_e32 vcc_lo, s11, v1
	v_cmp_gt_i32_e64 s2, s11, v4
	s_delay_alu instid0(VALU_DEP_1) | instskip(NEXT) | instid1(SALU_CYCLE_1)
	s_and_b32 s2, vcc_lo, s2
	s_and_saveexec_b32 s3, s2
	s_cbranch_execz .LBB142_3
; %bb.2:
	v_mad_u64_u32 v[5:6], null, v1, s22, 0
	s_mul_i32 s2, s15, s25
	s_mul_hi_u32 s11, s15, s24
	s_mul_i32 s12, s15, s24
	s_add_i32 s13, s11, s2
	s_delay_alu instid0(SALU_CYCLE_1) | instskip(NEXT) | instid1(VALU_DEP_1)
	s_lshl_b64 s[12:13], s[12:13], 4
	v_mad_u64_u32 v[7:8], null, v1, s23, v[6:7]
	s_add_u32 s2, s20, s12
	s_addc_u32 s11, s21, s13
	s_delay_alu instid0(VALU_DEP_1) | instskip(NEXT) | instid1(VALU_DEP_1)
	v_mov_b32_e32 v6, v7
	v_lshlrev_b64 v[5:6], 4, v[5:6]
	s_delay_alu instid0(VALU_DEP_1) | instskip(NEXT) | instid1(VALU_DEP_1)
	v_add_co_u32 v5, s2, s2, v5
	v_add_co_ci_u32_e64 v6, s2, s11, v6, s2
	s_delay_alu instid0(VALU_DEP_2) | instskip(NEXT) | instid1(VALU_DEP_1)
	v_add_co_u32 v5, s2, v5, v0
	v_add_co_ci_u32_e64 v6, s2, 0, v6, s2
	global_load_b128 v[5:8], v[5:6], off
	s_waitcnt vmcnt(0)
	v_xor_b32_e32 v8, 0x80000000, v8
	ds_store_b128 v3, v[5:8]
.LBB142_3:
	s_or_b32 exec_lo, exec_lo, s3
	s_add_i32 s2, s10, -1
	s_delay_alu instid0(SALU_CYCLE_1) | instskip(NEXT) | instid1(SALU_CYCLE_1)
	s_ashr_i32 s3, s2, 31
	s_lshr_b32 s3, s3, 28
	s_delay_alu instid0(SALU_CYCLE_1) | instskip(NEXT) | instid1(SALU_CYCLE_1)
	s_add_i32 s2, s2, s3
	s_and_b32 s3, s2, -16
	s_ashr_i32 s2, s2, 4
	s_sub_i32 s3, s10, s3
	s_cmp_ge_i32 s14, s2
	s_cselect_b32 s2, s3, 16
	s_lshl_b32 s10, s14, 4
	v_cmp_gt_i32_e64 s2, s2, v4
	s_ashr_i32 s11, s10, 31
	s_delay_alu instid0(VALU_DEP_1) | instskip(NEXT) | instid1(SALU_CYCLE_1)
	s_and_b32 s2, vcc_lo, s2
	s_and_saveexec_b32 s3, s2
	s_cbranch_execz .LBB142_5
; %bb.4:
	v_mad_u64_u32 v[5:6], null, v1, s28, 0
	s_mul_i32 s13, s15, s31
	s_mul_hi_u32 s14, s15, s30
	s_mul_i32 s12, s15, s30
	s_add_i32 s13, s14, s13
	v_add_nc_u32_e32 v9, 0x1000, v3
	s_lshl_b64 s[12:13], s[12:13], 4
	s_delay_alu instid0(VALU_DEP_2) | instskip(SKIP_3) | instid1(SALU_CYCLE_1)
	v_mad_u64_u32 v[7:8], null, v1, s29, v[6:7]
	s_add_u32 s14, s26, s12
	s_addc_u32 s16, s27, s13
	s_lshl_b64 s[12:13], s[10:11], 4
	s_add_u32 s12, s14, s12
	s_addc_u32 s13, s16, s13
	s_delay_alu instid0(VALU_DEP_1) | instskip(NEXT) | instid1(VALU_DEP_1)
	v_mov_b32_e32 v6, v7
	v_lshlrev_b64 v[5:6], 4, v[5:6]
	s_delay_alu instid0(VALU_DEP_1) | instskip(NEXT) | instid1(VALU_DEP_2)
	v_add_co_u32 v5, vcc_lo, s12, v5
	v_add_co_ci_u32_e32 v6, vcc_lo, s13, v6, vcc_lo
	s_delay_alu instid0(VALU_DEP_2) | instskip(NEXT) | instid1(VALU_DEP_2)
	v_add_co_u32 v5, vcc_lo, v5, v0
	v_add_co_ci_u32_e32 v6, vcc_lo, 0, v6, vcc_lo
	global_load_b128 v[5:8], v[5:6], off
	s_waitcnt vmcnt(0)
	ds_store_2addr_b64 v9, v[5:6], v[7:8] offset1:1
.LBB142_5:
	s_or_b32 exec_lo, exec_lo, s3
	v_cmp_eq_u32_e32 vcc_lo, v1, v4
	s_cmpk_eq_i32 s9, 0x84
	s_cselect_b32 s3, -1, 0
	s_delay_alu instid0(SALU_CYCLE_1) | instskip(NEXT) | instid1(SALU_CYCLE_1)
	s_and_b32 s9, vcc_lo, s3
	s_and_saveexec_b32 s3, s9
	s_cbranch_execz .LBB142_7
; %bb.6:
	v_dual_mov_b32 v5, 0 :: v_dual_mov_b32 v6, 0x3ff00000
	s_delay_alu instid0(VALU_DEP_1)
	v_mov_b32_e32 v7, v5
	v_mov_b32_e32 v8, v5
	ds_store_b128 v3, v[5:8]
.LBB142_7:
	s_or_b32 exec_lo, exec_lo, s3
	s_cmpk_lg_i32 s8, 0x79
	s_cbranch_scc0 .LBB142_9
; %bb.8:
	v_cmp_lt_u32_e32 vcc_lo, v4, v1
	s_and_b32 s3, vcc_lo, exec_lo
	s_cbranch_execz .LBB142_10
	s_branch .LBB142_11
.LBB142_9:
	s_mov_b32 s3, 0
.LBB142_10:
	v_cmp_gt_u32_e32 vcc_lo, v4, v1
	s_and_not1_b32 s3, s3, exec_lo
	s_and_b32 s8, vcc_lo, exec_lo
	s_delay_alu instid0(SALU_CYCLE_1)
	s_or_b32 s3, s3, s8
.LBB142_11:
	s_delay_alu instid0(SALU_CYCLE_1)
	s_and_saveexec_b32 s8, s3
	s_cbranch_execz .LBB142_13
; %bb.12:
	v_mov_b32_e32 v4, 0
	s_delay_alu instid0(VALU_DEP_1)
	v_mov_b32_e32 v5, v4
	v_mov_b32_e32 v6, v4
	;; [unrolled: 1-line block ×3, first 2 shown]
	ds_store_b128 v3, v[4:7]
.LBB142_13:
	s_or_b32 exec_lo, exec_lo, s8
	s_waitcnt lgkmcnt(0)
	s_barrier
	buffer_gl0_inv
	s_and_saveexec_b32 s3, s2
	s_cbranch_execz .LBB142_15
; %bb.14:
	ds_load_b128 v[3:6], v0 offset:4096
	ds_load_b128 v[7:10], v2
	ds_load_b128 v[11:14], v2 offset:256
	ds_load_b128 v[15:18], v0 offset:4352
	s_waitcnt lgkmcnt(2)
	v_mul_f64 v[19:20], v[7:8], v[5:6]
	v_mul_f64 v[5:6], v[9:10], v[5:6]
	s_waitcnt lgkmcnt(0)
	v_mul_f64 v[35:36], v[11:12], v[17:18]
	v_mul_f64 v[17:18], v[13:14], v[17:18]
	s_delay_alu instid0(VALU_DEP_4)
	v_fma_f64 v[9:10], v[9:10], v[3:4], v[19:20]
	ds_load_b128 v[19:22], v0 offset:4608
	ds_load_b128 v[23:26], v2 offset:512
	;; [unrolled: 1-line block ×4, first 2 shown]
	v_fma_f64 v[13:14], v[13:14], v[15:16], v[35:36]
	v_fma_f64 v[3:4], v[7:8], v[3:4], -v[5:6]
	s_waitcnt lgkmcnt(2)
	v_mul_f64 v[37:38], v[23:24], v[21:22]
	v_mul_f64 v[21:22], v[25:26], v[21:22]
	s_waitcnt lgkmcnt(0)
	v_mul_f64 v[35:36], v[27:28], v[33:34]
	v_mul_f64 v[33:34], v[29:30], v[33:34]
	v_add_f64 v[5:6], v[9:10], 0
	v_add_f64 v[39:40], v[3:4], 0
	v_fma_f64 v[25:26], v[25:26], v[19:20], v[37:38]
	v_fma_f64 v[37:38], v[11:12], v[15:16], -v[17:18]
	v_fma_f64 v[29:30], v[29:30], v[31:32], v[35:36]
	v_fma_f64 v[19:20], v[23:24], v[19:20], -v[21:22]
	v_add_f64 v[41:42], v[5:6], v[13:14]
	ds_load_b128 v[3:6], v0 offset:5120
	ds_load_b128 v[7:10], v2 offset:1024
	ds_load_b128 v[11:14], v2 offset:1280
	ds_load_b128 v[15:18], v0 offset:5376
	s_waitcnt lgkmcnt(2)
	v_mul_f64 v[43:44], v[7:8], v[5:6]
	v_add_f64 v[21:22], v[39:40], v[37:38]
	s_waitcnt lgkmcnt(0)
	v_mul_f64 v[35:36], v[11:12], v[17:18]
	v_mul_f64 v[5:6], v[9:10], v[5:6]
	v_fma_f64 v[37:38], v[27:28], v[31:32], -v[33:34]
	v_mul_f64 v[17:18], v[13:14], v[17:18]
	v_add_f64 v[23:24], v[41:42], v[25:26]
	v_fma_f64 v[9:10], v[9:10], v[3:4], v[43:44]
	v_add_f64 v[39:40], v[21:22], v[19:20]
	v_fma_f64 v[13:14], v[13:14], v[15:16], v[35:36]
	v_fma_f64 v[3:4], v[7:8], v[3:4], -v[5:6]
	v_add_f64 v[41:42], v[23:24], v[29:30]
	ds_load_b128 v[19:22], v0 offset:5632
	ds_load_b128 v[23:26], v2 offset:1536
	ds_load_b128 v[27:30], v2 offset:1792
	ds_load_b128 v[31:34], v0 offset:5888
	s_waitcnt lgkmcnt(2)
	v_mul_f64 v[43:44], v[23:24], v[21:22]
	v_add_f64 v[5:6], v[39:40], v[37:38]
	s_waitcnt lgkmcnt(0)
	v_mul_f64 v[35:36], v[27:28], v[33:34]
	v_mul_f64 v[21:22], v[25:26], v[21:22]
	v_fma_f64 v[37:38], v[11:12], v[15:16], -v[17:18]
	v_mul_f64 v[33:34], v[29:30], v[33:34]
	v_add_f64 v[7:8], v[41:42], v[9:10]
	v_fma_f64 v[25:26], v[25:26], v[19:20], v[43:44]
	v_add_f64 v[39:40], v[5:6], v[3:4]
	;; [unrolled: 18-line block ×5, first 2 shown]
	v_fma_f64 v[13:14], v[13:14], v[15:16], v[35:36]
	s_delay_alu instid0(VALU_DEP_4)
	v_add_f64 v[41:42], v[23:24], v[29:30]
	ds_load_b128 v[19:22], v0 offset:7680
	ds_load_b128 v[23:26], v2 offset:3584
	;; [unrolled: 1-line block ×4, first 2 shown]
	v_fma_f64 v[2:3], v[7:8], v[3:4], -v[5:6]
	s_clause 0x1
	s_load_b128 s[16:19], s[0:1], 0x50
	s_load_b64 s[0:1], s[0:1], 0x60
	s_waitcnt lgkmcnt(0)
	v_mul_f64 v[43:44], v[23:24], v[21:22]
	v_add_f64 v[4:5], v[39:40], v[37:38]
	v_mul_f64 v[21:22], v[25:26], v[21:22]
	s_mul_i32 s1, s15, s1
	s_mul_hi_u32 s2, s15, s0
	s_mul_i32 s0, s15, s0
	s_add_i32 s1, s2, s1
	s_delay_alu instid0(SALU_CYCLE_1) | instskip(NEXT) | instid1(SALU_CYCLE_1)
	s_lshl_b64 s[0:1], s[0:1], 4
	s_add_u32 s2, s16, s0
	s_addc_u32 s3, s17, s1
	s_lshl_b64 s[0:1], s[10:11], 4
	s_delay_alu instid0(SALU_CYCLE_1)
	s_add_u32 s0, s2, s0
	s_addc_u32 s1, s3, s1
	v_add_f64 v[6:7], v[41:42], v[9:10]
	v_mul_f64 v[8:9], v[27:28], v[33:34]
	v_fma_f64 v[10:11], v[11:12], v[15:16], -v[17:18]
	v_fma_f64 v[25:26], v[25:26], v[19:20], v[43:44]
	v_add_f64 v[2:3], v[4:5], v[2:3]
	v_add_f64 v[4:5], v[6:7], v[13:14]
	v_mul_f64 v[6:7], v[29:30], v[33:34]
	v_fma_f64 v[8:9], v[29:30], v[31:32], v[8:9]
	v_fma_f64 v[12:13], v[23:24], v[19:20], -v[21:22]
	v_add_f64 v[2:3], v[2:3], v[10:11]
	v_mad_u64_u32 v[10:11], null, v1, s18, 0
	v_add_f64 v[4:5], v[4:5], v[25:26]
	v_fma_f64 v[6:7], v[27:28], v[31:32], -v[6:7]
	s_delay_alu instid0(VALU_DEP_4) | instskip(NEXT) | instid1(VALU_DEP_3)
	v_add_f64 v[2:3], v[2:3], v[12:13]
	v_add_f64 v[4:5], v[4:5], v[8:9]
	s_delay_alu instid0(VALU_DEP_2) | instskip(NEXT) | instid1(VALU_DEP_2)
	v_add_f64 v[2:3], v[2:3], v[6:7]
	v_mul_f64 v[6:7], s[4:5], v[4:5]
	v_mul_f64 v[8:9], s[6:7], v[4:5]
	s_delay_alu instid0(VALU_DEP_2) | instskip(NEXT) | instid1(VALU_DEP_2)
	v_fma_f64 v[4:5], s[6:7], v[2:3], v[6:7]
	v_fma_f64 v[2:3], s[4:5], v[2:3], -v[8:9]
	v_mov_b32_e32 v6, v11
	s_delay_alu instid0(VALU_DEP_1) | instskip(NEXT) | instid1(VALU_DEP_1)
	v_mad_u64_u32 v[7:8], null, v1, s19, v[6:7]
	v_mov_b32_e32 v11, v7
	s_delay_alu instid0(VALU_DEP_1) | instskip(NEXT) | instid1(VALU_DEP_1)
	v_lshlrev_b64 v[6:7], 4, v[10:11]
	v_add_co_u32 v1, vcc_lo, s0, v6
	s_delay_alu instid0(VALU_DEP_2) | instskip(NEXT) | instid1(VALU_DEP_2)
	v_add_co_ci_u32_e32 v6, vcc_lo, s1, v7, vcc_lo
	v_add_co_u32 v0, vcc_lo, v1, v0
	s_delay_alu instid0(VALU_DEP_2)
	v_add_co_ci_u32_e32 v1, vcc_lo, 0, v6, vcc_lo
	global_store_b128 v[0:1], v[2:5], off
.LBB142_15:
	s_nop 0
	s_sendmsg sendmsg(MSG_DEALLOC_VGPRS)
	s_endpgm
	.section	.rodata,"a",@progbits
	.p2align	6, 0x0
	.amdhsa_kernel _ZL23rocblas_trmm_rTx_kernelILi16ELb1E19rocblas_complex_numIdEPKS1_S2_S1_Ev13rocblas_fill_17rocblas_diagonal_iiT2_lPT3_llS8_llPT4_lli
		.amdhsa_group_segment_fixed_size 8192
		.amdhsa_private_segment_fixed_size 0
		.amdhsa_kernarg_size 108
		.amdhsa_user_sgpr_count 14
		.amdhsa_user_sgpr_dispatch_ptr 0
		.amdhsa_user_sgpr_queue_ptr 0
		.amdhsa_user_sgpr_kernarg_segment_ptr 1
		.amdhsa_user_sgpr_dispatch_id 0
		.amdhsa_user_sgpr_private_segment_size 0
		.amdhsa_wavefront_size32 1
		.amdhsa_uses_dynamic_stack 0
		.amdhsa_enable_private_segment 0
		.amdhsa_system_sgpr_workgroup_id_x 1
		.amdhsa_system_sgpr_workgroup_id_y 0
		.amdhsa_system_sgpr_workgroup_id_z 1
		.amdhsa_system_sgpr_workgroup_info 0
		.amdhsa_system_vgpr_workitem_id 1
		.amdhsa_next_free_vgpr 45
		.amdhsa_next_free_sgpr 32
		.amdhsa_reserve_vcc 1
		.amdhsa_float_round_mode_32 0
		.amdhsa_float_round_mode_16_64 0
		.amdhsa_float_denorm_mode_32 3
		.amdhsa_float_denorm_mode_16_64 3
		.amdhsa_dx10_clamp 1
		.amdhsa_ieee_mode 1
		.amdhsa_fp16_overflow 0
		.amdhsa_workgroup_processor_mode 1
		.amdhsa_memory_ordered 1
		.amdhsa_forward_progress 0
		.amdhsa_shared_vgpr_count 0
		.amdhsa_exception_fp_ieee_invalid_op 0
		.amdhsa_exception_fp_denorm_src 0
		.amdhsa_exception_fp_ieee_div_zero 0
		.amdhsa_exception_fp_ieee_overflow 0
		.amdhsa_exception_fp_ieee_underflow 0
		.amdhsa_exception_fp_ieee_inexact 0
		.amdhsa_exception_int_div_zero 0
	.end_amdhsa_kernel
	.section	.text._ZL23rocblas_trmm_rTx_kernelILi16ELb1E19rocblas_complex_numIdEPKS1_S2_S1_Ev13rocblas_fill_17rocblas_diagonal_iiT2_lPT3_llS8_llPT4_lli,"axG",@progbits,_ZL23rocblas_trmm_rTx_kernelILi16ELb1E19rocblas_complex_numIdEPKS1_S2_S1_Ev13rocblas_fill_17rocblas_diagonal_iiT2_lPT3_llS8_llPT4_lli,comdat
.Lfunc_end142:
	.size	_ZL23rocblas_trmm_rTx_kernelILi16ELb1E19rocblas_complex_numIdEPKS1_S2_S1_Ev13rocblas_fill_17rocblas_diagonal_iiT2_lPT3_llS8_llPT4_lli, .Lfunc_end142-_ZL23rocblas_trmm_rTx_kernelILi16ELb1E19rocblas_complex_numIdEPKS1_S2_S1_Ev13rocblas_fill_17rocblas_diagonal_iiT2_lPT3_llS8_llPT4_lli
                                        ; -- End function
	.section	.AMDGPU.csdata,"",@progbits
; Kernel info:
; codeLenInByte = 2044
; NumSgprs: 34
; NumVgprs: 45
; ScratchSize: 0
; MemoryBound: 0
; FloatMode: 240
; IeeeMode: 1
; LDSByteSize: 8192 bytes/workgroup (compile time only)
; SGPRBlocks: 4
; VGPRBlocks: 5
; NumSGPRsForWavesPerEU: 34
; NumVGPRsForWavesPerEU: 45
; Occupancy: 16
; WaveLimiterHint : 0
; COMPUTE_PGM_RSRC2:SCRATCH_EN: 0
; COMPUTE_PGM_RSRC2:USER_SGPR: 14
; COMPUTE_PGM_RSRC2:TRAP_HANDLER: 0
; COMPUTE_PGM_RSRC2:TGID_X_EN: 1
; COMPUTE_PGM_RSRC2:TGID_Y_EN: 0
; COMPUTE_PGM_RSRC2:TGID_Z_EN: 1
; COMPUTE_PGM_RSRC2:TIDIG_COMP_CNT: 1
	.section	.text._ZL23rocblas_trmm_rTx_kernelILi16ELb1E19rocblas_complex_numIdES1_KS1_S1_Ev13rocblas_fill_17rocblas_diagonal_iiT2_lPT3_llS7_llPT4_lli,"axG",@progbits,_ZL23rocblas_trmm_rTx_kernelILi16ELb1E19rocblas_complex_numIdES1_KS1_S1_Ev13rocblas_fill_17rocblas_diagonal_iiT2_lPT3_llS7_llPT4_lli,comdat
	.globl	_ZL23rocblas_trmm_rTx_kernelILi16ELb1E19rocblas_complex_numIdES1_KS1_S1_Ev13rocblas_fill_17rocblas_diagonal_iiT2_lPT3_llS7_llPT4_lli ; -- Begin function _ZL23rocblas_trmm_rTx_kernelILi16ELb1E19rocblas_complex_numIdES1_KS1_S1_Ev13rocblas_fill_17rocblas_diagonal_iiT2_lPT3_llS7_llPT4_lli
	.p2align	8
	.type	_ZL23rocblas_trmm_rTx_kernelILi16ELb1E19rocblas_complex_numIdES1_KS1_S1_Ev13rocblas_fill_17rocblas_diagonal_iiT2_lPT3_llS7_llPT4_lli,@function
_ZL23rocblas_trmm_rTx_kernelILi16ELb1E19rocblas_complex_numIdES1_KS1_S1_Ev13rocblas_fill_17rocblas_diagonal_iiT2_lPT3_llS7_llPT4_lli: ; @_ZL23rocblas_trmm_rTx_kernelILi16ELb1E19rocblas_complex_numIdES1_KS1_S1_Ev13rocblas_fill_17rocblas_diagonal_iiT2_lPT3_llS7_llPT4_lli
; %bb.0:
	s_load_b128 s[4:7], s[0:1], 0x10
	s_waitcnt lgkmcnt(0)
	v_cmp_neq_f64_e64 s2, s[4:5], 0
	v_cmp_neq_f64_e64 s3, s[6:7], 0
	s_delay_alu instid0(VALU_DEP_1) | instskip(NEXT) | instid1(SALU_CYCLE_1)
	s_or_b32 s2, s2, s3
	s_and_not1_b32 vcc_lo, exec_lo, s2
	s_cbranch_vccnz .LBB143_15
; %bb.1:
	s_clause 0x1
	s_load_b128 s[8:11], s[0:1], 0x0
	s_load_b512 s[16:31], s[0:1], 0x28
	v_bfe_u32 v1, v0, 10, 10
	s_mov_b32 s36, 0
	s_delay_alu instid0(SALU_CYCLE_1)
	s_mov_b32 s37, s36
	s_mov_b32 s38, s36
	;; [unrolled: 1-line block ×3, first 2 shown]
	v_dual_mov_b32 v5, s36 :: v_dual_and_b32 v4, 0x3ff, v0
	v_dual_mov_b32 v7, s38 :: v_dual_lshlrev_b32 v2, 4, v1
	v_mov_b32_e32 v6, s37
	v_mov_b32_e32 v8, s39
	s_delay_alu instid0(VALU_DEP_4) | instskip(NEXT) | instid1(VALU_DEP_4)
	v_lshlrev_b32_e32 v0, 4, v4
	v_add_lshl_u32 v3, v2, v4, 4
	ds_store_b128 v3, v[5:8]
	ds_store_b128 v3, v[5:8] offset:4096
	s_waitcnt lgkmcnt(0)
	v_cmp_gt_i32_e32 vcc_lo, s11, v1
	v_cmp_gt_i32_e64 s2, s11, v4
	s_delay_alu instid0(VALU_DEP_1) | instskip(NEXT) | instid1(SALU_CYCLE_1)
	s_and_b32 s2, vcc_lo, s2
	s_and_saveexec_b32 s3, s2
	s_cbranch_execz .LBB143_3
; %bb.2:
	v_mad_u64_u32 v[5:6], null, v1, s18, 0
	s_mul_i32 s2, s15, s21
	s_mul_hi_u32 s11, s15, s20
	s_mul_i32 s12, s15, s20
	s_add_i32 s13, s11, s2
	s_delay_alu instid0(SALU_CYCLE_1) | instskip(NEXT) | instid1(VALU_DEP_1)
	s_lshl_b64 s[12:13], s[12:13], 4
	v_mad_u64_u32 v[7:8], null, v1, s19, v[6:7]
	s_add_u32 s2, s16, s12
	s_addc_u32 s11, s17, s13
	s_delay_alu instid0(VALU_DEP_1) | instskip(NEXT) | instid1(VALU_DEP_1)
	v_mov_b32_e32 v6, v7
	v_lshlrev_b64 v[5:6], 4, v[5:6]
	s_delay_alu instid0(VALU_DEP_1) | instskip(NEXT) | instid1(VALU_DEP_1)
	v_add_co_u32 v5, s2, s2, v5
	v_add_co_ci_u32_e64 v6, s2, s11, v6, s2
	s_delay_alu instid0(VALU_DEP_2) | instskip(NEXT) | instid1(VALU_DEP_1)
	v_add_co_u32 v5, s2, v5, v0
	v_add_co_ci_u32_e64 v6, s2, 0, v6, s2
	global_load_b128 v[5:8], v[5:6], off
	s_waitcnt vmcnt(0)
	v_xor_b32_e32 v8, 0x80000000, v8
	ds_store_b128 v3, v[5:8]
.LBB143_3:
	s_or_b32 exec_lo, exec_lo, s3
	s_add_i32 s2, s10, -1
	s_delay_alu instid0(SALU_CYCLE_1) | instskip(NEXT) | instid1(SALU_CYCLE_1)
	s_ashr_i32 s3, s2, 31
	s_lshr_b32 s3, s3, 28
	s_delay_alu instid0(SALU_CYCLE_1) | instskip(NEXT) | instid1(SALU_CYCLE_1)
	s_add_i32 s2, s2, s3
	s_and_b32 s3, s2, -16
	s_ashr_i32 s2, s2, 4
	s_sub_i32 s3, s10, s3
	s_cmp_ge_i32 s14, s2
	s_cselect_b32 s2, s3, 16
	s_lshl_b32 s10, s14, 4
	v_cmp_gt_i32_e64 s2, s2, v4
	s_ashr_i32 s11, s10, 31
	s_delay_alu instid0(VALU_DEP_1) | instskip(NEXT) | instid1(SALU_CYCLE_1)
	s_and_b32 s2, vcc_lo, s2
	s_and_saveexec_b32 s3, s2
	s_cbranch_execz .LBB143_5
; %bb.4:
	v_mad_u64_u32 v[5:6], null, v1, s24, 0
	s_mul_i32 s13, s15, s27
	s_mul_hi_u32 s14, s15, s26
	s_mul_i32 s12, s15, s26
	s_add_i32 s13, s14, s13
	v_add_nc_u32_e32 v9, 0x1000, v3
	s_lshl_b64 s[12:13], s[12:13], 4
	s_delay_alu instid0(VALU_DEP_2) | instskip(SKIP_3) | instid1(SALU_CYCLE_1)
	v_mad_u64_u32 v[7:8], null, v1, s25, v[6:7]
	s_add_u32 s14, s22, s12
	s_addc_u32 s16, s23, s13
	s_lshl_b64 s[12:13], s[10:11], 4
	s_add_u32 s12, s14, s12
	s_addc_u32 s13, s16, s13
	s_delay_alu instid0(VALU_DEP_1) | instskip(NEXT) | instid1(VALU_DEP_1)
	v_mov_b32_e32 v6, v7
	v_lshlrev_b64 v[5:6], 4, v[5:6]
	s_delay_alu instid0(VALU_DEP_1) | instskip(NEXT) | instid1(VALU_DEP_2)
	v_add_co_u32 v5, vcc_lo, s12, v5
	v_add_co_ci_u32_e32 v6, vcc_lo, s13, v6, vcc_lo
	s_delay_alu instid0(VALU_DEP_2) | instskip(NEXT) | instid1(VALU_DEP_2)
	v_add_co_u32 v5, vcc_lo, v5, v0
	v_add_co_ci_u32_e32 v6, vcc_lo, 0, v6, vcc_lo
	global_load_b128 v[5:8], v[5:6], off
	s_waitcnt vmcnt(0)
	ds_store_2addr_b64 v9, v[5:6], v[7:8] offset1:1
.LBB143_5:
	s_or_b32 exec_lo, exec_lo, s3
	v_cmp_eq_u32_e32 vcc_lo, v1, v4
	s_cmpk_eq_i32 s9, 0x84
	s_cselect_b32 s3, -1, 0
	s_delay_alu instid0(SALU_CYCLE_1) | instskip(NEXT) | instid1(SALU_CYCLE_1)
	s_and_b32 s9, vcc_lo, s3
	s_and_saveexec_b32 s3, s9
	s_cbranch_execz .LBB143_7
; %bb.6:
	v_dual_mov_b32 v5, 0 :: v_dual_mov_b32 v6, 0x3ff00000
	s_delay_alu instid0(VALU_DEP_1)
	v_mov_b32_e32 v7, v5
	v_mov_b32_e32 v8, v5
	ds_store_b128 v3, v[5:8]
.LBB143_7:
	s_or_b32 exec_lo, exec_lo, s3
	s_cmpk_lg_i32 s8, 0x79
	s_cbranch_scc0 .LBB143_9
; %bb.8:
	v_cmp_lt_u32_e32 vcc_lo, v4, v1
	s_and_b32 s3, vcc_lo, exec_lo
	s_cbranch_execz .LBB143_10
	s_branch .LBB143_11
.LBB143_9:
	s_mov_b32 s3, 0
.LBB143_10:
	v_cmp_gt_u32_e32 vcc_lo, v4, v1
	s_and_not1_b32 s3, s3, exec_lo
	s_and_b32 s8, vcc_lo, exec_lo
	s_delay_alu instid0(SALU_CYCLE_1)
	s_or_b32 s3, s3, s8
.LBB143_11:
	s_delay_alu instid0(SALU_CYCLE_1)
	s_and_saveexec_b32 s8, s3
	s_cbranch_execz .LBB143_13
; %bb.12:
	v_mov_b32_e32 v4, 0
	s_delay_alu instid0(VALU_DEP_1)
	v_mov_b32_e32 v5, v4
	v_mov_b32_e32 v6, v4
	;; [unrolled: 1-line block ×3, first 2 shown]
	ds_store_b128 v3, v[4:7]
.LBB143_13:
	s_or_b32 exec_lo, exec_lo, s8
	s_waitcnt lgkmcnt(0)
	s_barrier
	buffer_gl0_inv
	s_and_saveexec_b32 s3, s2
	s_cbranch_execz .LBB143_15
; %bb.14:
	ds_load_b128 v[3:6], v0 offset:4096
	ds_load_b128 v[7:10], v2
	ds_load_b128 v[11:14], v2 offset:256
	ds_load_b128 v[15:18], v0 offset:4352
	s_load_b64 s[0:1], s[0:1], 0x68
	s_waitcnt lgkmcnt(0)
	v_mul_f64 v[19:20], v[7:8], v[5:6]
	v_mul_f64 v[5:6], v[9:10], v[5:6]
	;; [unrolled: 1-line block ×4, first 2 shown]
	s_mul_i32 s1, s15, s1
	s_mul_hi_u32 s2, s15, s0
	s_mul_i32 s0, s15, s0
	s_add_i32 s1, s2, s1
	s_delay_alu instid0(SALU_CYCLE_1) | instskip(NEXT) | instid1(SALU_CYCLE_1)
	s_lshl_b64 s[0:1], s[0:1], 4
	s_add_u32 s2, s28, s0
	s_addc_u32 s3, s29, s1
	s_lshl_b64 s[0:1], s[10:11], 4
	s_delay_alu instid0(SALU_CYCLE_1) | instskip(SKIP_1) | instid1(VALU_DEP_4)
	s_add_u32 s0, s2, s0
	s_addc_u32 s1, s3, s1
	v_fma_f64 v[9:10], v[9:10], v[3:4], v[19:20]
	ds_load_b128 v[19:22], v0 offset:4608
	ds_load_b128 v[23:26], v2 offset:512
	;; [unrolled: 1-line block ×4, first 2 shown]
	v_fma_f64 v[13:14], v[13:14], v[15:16], v[35:36]
	v_fma_f64 v[3:4], v[7:8], v[3:4], -v[5:6]
	s_waitcnt lgkmcnt(2)
	v_mul_f64 v[37:38], v[23:24], v[21:22]
	v_mul_f64 v[21:22], v[25:26], v[21:22]
	s_waitcnt lgkmcnt(0)
	v_mul_f64 v[35:36], v[27:28], v[33:34]
	v_mul_f64 v[33:34], v[29:30], v[33:34]
	v_add_f64 v[5:6], v[9:10], 0
	v_add_f64 v[39:40], v[3:4], 0
	v_fma_f64 v[25:26], v[25:26], v[19:20], v[37:38]
	v_fma_f64 v[37:38], v[11:12], v[15:16], -v[17:18]
	v_fma_f64 v[29:30], v[29:30], v[31:32], v[35:36]
	v_fma_f64 v[19:20], v[23:24], v[19:20], -v[21:22]
	v_add_f64 v[41:42], v[5:6], v[13:14]
	ds_load_b128 v[3:6], v0 offset:5120
	ds_load_b128 v[7:10], v2 offset:1024
	ds_load_b128 v[11:14], v2 offset:1280
	ds_load_b128 v[15:18], v0 offset:5376
	s_waitcnt lgkmcnt(2)
	v_mul_f64 v[43:44], v[7:8], v[5:6]
	v_add_f64 v[21:22], v[39:40], v[37:38]
	s_waitcnt lgkmcnt(0)
	v_mul_f64 v[35:36], v[11:12], v[17:18]
	v_mul_f64 v[5:6], v[9:10], v[5:6]
	v_fma_f64 v[37:38], v[27:28], v[31:32], -v[33:34]
	v_mul_f64 v[17:18], v[13:14], v[17:18]
	v_add_f64 v[23:24], v[41:42], v[25:26]
	v_fma_f64 v[9:10], v[9:10], v[3:4], v[43:44]
	v_add_f64 v[39:40], v[21:22], v[19:20]
	v_fma_f64 v[13:14], v[13:14], v[15:16], v[35:36]
	v_fma_f64 v[3:4], v[7:8], v[3:4], -v[5:6]
	v_add_f64 v[41:42], v[23:24], v[29:30]
	ds_load_b128 v[19:22], v0 offset:5632
	ds_load_b128 v[23:26], v2 offset:1536
	ds_load_b128 v[27:30], v2 offset:1792
	ds_load_b128 v[31:34], v0 offset:5888
	s_waitcnt lgkmcnt(2)
	v_mul_f64 v[43:44], v[23:24], v[21:22]
	v_add_f64 v[5:6], v[39:40], v[37:38]
	s_waitcnt lgkmcnt(0)
	v_mul_f64 v[35:36], v[27:28], v[33:34]
	v_mul_f64 v[21:22], v[25:26], v[21:22]
	v_fma_f64 v[37:38], v[11:12], v[15:16], -v[17:18]
	v_mul_f64 v[33:34], v[29:30], v[33:34]
	v_add_f64 v[7:8], v[41:42], v[9:10]
	v_fma_f64 v[25:26], v[25:26], v[19:20], v[43:44]
	v_add_f64 v[39:40], v[5:6], v[3:4]
	v_fma_f64 v[29:30], v[29:30], v[31:32], v[35:36]
	v_fma_f64 v[19:20], v[23:24], v[19:20], -v[21:22]
	v_add_f64 v[41:42], v[7:8], v[13:14]
	ds_load_b128 v[3:6], v0 offset:6144
	ds_load_b128 v[7:10], v2 offset:2048
	ds_load_b128 v[11:14], v2 offset:2304
	ds_load_b128 v[15:18], v0 offset:6400
	s_waitcnt lgkmcnt(2)
	v_mul_f64 v[43:44], v[7:8], v[5:6]
	v_add_f64 v[21:22], v[39:40], v[37:38]
	s_waitcnt lgkmcnt(0)
	v_mul_f64 v[35:36], v[11:12], v[17:18]
	v_mul_f64 v[5:6], v[9:10], v[5:6]
	v_fma_f64 v[37:38], v[27:28], v[31:32], -v[33:34]
	v_mul_f64 v[17:18], v[13:14], v[17:18]
	v_add_f64 v[23:24], v[41:42], v[25:26]
	v_fma_f64 v[9:10], v[9:10], v[3:4], v[43:44]
	v_add_f64 v[39:40], v[21:22], v[19:20]
	v_fma_f64 v[13:14], v[13:14], v[15:16], v[35:36]
	v_fma_f64 v[3:4], v[7:8], v[3:4], -v[5:6]
	v_add_f64 v[41:42], v[23:24], v[29:30]
	ds_load_b128 v[19:22], v0 offset:6656
	ds_load_b128 v[23:26], v2 offset:2560
	ds_load_b128 v[27:30], v2 offset:2816
	ds_load_b128 v[31:34], v0 offset:6912
	s_waitcnt lgkmcnt(2)
	v_mul_f64 v[43:44], v[23:24], v[21:22]
	v_add_f64 v[5:6], v[39:40], v[37:38]
	s_waitcnt lgkmcnt(0)
	v_mul_f64 v[35:36], v[27:28], v[33:34]
	v_mul_f64 v[21:22], v[25:26], v[21:22]
	v_fma_f64 v[37:38], v[11:12], v[15:16], -v[17:18]
	v_mul_f64 v[33:34], v[29:30], v[33:34]
	v_add_f64 v[7:8], v[41:42], v[9:10]
	v_fma_f64 v[25:26], v[25:26], v[19:20], v[43:44]
	v_add_f64 v[39:40], v[5:6], v[3:4]
	v_fma_f64 v[29:30], v[29:30], v[31:32], v[35:36]
	v_fma_f64 v[19:20], v[23:24], v[19:20], -v[21:22]
	v_add_f64 v[41:42], v[7:8], v[13:14]
	ds_load_b128 v[3:6], v0 offset:7168
	ds_load_b128 v[7:10], v2 offset:3072
	ds_load_b128 v[11:14], v2 offset:3328
	ds_load_b128 v[15:18], v0 offset:7424
	s_waitcnt lgkmcnt(2)
	v_mul_f64 v[43:44], v[7:8], v[5:6]
	v_add_f64 v[21:22], v[39:40], v[37:38]
	s_waitcnt lgkmcnt(0)
	v_mul_f64 v[35:36], v[11:12], v[17:18]
	v_mul_f64 v[5:6], v[9:10], v[5:6]
	v_fma_f64 v[37:38], v[27:28], v[31:32], -v[33:34]
	v_mul_f64 v[17:18], v[13:14], v[17:18]
	v_add_f64 v[23:24], v[41:42], v[25:26]
	v_fma_f64 v[9:10], v[9:10], v[3:4], v[43:44]
	v_add_f64 v[39:40], v[21:22], v[19:20]
	v_fma_f64 v[13:14], v[13:14], v[15:16], v[35:36]
	s_delay_alu instid0(VALU_DEP_4)
	v_add_f64 v[41:42], v[23:24], v[29:30]
	ds_load_b128 v[19:22], v0 offset:7680
	ds_load_b128 v[23:26], v2 offset:3584
	;; [unrolled: 1-line block ×4, first 2 shown]
	v_fma_f64 v[2:3], v[7:8], v[3:4], -v[5:6]
	s_waitcnt lgkmcnt(2)
	v_mul_f64 v[43:44], v[23:24], v[21:22]
	v_add_f64 v[4:5], v[39:40], v[37:38]
	v_mul_f64 v[21:22], v[25:26], v[21:22]
	v_add_f64 v[6:7], v[41:42], v[9:10]
	s_waitcnt lgkmcnt(0)
	v_mul_f64 v[8:9], v[27:28], v[33:34]
	v_fma_f64 v[10:11], v[11:12], v[15:16], -v[17:18]
	v_fma_f64 v[25:26], v[25:26], v[19:20], v[43:44]
	v_add_f64 v[2:3], v[4:5], v[2:3]
	v_add_f64 v[4:5], v[6:7], v[13:14]
	v_mul_f64 v[6:7], v[29:30], v[33:34]
	v_fma_f64 v[8:9], v[29:30], v[31:32], v[8:9]
	v_fma_f64 v[12:13], v[23:24], v[19:20], -v[21:22]
	v_add_f64 v[2:3], v[2:3], v[10:11]
	v_mad_u64_u32 v[10:11], null, v1, s30, 0
	v_add_f64 v[4:5], v[4:5], v[25:26]
	v_fma_f64 v[6:7], v[27:28], v[31:32], -v[6:7]
	s_delay_alu instid0(VALU_DEP_4) | instskip(NEXT) | instid1(VALU_DEP_3)
	v_add_f64 v[2:3], v[2:3], v[12:13]
	v_add_f64 v[4:5], v[4:5], v[8:9]
	s_delay_alu instid0(VALU_DEP_2) | instskip(NEXT) | instid1(VALU_DEP_2)
	v_add_f64 v[2:3], v[2:3], v[6:7]
	v_mul_f64 v[6:7], s[4:5], v[4:5]
	v_mul_f64 v[8:9], s[6:7], v[4:5]
	s_delay_alu instid0(VALU_DEP_2) | instskip(NEXT) | instid1(VALU_DEP_2)
	v_fma_f64 v[4:5], s[6:7], v[2:3], v[6:7]
	v_fma_f64 v[2:3], s[4:5], v[2:3], -v[8:9]
	v_mov_b32_e32 v6, v11
	s_delay_alu instid0(VALU_DEP_1) | instskip(NEXT) | instid1(VALU_DEP_1)
	v_mad_u64_u32 v[7:8], null, v1, s31, v[6:7]
	v_mov_b32_e32 v11, v7
	s_delay_alu instid0(VALU_DEP_1) | instskip(NEXT) | instid1(VALU_DEP_1)
	v_lshlrev_b64 v[6:7], 4, v[10:11]
	v_add_co_u32 v1, vcc_lo, s0, v6
	s_delay_alu instid0(VALU_DEP_2) | instskip(NEXT) | instid1(VALU_DEP_2)
	v_add_co_ci_u32_e32 v6, vcc_lo, s1, v7, vcc_lo
	v_add_co_u32 v0, vcc_lo, v1, v0
	s_delay_alu instid0(VALU_DEP_2)
	v_add_co_ci_u32_e32 v1, vcc_lo, 0, v6, vcc_lo
	global_store_b128 v[0:1], v[2:5], off
.LBB143_15:
	s_nop 0
	s_sendmsg sendmsg(MSG_DEALLOC_VGPRS)
	s_endpgm
	.section	.rodata,"a",@progbits
	.p2align	6, 0x0
	.amdhsa_kernel _ZL23rocblas_trmm_rTx_kernelILi16ELb1E19rocblas_complex_numIdES1_KS1_S1_Ev13rocblas_fill_17rocblas_diagonal_iiT2_lPT3_llS7_llPT4_lli
		.amdhsa_group_segment_fixed_size 8192
		.amdhsa_private_segment_fixed_size 0
		.amdhsa_kernarg_size 116
		.amdhsa_user_sgpr_count 14
		.amdhsa_user_sgpr_dispatch_ptr 0
		.amdhsa_user_sgpr_queue_ptr 0
		.amdhsa_user_sgpr_kernarg_segment_ptr 1
		.amdhsa_user_sgpr_dispatch_id 0
		.amdhsa_user_sgpr_private_segment_size 0
		.amdhsa_wavefront_size32 1
		.amdhsa_uses_dynamic_stack 0
		.amdhsa_enable_private_segment 0
		.amdhsa_system_sgpr_workgroup_id_x 1
		.amdhsa_system_sgpr_workgroup_id_y 0
		.amdhsa_system_sgpr_workgroup_id_z 1
		.amdhsa_system_sgpr_workgroup_info 0
		.amdhsa_system_vgpr_workitem_id 1
		.amdhsa_next_free_vgpr 45
		.amdhsa_next_free_sgpr 40
		.amdhsa_reserve_vcc 1
		.amdhsa_float_round_mode_32 0
		.amdhsa_float_round_mode_16_64 0
		.amdhsa_float_denorm_mode_32 3
		.amdhsa_float_denorm_mode_16_64 3
		.amdhsa_dx10_clamp 1
		.amdhsa_ieee_mode 1
		.amdhsa_fp16_overflow 0
		.amdhsa_workgroup_processor_mode 1
		.amdhsa_memory_ordered 1
		.amdhsa_forward_progress 0
		.amdhsa_shared_vgpr_count 0
		.amdhsa_exception_fp_ieee_invalid_op 0
		.amdhsa_exception_fp_denorm_src 0
		.amdhsa_exception_fp_ieee_div_zero 0
		.amdhsa_exception_fp_ieee_overflow 0
		.amdhsa_exception_fp_ieee_underflow 0
		.amdhsa_exception_fp_ieee_inexact 0
		.amdhsa_exception_int_div_zero 0
	.end_amdhsa_kernel
	.section	.text._ZL23rocblas_trmm_rTx_kernelILi16ELb1E19rocblas_complex_numIdES1_KS1_S1_Ev13rocblas_fill_17rocblas_diagonal_iiT2_lPT3_llS7_llPT4_lli,"axG",@progbits,_ZL23rocblas_trmm_rTx_kernelILi16ELb1E19rocblas_complex_numIdES1_KS1_S1_Ev13rocblas_fill_17rocblas_diagonal_iiT2_lPT3_llS7_llPT4_lli,comdat
.Lfunc_end143:
	.size	_ZL23rocblas_trmm_rTx_kernelILi16ELb1E19rocblas_complex_numIdES1_KS1_S1_Ev13rocblas_fill_17rocblas_diagonal_iiT2_lPT3_llS7_llPT4_lli, .Lfunc_end143-_ZL23rocblas_trmm_rTx_kernelILi16ELb1E19rocblas_complex_numIdES1_KS1_S1_Ev13rocblas_fill_17rocblas_diagonal_iiT2_lPT3_llS7_llPT4_lli
                                        ; -- End function
	.section	.AMDGPU.csdata,"",@progbits
; Kernel info:
; codeLenInByte = 1996
; NumSgprs: 42
; NumVgprs: 45
; ScratchSize: 0
; MemoryBound: 0
; FloatMode: 240
; IeeeMode: 1
; LDSByteSize: 8192 bytes/workgroup (compile time only)
; SGPRBlocks: 5
; VGPRBlocks: 5
; NumSGPRsForWavesPerEU: 42
; NumVGPRsForWavesPerEU: 45
; Occupancy: 16
; WaveLimiterHint : 0
; COMPUTE_PGM_RSRC2:SCRATCH_EN: 0
; COMPUTE_PGM_RSRC2:USER_SGPR: 14
; COMPUTE_PGM_RSRC2:TRAP_HANDLER: 0
; COMPUTE_PGM_RSRC2:TGID_X_EN: 1
; COMPUTE_PGM_RSRC2:TGID_Y_EN: 0
; COMPUTE_PGM_RSRC2:TGID_Z_EN: 1
; COMPUTE_PGM_RSRC2:TIDIG_COMP_CNT: 1
	.section	.text._ZL23rocblas_trmm_lNx_kernelILi32EfPKfKS1_KPfEv13rocblas_fill_17rocblas_diagonal_iiT1_lPT2_llS9_llPT3_lli,"axG",@progbits,_ZL23rocblas_trmm_lNx_kernelILi32EfPKfKS1_KPfEv13rocblas_fill_17rocblas_diagonal_iiT1_lPT2_llS9_llPT3_lli,comdat
	.globl	_ZL23rocblas_trmm_lNx_kernelILi32EfPKfKS1_KPfEv13rocblas_fill_17rocblas_diagonal_iiT1_lPT2_llS9_llPT3_lli ; -- Begin function _ZL23rocblas_trmm_lNx_kernelILi32EfPKfKS1_KPfEv13rocblas_fill_17rocblas_diagonal_iiT1_lPT2_llS9_llPT3_lli
	.p2align	8
	.type	_ZL23rocblas_trmm_lNx_kernelILi32EfPKfKS1_KPfEv13rocblas_fill_17rocblas_diagonal_iiT1_lPT2_llS9_llPT3_lli,@function
_ZL23rocblas_trmm_lNx_kernelILi32EfPKfKS1_KPfEv13rocblas_fill_17rocblas_diagonal_iiT1_lPT2_llS9_llPT3_lli: ; @_ZL23rocblas_trmm_lNx_kernelILi32EfPKfKS1_KPfEv13rocblas_fill_17rocblas_diagonal_iiT1_lPT2_llS9_llPT3_lli
; %bb.0:
	s_load_b512 s[16:31], s[0:1], 0x10
	s_mov_b32 s2, s15
	s_waitcnt lgkmcnt(0)
	s_mul_i32 s3, s15, s19
	s_mul_hi_u32 s4, s15, s18
	s_delay_alu instid0(SALU_CYCLE_1) | instskip(SKIP_1) | instid1(SALU_CYCLE_1)
	s_add_i32 s5, s4, s3
	s_mul_i32 s4, s15, s18
	s_lshl_b64 s[4:5], s[4:5], 2
	s_delay_alu instid0(SALU_CYCLE_1) | instskip(SKIP_4) | instid1(VALU_DEP_1)
	s_add_u32 s4, s16, s4
	s_addc_u32 s5, s17, s5
	s_load_b32 s15, s[4:5], 0x0
	s_waitcnt lgkmcnt(0)
	v_cmp_eq_f32_e64 s3, s15, 0
	s_and_b32 vcc_lo, exec_lo, s3
	s_mov_b32 s3, 0
	s_cbranch_vccnz .LBB144_15
; %bb.1:
	s_clause 0x1
	s_load_b128 s[4:7], s[0:1], 0x50
	s_load_b128 s[8:11], s[0:1], 0x0
	s_lshl_b64 s[16:17], s[2:3], 3
	v_bfe_u32 v1, v0, 10, 10
	s_add_u32 s2, s26, s16
	s_addc_u32 s3, s27, s17
	v_dual_mov_b32 v5, 0 :: v_dual_and_b32 v4, 0x3ff, v0
	s_delay_alu instid0(VALU_DEP_2) | instskip(NEXT) | instid1(VALU_DEP_2)
	v_lshlrev_b32_e32 v2, 5, v1
	v_lshlrev_b32_e32 v0, 2, v4
	s_delay_alu instid0(VALU_DEP_2)
	v_add_lshl_u32 v3, v2, v4, 2
	s_waitcnt lgkmcnt(0)
	s_add_u32 s4, s4, s16
	s_addc_u32 s5, s5, s17
	s_load_b64 s[12:13], s[2:3], 0x0
	s_load_b64 s[4:5], s[4:5], 0x0
	v_cmp_gt_i32_e64 s2, s10, v1
	v_cmp_gt_i32_e32 vcc_lo, s10, v4
	ds_store_2addr_stride64_b32 v3, v5, v5 offset1:16
	s_and_b32 s2, s2, vcc_lo
	s_delay_alu instid0(SALU_CYCLE_1)
	s_and_saveexec_b32 s3, s2
	s_cbranch_execz .LBB144_3
; %bb.2:
	v_mad_u64_u32 v[5:6], null, v1, s22, 0
	s_add_u32 s16, s20, s16
	s_addc_u32 s17, s21, s17
	s_lshl_b64 s[18:19], s[24:25], 2
	s_load_b64 s[16:17], s[16:17], 0x0
	s_delay_alu instid0(VALU_DEP_1) | instskip(NEXT) | instid1(VALU_DEP_1)
	v_mad_u64_u32 v[7:8], null, v1, s23, v[6:7]
	v_mov_b32_e32 v6, v7
	s_delay_alu instid0(VALU_DEP_1) | instskip(SKIP_3) | instid1(VALU_DEP_1)
	v_lshlrev_b64 v[5:6], 2, v[5:6]
	s_waitcnt lgkmcnt(0)
	s_add_u32 s2, s16, s18
	s_addc_u32 s10, s17, s19
	v_add_co_u32 v5, s2, s2, v5
	s_delay_alu instid0(VALU_DEP_1) | instskip(NEXT) | instid1(VALU_DEP_2)
	v_add_co_ci_u32_e64 v6, s2, s10, v6, s2
	v_add_co_u32 v5, s2, v5, v0
	s_delay_alu instid0(VALU_DEP_1)
	v_add_co_ci_u32_e64 v6, s2, 0, v6, s2
	global_load_b32 v5, v[5:6], off
	s_waitcnt vmcnt(0)
	ds_store_b32 v3, v5
.LBB144_3:
	s_or_b32 exec_lo, exec_lo, s3
	s_add_i32 s2, s11, -1
	s_delay_alu instid0(SALU_CYCLE_1) | instskip(NEXT) | instid1(SALU_CYCLE_1)
	s_ashr_i32 s3, s2, 31
	s_lshr_b32 s3, s3, 27
	s_delay_alu instid0(SALU_CYCLE_1) | instskip(NEXT) | instid1(SALU_CYCLE_1)
	s_add_i32 s2, s2, s3
	s_and_b32 s3, s2, 0xffffffe0
	s_ashr_i32 s2, s2, 5
	s_sub_i32 s3, s11, s3
	s_cmp_ge_i32 s14, s2
	s_cselect_b32 s2, s3, 32
	s_lshl_b32 s3, s14, 5
	v_cmp_gt_i32_e64 s2, s2, v1
	s_ashr_i32 s10, s3, 31
	s_delay_alu instid0(VALU_DEP_1) | instskip(NEXT) | instid1(SALU_CYCLE_1)
	s_and_b32 s2, vcc_lo, s2
	s_and_saveexec_b32 s11, s2
	s_cbranch_execz .LBB144_5
; %bb.4:
	v_mad_u64_u32 v[5:6], null, v1, s28, 0
	s_lshl_b64 s[16:17], s[30:31], 2
	s_mul_i32 s14, s3, s29
	s_mul_hi_u32 s18, s3, s28
	s_waitcnt lgkmcnt(0)
	s_add_u32 s16, s12, s16
	s_mul_i32 s19, s10, s28
	s_addc_u32 s17, s13, s17
	v_mad_u64_u32 v[7:8], null, v1, s29, v[6:7]
	s_add_i32 s13, s18, s14
	s_mul_i32 s12, s3, s28
	s_add_i32 s13, s13, s19
	s_delay_alu instid0(SALU_CYCLE_1) | instskip(NEXT) | instid1(SALU_CYCLE_1)
	s_lshl_b64 s[12:13], s[12:13], 2
	s_add_u32 s12, s16, s12
	s_delay_alu instid0(VALU_DEP_1) | instskip(SKIP_1) | instid1(VALU_DEP_1)
	v_mov_b32_e32 v6, v7
	s_addc_u32 s13, s17, s13
	v_lshlrev_b64 v[5:6], 2, v[5:6]
	s_delay_alu instid0(VALU_DEP_1) | instskip(NEXT) | instid1(VALU_DEP_2)
	v_add_co_u32 v5, vcc_lo, s12, v5
	v_add_co_ci_u32_e32 v6, vcc_lo, s13, v6, vcc_lo
	s_delay_alu instid0(VALU_DEP_2) | instskip(NEXT) | instid1(VALU_DEP_2)
	v_add_co_u32 v5, vcc_lo, v5, v0
	v_add_co_ci_u32_e32 v6, vcc_lo, 0, v6, vcc_lo
	global_load_b32 v5, v[5:6], off
	v_add_nc_u32_e32 v6, 0x1000, v3
	s_waitcnt vmcnt(0)
	ds_store_b32 v6, v5
.LBB144_5:
	s_or_b32 exec_lo, exec_lo, s11
	v_cmp_eq_u32_e32 vcc_lo, v1, v4
	s_cmpk_eq_i32 s9, 0x84
	s_cselect_b32 s9, -1, 0
	s_delay_alu instid0(SALU_CYCLE_1) | instskip(NEXT) | instid1(SALU_CYCLE_1)
	s_and_b32 s11, vcc_lo, s9
	s_and_saveexec_b32 s9, s11
	s_cbranch_execz .LBB144_7
; %bb.6:
	v_mov_b32_e32 v5, 1.0
	ds_store_b32 v3, v5
.LBB144_7:
	s_or_b32 exec_lo, exec_lo, s9
	s_cmpk_lg_i32 s8, 0x79
	s_cbranch_scc0 .LBB144_9
; %bb.8:
	v_cmp_lt_u32_e32 vcc_lo, v4, v1
	s_and_b32 s8, vcc_lo, exec_lo
	s_cbranch_execz .LBB144_10
	s_branch .LBB144_11
.LBB144_9:
	s_mov_b32 s8, 0
.LBB144_10:
	v_cmp_gt_u32_e32 vcc_lo, v4, v1
	s_and_not1_b32 s8, s8, exec_lo
	s_and_b32 s9, vcc_lo, exec_lo
	s_delay_alu instid0(SALU_CYCLE_1)
	s_or_b32 s8, s8, s9
.LBB144_11:
	s_delay_alu instid0(SALU_CYCLE_1)
	s_and_saveexec_b32 s9, s8
	s_cbranch_execz .LBB144_13
; %bb.12:
	v_mov_b32_e32 v4, 0
	ds_store_b32 v3, v4
.LBB144_13:
	s_or_b32 exec_lo, exec_lo, s9
	s_waitcnt lgkmcnt(0)
	s_barrier
	buffer_gl0_inv
	s_and_saveexec_b32 s8, s2
	s_cbranch_execz .LBB144_15
; %bb.14:
	v_lshlrev_b32_e32 v16, 2, v2
	s_load_b64 s[0:1], s[0:1], 0x60
	s_mul_i32 s2, s3, s7
	s_mul_i32 s10, s10, s6
	ds_load_2addr_b32 v[10:11], v0 offset1:32
	ds_load_b128 v[2:5], v16 offset:4096
	ds_load_2addr_b32 v[12:13], v0 offset0:64 offset1:96
	ds_load_2addr_b32 v[14:15], v0 offset0:128 offset1:160
	ds_load_b128 v[6:9], v16 offset:4112
	v_add_nc_u32_e32 v17, 0x400, v0
	v_add_nc_u32_e32 v19, 0xc00, v0
	s_waitcnt lgkmcnt(0)
	v_fma_f32 v18, v10, v2, 0
	s_lshl_b64 s[0:1], s[0:1], 2
	s_delay_alu instid0(SALU_CYCLE_1) | instskip(SKIP_1) | instid1(VALU_DEP_1)
	s_add_u32 s4, s4, s0
	s_addc_u32 s5, s5, s1
	v_fmac_f32_e32 v18, v11, v3
	ds_load_2addr_b32 v[10:11], v0 offset0:192 offset1:224
	s_mul_i32 s0, s3, s6
	v_fmac_f32_e32 v18, v12, v4
	s_delay_alu instid0(VALU_DEP_1) | instskip(SKIP_3) | instid1(VALU_DEP_1)
	v_fmac_f32_e32 v18, v13, v5
	ds_load_2addr_b32 v[12:13], v17 offset1:32
	ds_load_b128 v[2:5], v16 offset:4128
	v_fmac_f32_e32 v18, v14, v6
	v_fmac_f32_e32 v18, v15, v7
	ds_load_2addr_b32 v[14:15], v17 offset0:64 offset1:96
	s_waitcnt lgkmcnt(3)
	v_fmac_f32_e32 v18, v10, v8
	s_delay_alu instid0(VALU_DEP_1) | instskip(SKIP_4) | instid1(VALU_DEP_1)
	v_fmac_f32_e32 v18, v11, v9
	ds_load_b128 v[6:9], v16 offset:4144
	ds_load_2addr_b32 v[10:11], v17 offset0:128 offset1:160
	s_waitcnt lgkmcnt(3)
	v_fmac_f32_e32 v18, v12, v2
	v_fmac_f32_e32 v18, v13, v3
	ds_load_2addr_b32 v[12:13], v17 offset0:192 offset1:224
	v_add_nc_u32_e32 v17, 0x800, v0
	s_waitcnt lgkmcnt(3)
	v_fmac_f32_e32 v18, v14, v4
	s_delay_alu instid0(VALU_DEP_1) | instskip(SKIP_4) | instid1(VALU_DEP_1)
	v_fmac_f32_e32 v18, v15, v5
	ds_load_2addr_b32 v[14:15], v17 offset1:32
	ds_load_b128 v[2:5], v16 offset:4160
	s_waitcnt lgkmcnt(3)
	v_fmac_f32_e32 v18, v10, v6
	v_fmac_f32_e32 v18, v11, v7
	ds_load_2addr_b32 v[10:11], v17 offset0:64 offset1:96
	s_waitcnt lgkmcnt(3)
	v_fmac_f32_e32 v18, v12, v8
	s_delay_alu instid0(VALU_DEP_1) | instskip(SKIP_4) | instid1(VALU_DEP_1)
	v_fmac_f32_e32 v18, v13, v9
	ds_load_2addr_b32 v[12:13], v17 offset0:128 offset1:160
	ds_load_b128 v[6:9], v16 offset:4176
	s_waitcnt lgkmcnt(3)
	v_fmac_f32_e32 v18, v14, v2
	v_fmac_f32_e32 v18, v15, v3
	ds_load_2addr_b32 v[14:15], v17 offset0:192 offset1:224
	s_waitcnt lgkmcnt(3)
	v_fmac_f32_e32 v18, v10, v4
	s_delay_alu instid0(VALU_DEP_1) | instskip(SKIP_4) | instid1(VALU_DEP_1)
	v_fmac_f32_e32 v18, v11, v5
	ds_load_2addr_b32 v[10:11], v19 offset1:32
	ds_load_b128 v[2:5], v16 offset:4192
	s_waitcnt lgkmcnt(3)
	v_fmac_f32_e32 v18, v12, v6
	v_fmac_f32_e32 v18, v13, v7
	ds_load_2addr_b32 v[12:13], v19 offset0:64 offset1:96
	s_waitcnt lgkmcnt(3)
	v_fmac_f32_e32 v18, v14, v8
	s_delay_alu instid0(VALU_DEP_1)
	v_fmac_f32_e32 v18, v15, v9
	ds_load_2addr_b32 v[14:15], v19 offset0:128 offset1:160
	ds_load_b128 v[6:9], v16 offset:4208
	v_mad_u64_u32 v[16:17], null, v1, s6, 0
	s_waitcnt lgkmcnt(3)
	v_fmac_f32_e32 v18, v10, v2
	s_delay_alu instid0(VALU_DEP_1) | instskip(SKIP_3) | instid1(VALU_DEP_1)
	v_fmac_f32_e32 v18, v11, v3
	ds_load_2addr_b32 v[2:3], v19 offset0:192 offset1:224
	s_waitcnt lgkmcnt(3)
	v_fmac_f32_e32 v18, v12, v4
	v_fmac_f32_e32 v18, v13, v5
	s_waitcnt lgkmcnt(1)
	s_delay_alu instid0(VALU_DEP_1) | instskip(NEXT) | instid1(VALU_DEP_1)
	v_fmac_f32_e32 v18, v14, v6
	v_fmac_f32_e32 v18, v15, v7
	s_waitcnt lgkmcnt(0)
	s_delay_alu instid0(VALU_DEP_1) | instskip(NEXT) | instid1(VALU_DEP_1)
	v_fmac_f32_e32 v18, v2, v8
	v_fmac_f32_e32 v18, v3, v9
	s_delay_alu instid0(VALU_DEP_1) | instskip(NEXT) | instid1(VALU_DEP_1)
	v_dual_mov_b32 v10, v17 :: v_dual_mul_f32 v3, s15, v18
	v_mad_u64_u32 v[11:12], null, v1, s7, v[10:11]
	s_mul_hi_u32 s7, s3, s6
	s_delay_alu instid0(SALU_CYCLE_1) | instskip(NEXT) | instid1(SALU_CYCLE_1)
	s_add_i32 s1, s7, s2
	s_add_i32 s1, s1, s10
	s_delay_alu instid0(VALU_DEP_1) | instskip(SKIP_1) | instid1(SALU_CYCLE_1)
	v_mov_b32_e32 v17, v11
	s_lshl_b64 s[0:1], s[0:1], 2
	s_add_u32 s0, s4, s0
	s_addc_u32 s1, s5, s1
	s_delay_alu instid0(VALU_DEP_1) | instskip(NEXT) | instid1(VALU_DEP_1)
	v_lshlrev_b64 v[4:5], 2, v[16:17]
	v_add_co_u32 v1, vcc_lo, s0, v4
	s_delay_alu instid0(VALU_DEP_2) | instskip(NEXT) | instid1(VALU_DEP_2)
	v_add_co_ci_u32_e32 v2, vcc_lo, s1, v5, vcc_lo
	v_add_co_u32 v0, vcc_lo, v1, v0
	s_delay_alu instid0(VALU_DEP_2)
	v_add_co_ci_u32_e32 v1, vcc_lo, 0, v2, vcc_lo
	global_store_b32 v[0:1], v3, off
.LBB144_15:
	s_nop 0
	s_sendmsg sendmsg(MSG_DEALLOC_VGPRS)
	s_endpgm
	.section	.rodata,"a",@progbits
	.p2align	6, 0x0
	.amdhsa_kernel _ZL23rocblas_trmm_lNx_kernelILi32EfPKfKS1_KPfEv13rocblas_fill_17rocblas_diagonal_iiT1_lPT2_llS9_llPT3_lli
		.amdhsa_group_segment_fixed_size 8192
		.amdhsa_private_segment_fixed_size 0
		.amdhsa_kernarg_size 108
		.amdhsa_user_sgpr_count 14
		.amdhsa_user_sgpr_dispatch_ptr 0
		.amdhsa_user_sgpr_queue_ptr 0
		.amdhsa_user_sgpr_kernarg_segment_ptr 1
		.amdhsa_user_sgpr_dispatch_id 0
		.amdhsa_user_sgpr_private_segment_size 0
		.amdhsa_wavefront_size32 1
		.amdhsa_uses_dynamic_stack 0
		.amdhsa_enable_private_segment 0
		.amdhsa_system_sgpr_workgroup_id_x 1
		.amdhsa_system_sgpr_workgroup_id_y 0
		.amdhsa_system_sgpr_workgroup_id_z 1
		.amdhsa_system_sgpr_workgroup_info 0
		.amdhsa_system_vgpr_workitem_id 1
		.amdhsa_next_free_vgpr 20
		.amdhsa_next_free_sgpr 32
		.amdhsa_reserve_vcc 1
		.amdhsa_float_round_mode_32 0
		.amdhsa_float_round_mode_16_64 0
		.amdhsa_float_denorm_mode_32 3
		.amdhsa_float_denorm_mode_16_64 3
		.amdhsa_dx10_clamp 1
		.amdhsa_ieee_mode 1
		.amdhsa_fp16_overflow 0
		.amdhsa_workgroup_processor_mode 1
		.amdhsa_memory_ordered 1
		.amdhsa_forward_progress 0
		.amdhsa_shared_vgpr_count 0
		.amdhsa_exception_fp_ieee_invalid_op 0
		.amdhsa_exception_fp_denorm_src 0
		.amdhsa_exception_fp_ieee_div_zero 0
		.amdhsa_exception_fp_ieee_overflow 0
		.amdhsa_exception_fp_ieee_underflow 0
		.amdhsa_exception_fp_ieee_inexact 0
		.amdhsa_exception_int_div_zero 0
	.end_amdhsa_kernel
	.section	.text._ZL23rocblas_trmm_lNx_kernelILi32EfPKfKS1_KPfEv13rocblas_fill_17rocblas_diagonal_iiT1_lPT2_llS9_llPT3_lli,"axG",@progbits,_ZL23rocblas_trmm_lNx_kernelILi32EfPKfKS1_KPfEv13rocblas_fill_17rocblas_diagonal_iiT1_lPT2_llS9_llPT3_lli,comdat
.Lfunc_end144:
	.size	_ZL23rocblas_trmm_lNx_kernelILi32EfPKfKS1_KPfEv13rocblas_fill_17rocblas_diagonal_iiT1_lPT2_llS9_llPT3_lli, .Lfunc_end144-_ZL23rocblas_trmm_lNx_kernelILi32EfPKfKS1_KPfEv13rocblas_fill_17rocblas_diagonal_iiT1_lPT2_llS9_llPT3_lli
                                        ; -- End function
	.section	.AMDGPU.csdata,"",@progbits
; Kernel info:
; codeLenInByte = 1340
; NumSgprs: 34
; NumVgprs: 20
; ScratchSize: 0
; MemoryBound: 0
; FloatMode: 240
; IeeeMode: 1
; LDSByteSize: 8192 bytes/workgroup (compile time only)
; SGPRBlocks: 4
; VGPRBlocks: 2
; NumSGPRsForWavesPerEU: 34
; NumVGPRsForWavesPerEU: 20
; Occupancy: 16
; WaveLimiterHint : 1
; COMPUTE_PGM_RSRC2:SCRATCH_EN: 0
; COMPUTE_PGM_RSRC2:USER_SGPR: 14
; COMPUTE_PGM_RSRC2:TRAP_HANDLER: 0
; COMPUTE_PGM_RSRC2:TGID_X_EN: 1
; COMPUTE_PGM_RSRC2:TGID_Y_EN: 0
; COMPUTE_PGM_RSRC2:TGID_Z_EN: 1
; COMPUTE_PGM_RSRC2:TIDIG_COMP_CNT: 1
	.section	.text._ZL23rocblas_trmm_lNx_kernelILi32EffKPKfKPfEv13rocblas_fill_17rocblas_diagonal_iiT1_lPT2_llS9_llPT3_lli,"axG",@progbits,_ZL23rocblas_trmm_lNx_kernelILi32EffKPKfKPfEv13rocblas_fill_17rocblas_diagonal_iiT1_lPT2_llS9_llPT3_lli,comdat
	.globl	_ZL23rocblas_trmm_lNx_kernelILi32EffKPKfKPfEv13rocblas_fill_17rocblas_diagonal_iiT1_lPT2_llS9_llPT3_lli ; -- Begin function _ZL23rocblas_trmm_lNx_kernelILi32EffKPKfKPfEv13rocblas_fill_17rocblas_diagonal_iiT1_lPT2_llS9_llPT3_lli
	.p2align	8
	.type	_ZL23rocblas_trmm_lNx_kernelILi32EffKPKfKPfEv13rocblas_fill_17rocblas_diagonal_iiT1_lPT2_llS9_llPT3_lli,@function
_ZL23rocblas_trmm_lNx_kernelILi32EffKPKfKPfEv13rocblas_fill_17rocblas_diagonal_iiT1_lPT2_llS9_llPT3_lli: ; @_ZL23rocblas_trmm_lNx_kernelILi32EffKPKfKPfEv13rocblas_fill_17rocblas_diagonal_iiT1_lPT2_llS9_llPT3_lli
; %bb.0:
	s_mov_b32 s2, s15
	s_load_b32 s15, s[0:1], 0x10
	s_waitcnt lgkmcnt(0)
	v_cmp_eq_f32_e64 s3, s15, 0
	s_delay_alu instid0(VALU_DEP_1)
	s_and_b32 vcc_lo, exec_lo, s3
	s_mov_b32 s3, 0
	s_cbranch_vccnz .LBB145_15
; %bb.1:
	s_clause 0x1
	s_load_b512 s[16:31], s[0:1], 0x20
	s_load_b128 s[4:7], s[0:1], 0x0
	s_lshl_b64 s[12:13], s[2:3], 3
	v_bfe_u32 v1, v0, 10, 10
	v_dual_mov_b32 v5, 0 :: v_dual_and_b32 v4, 0x3ff, v0
	s_delay_alu instid0(VALU_DEP_2) | instskip(NEXT) | instid1(VALU_DEP_2)
	v_lshlrev_b32_e32 v2, 5, v1
	v_lshlrev_b32_e32 v0, 2, v4
	s_delay_alu instid0(VALU_DEP_2)
	v_add_lshl_u32 v3, v2, v4, 2
	s_waitcnt lgkmcnt(0)
	s_add_u32 s2, s22, s12
	s_addc_u32 s3, s23, s13
	s_add_u32 s8, s28, s12
	s_addc_u32 s9, s29, s13
	s_load_b64 s[10:11], s[2:3], 0x0
	s_load_b64 s[8:9], s[8:9], 0x0
	v_cmp_gt_i32_e64 s2, s6, v1
	v_cmp_gt_i32_e32 vcc_lo, s6, v4
	ds_store_2addr_stride64_b32 v3, v5, v5 offset1:16
	s_and_b32 s2, s2, vcc_lo
	s_delay_alu instid0(SALU_CYCLE_1)
	s_and_saveexec_b32 s3, s2
	s_cbranch_execz .LBB145_3
; %bb.2:
	v_mad_u64_u32 v[5:6], null, v1, s18, 0
	s_add_u32 s12, s16, s12
	s_addc_u32 s13, s17, s13
	s_lshl_b64 s[16:17], s[20:21], 2
	s_load_b64 s[12:13], s[12:13], 0x0
	s_delay_alu instid0(VALU_DEP_1) | instskip(NEXT) | instid1(VALU_DEP_1)
	v_mad_u64_u32 v[7:8], null, v1, s19, v[6:7]
	v_mov_b32_e32 v6, v7
	s_delay_alu instid0(VALU_DEP_1) | instskip(SKIP_3) | instid1(VALU_DEP_1)
	v_lshlrev_b64 v[5:6], 2, v[5:6]
	s_waitcnt lgkmcnt(0)
	s_add_u32 s2, s12, s16
	s_addc_u32 s6, s13, s17
	v_add_co_u32 v5, s2, s2, v5
	s_delay_alu instid0(VALU_DEP_1) | instskip(NEXT) | instid1(VALU_DEP_2)
	v_add_co_ci_u32_e64 v6, s2, s6, v6, s2
	v_add_co_u32 v5, s2, v5, v0
	s_delay_alu instid0(VALU_DEP_1)
	v_add_co_ci_u32_e64 v6, s2, 0, v6, s2
	global_load_b32 v5, v[5:6], off
	s_waitcnt vmcnt(0)
	ds_store_b32 v3, v5
.LBB145_3:
	s_or_b32 exec_lo, exec_lo, s3
	s_add_i32 s2, s7, -1
	s_delay_alu instid0(SALU_CYCLE_1) | instskip(NEXT) | instid1(SALU_CYCLE_1)
	s_ashr_i32 s3, s2, 31
	s_lshr_b32 s3, s3, 27
	s_delay_alu instid0(SALU_CYCLE_1) | instskip(NEXT) | instid1(SALU_CYCLE_1)
	s_add_i32 s2, s2, s3
	s_and_b32 s3, s2, 0xffffffe0
	s_ashr_i32 s2, s2, 5
	s_sub_i32 s3, s7, s3
	s_cmp_ge_i32 s14, s2
	s_cselect_b32 s2, s3, 32
	s_lshl_b32 s3, s14, 5
	v_cmp_gt_i32_e64 s2, s2, v1
	s_ashr_i32 s6, s3, 31
	s_delay_alu instid0(VALU_DEP_1) | instskip(NEXT) | instid1(SALU_CYCLE_1)
	s_and_b32 s2, vcc_lo, s2
	s_and_saveexec_b32 s7, s2
	s_cbranch_execz .LBB145_5
; %bb.4:
	v_mad_u64_u32 v[5:6], null, v1, s24, 0
	s_lshl_b64 s[12:13], s[26:27], 2
	s_mul_i32 s14, s3, s25
	s_mul_hi_u32 s16, s3, s24
	s_waitcnt lgkmcnt(0)
	s_add_u32 s12, s10, s12
	s_mul_i32 s17, s6, s24
	s_addc_u32 s13, s11, s13
	v_mad_u64_u32 v[7:8], null, v1, s25, v[6:7]
	s_add_i32 s11, s16, s14
	s_mul_i32 s10, s3, s24
	s_add_i32 s11, s11, s17
	s_delay_alu instid0(SALU_CYCLE_1) | instskip(NEXT) | instid1(SALU_CYCLE_1)
	s_lshl_b64 s[10:11], s[10:11], 2
	s_add_u32 s10, s12, s10
	s_delay_alu instid0(VALU_DEP_1) | instskip(SKIP_1) | instid1(VALU_DEP_1)
	v_mov_b32_e32 v6, v7
	s_addc_u32 s11, s13, s11
	v_lshlrev_b64 v[5:6], 2, v[5:6]
	s_delay_alu instid0(VALU_DEP_1) | instskip(NEXT) | instid1(VALU_DEP_2)
	v_add_co_u32 v5, vcc_lo, s10, v5
	v_add_co_ci_u32_e32 v6, vcc_lo, s11, v6, vcc_lo
	s_delay_alu instid0(VALU_DEP_2) | instskip(NEXT) | instid1(VALU_DEP_2)
	v_add_co_u32 v5, vcc_lo, v5, v0
	v_add_co_ci_u32_e32 v6, vcc_lo, 0, v6, vcc_lo
	global_load_b32 v5, v[5:6], off
	v_add_nc_u32_e32 v6, 0x1000, v3
	s_waitcnt vmcnt(0)
	ds_store_b32 v6, v5
.LBB145_5:
	s_or_b32 exec_lo, exec_lo, s7
	v_cmp_eq_u32_e32 vcc_lo, v1, v4
	s_cmpk_eq_i32 s5, 0x84
	s_cselect_b32 s5, -1, 0
	s_delay_alu instid0(SALU_CYCLE_1) | instskip(NEXT) | instid1(SALU_CYCLE_1)
	s_and_b32 s7, vcc_lo, s5
	s_and_saveexec_b32 s5, s7
	s_cbranch_execz .LBB145_7
; %bb.6:
	v_mov_b32_e32 v5, 1.0
	ds_store_b32 v3, v5
.LBB145_7:
	s_or_b32 exec_lo, exec_lo, s5
	s_cmpk_lg_i32 s4, 0x79
	s_cbranch_scc0 .LBB145_9
; %bb.8:
	v_cmp_lt_u32_e32 vcc_lo, v4, v1
	s_and_b32 s4, vcc_lo, exec_lo
	s_cbranch_execz .LBB145_10
	s_branch .LBB145_11
.LBB145_9:
	s_mov_b32 s4, 0
.LBB145_10:
	v_cmp_gt_u32_e32 vcc_lo, v4, v1
	s_and_not1_b32 s4, s4, exec_lo
	s_and_b32 s5, vcc_lo, exec_lo
	s_delay_alu instid0(SALU_CYCLE_1)
	s_or_b32 s4, s4, s5
.LBB145_11:
	s_delay_alu instid0(SALU_CYCLE_1)
	s_and_saveexec_b32 s5, s4
	s_cbranch_execz .LBB145_13
; %bb.12:
	v_mov_b32_e32 v4, 0
	ds_store_b32 v3, v4
.LBB145_13:
	s_or_b32 exec_lo, exec_lo, s5
	s_waitcnt lgkmcnt(0)
	s_barrier
	buffer_gl0_inv
	s_and_saveexec_b32 s4, s2
	s_cbranch_execz .LBB145_15
; %bb.14:
	v_lshlrev_b32_e32 v16, 2, v2
	s_load_b64 s[0:1], s[0:1], 0x60
	s_mul_i32 s2, s3, s31
	s_mul_hi_u32 s4, s3, s30
	ds_load_2addr_b32 v[10:11], v0 offset1:32
	ds_load_b128 v[2:5], v16 offset:4096
	ds_load_2addr_b32 v[12:13], v0 offset0:64 offset1:96
	ds_load_2addr_b32 v[14:15], v0 offset0:128 offset1:160
	ds_load_b128 v[6:9], v16 offset:4112
	s_mul_i32 s6, s6, s30
	v_add_nc_u32_e32 v17, 0x400, v0
	v_add_nc_u32_e32 v19, 0xc00, v0
	s_waitcnt lgkmcnt(0)
	v_fma_f32 v18, v10, v2, 0
	s_lshl_b64 s[0:1], s[0:1], 2
	s_delay_alu instid0(SALU_CYCLE_1) | instskip(SKIP_1) | instid1(VALU_DEP_1)
	s_add_u32 s5, s8, s0
	s_addc_u32 s7, s9, s1
	v_fmac_f32_e32 v18, v11, v3
	ds_load_2addr_b32 v[10:11], v0 offset0:192 offset1:224
	s_add_i32 s1, s4, s2
	s_mul_i32 s0, s3, s30
	s_add_i32 s1, s1, s6
	v_fmac_f32_e32 v18, v12, v4
	s_lshl_b64 s[0:1], s[0:1], 2
	s_delay_alu instid0(SALU_CYCLE_1) | instskip(SKIP_1) | instid1(VALU_DEP_1)
	s_add_u32 s0, s5, s0
	s_addc_u32 s1, s7, s1
	v_fmac_f32_e32 v18, v13, v5
	ds_load_2addr_b32 v[12:13], v17 offset1:32
	ds_load_b128 v[2:5], v16 offset:4128
	v_fmac_f32_e32 v18, v14, v6
	s_delay_alu instid0(VALU_DEP_1) | instskip(SKIP_3) | instid1(VALU_DEP_1)
	v_fmac_f32_e32 v18, v15, v7
	ds_load_2addr_b32 v[14:15], v17 offset0:64 offset1:96
	s_waitcnt lgkmcnt(3)
	v_fmac_f32_e32 v18, v10, v8
	v_fmac_f32_e32 v18, v11, v9
	ds_load_b128 v[6:9], v16 offset:4144
	ds_load_2addr_b32 v[10:11], v17 offset0:128 offset1:160
	s_waitcnt lgkmcnt(3)
	v_fmac_f32_e32 v18, v12, v2
	s_delay_alu instid0(VALU_DEP_1) | instskip(SKIP_4) | instid1(VALU_DEP_1)
	v_fmac_f32_e32 v18, v13, v3
	ds_load_2addr_b32 v[12:13], v17 offset0:192 offset1:224
	v_add_nc_u32_e32 v17, 0x800, v0
	s_waitcnt lgkmcnt(3)
	v_fmac_f32_e32 v18, v14, v4
	v_fmac_f32_e32 v18, v15, v5
	ds_load_2addr_b32 v[14:15], v17 offset1:32
	ds_load_b128 v[2:5], v16 offset:4160
	s_waitcnt lgkmcnt(3)
	v_fmac_f32_e32 v18, v10, v6
	s_delay_alu instid0(VALU_DEP_1) | instskip(SKIP_3) | instid1(VALU_DEP_1)
	v_fmac_f32_e32 v18, v11, v7
	ds_load_2addr_b32 v[10:11], v17 offset0:64 offset1:96
	s_waitcnt lgkmcnt(3)
	v_fmac_f32_e32 v18, v12, v8
	v_fmac_f32_e32 v18, v13, v9
	ds_load_2addr_b32 v[12:13], v17 offset0:128 offset1:160
	ds_load_b128 v[6:9], v16 offset:4176
	s_waitcnt lgkmcnt(3)
	v_fmac_f32_e32 v18, v14, v2
	s_delay_alu instid0(VALU_DEP_1) | instskip(SKIP_3) | instid1(VALU_DEP_1)
	v_fmac_f32_e32 v18, v15, v3
	ds_load_2addr_b32 v[14:15], v17 offset0:192 offset1:224
	s_waitcnt lgkmcnt(3)
	v_fmac_f32_e32 v18, v10, v4
	v_fmac_f32_e32 v18, v11, v5
	ds_load_2addr_b32 v[10:11], v19 offset1:32
	ds_load_b128 v[2:5], v16 offset:4192
	s_waitcnt lgkmcnt(3)
	v_fmac_f32_e32 v18, v12, v6
	s_delay_alu instid0(VALU_DEP_1) | instskip(SKIP_3) | instid1(VALU_DEP_1)
	v_fmac_f32_e32 v18, v13, v7
	ds_load_2addr_b32 v[12:13], v19 offset0:64 offset1:96
	s_waitcnt lgkmcnt(3)
	v_fmac_f32_e32 v18, v14, v8
	v_fmac_f32_e32 v18, v15, v9
	ds_load_2addr_b32 v[14:15], v19 offset0:128 offset1:160
	ds_load_b128 v[6:9], v16 offset:4208
	v_mad_u64_u32 v[16:17], null, v1, s30, 0
	s_waitcnt lgkmcnt(3)
	v_fmac_f32_e32 v18, v10, v2
	s_delay_alu instid0(VALU_DEP_1) | instskip(SKIP_3) | instid1(VALU_DEP_1)
	v_fmac_f32_e32 v18, v11, v3
	ds_load_2addr_b32 v[2:3], v19 offset0:192 offset1:224
	s_waitcnt lgkmcnt(3)
	v_fmac_f32_e32 v18, v12, v4
	v_fmac_f32_e32 v18, v13, v5
	s_waitcnt lgkmcnt(1)
	s_delay_alu instid0(VALU_DEP_1) | instskip(NEXT) | instid1(VALU_DEP_1)
	v_fmac_f32_e32 v18, v14, v6
	v_fmac_f32_e32 v18, v15, v7
	s_waitcnt lgkmcnt(0)
	s_delay_alu instid0(VALU_DEP_1) | instskip(NEXT) | instid1(VALU_DEP_1)
	v_fmac_f32_e32 v18, v2, v8
	v_fmac_f32_e32 v18, v3, v9
	s_delay_alu instid0(VALU_DEP_1) | instskip(NEXT) | instid1(VALU_DEP_1)
	v_dual_mov_b32 v10, v17 :: v_dual_mul_f32 v3, s15, v18
	v_mad_u64_u32 v[11:12], null, v1, s31, v[10:11]
	s_delay_alu instid0(VALU_DEP_1) | instskip(NEXT) | instid1(VALU_DEP_1)
	v_mov_b32_e32 v17, v11
	v_lshlrev_b64 v[4:5], 2, v[16:17]
	s_delay_alu instid0(VALU_DEP_1) | instskip(NEXT) | instid1(VALU_DEP_2)
	v_add_co_u32 v1, vcc_lo, s0, v4
	v_add_co_ci_u32_e32 v2, vcc_lo, s1, v5, vcc_lo
	s_delay_alu instid0(VALU_DEP_2) | instskip(NEXT) | instid1(VALU_DEP_2)
	v_add_co_u32 v0, vcc_lo, v1, v0
	v_add_co_ci_u32_e32 v1, vcc_lo, 0, v2, vcc_lo
	global_store_b32 v[0:1], v3, off
.LBB145_15:
	s_nop 0
	s_sendmsg sendmsg(MSG_DEALLOC_VGPRS)
	s_endpgm
	.section	.rodata,"a",@progbits
	.p2align	6, 0x0
	.amdhsa_kernel _ZL23rocblas_trmm_lNx_kernelILi32EffKPKfKPfEv13rocblas_fill_17rocblas_diagonal_iiT1_lPT2_llS9_llPT3_lli
		.amdhsa_group_segment_fixed_size 8192
		.amdhsa_private_segment_fixed_size 0
		.amdhsa_kernarg_size 108
		.amdhsa_user_sgpr_count 14
		.amdhsa_user_sgpr_dispatch_ptr 0
		.amdhsa_user_sgpr_queue_ptr 0
		.amdhsa_user_sgpr_kernarg_segment_ptr 1
		.amdhsa_user_sgpr_dispatch_id 0
		.amdhsa_user_sgpr_private_segment_size 0
		.amdhsa_wavefront_size32 1
		.amdhsa_uses_dynamic_stack 0
		.amdhsa_enable_private_segment 0
		.amdhsa_system_sgpr_workgroup_id_x 1
		.amdhsa_system_sgpr_workgroup_id_y 0
		.amdhsa_system_sgpr_workgroup_id_z 1
		.amdhsa_system_sgpr_workgroup_info 0
		.amdhsa_system_vgpr_workitem_id 1
		.amdhsa_next_free_vgpr 20
		.amdhsa_next_free_sgpr 32
		.amdhsa_reserve_vcc 1
		.amdhsa_float_round_mode_32 0
		.amdhsa_float_round_mode_16_64 0
		.amdhsa_float_denorm_mode_32 3
		.amdhsa_float_denorm_mode_16_64 3
		.amdhsa_dx10_clamp 1
		.amdhsa_ieee_mode 1
		.amdhsa_fp16_overflow 0
		.amdhsa_workgroup_processor_mode 1
		.amdhsa_memory_ordered 1
		.amdhsa_forward_progress 0
		.amdhsa_shared_vgpr_count 0
		.amdhsa_exception_fp_ieee_invalid_op 0
		.amdhsa_exception_fp_denorm_src 0
		.amdhsa_exception_fp_ieee_div_zero 0
		.amdhsa_exception_fp_ieee_overflow 0
		.amdhsa_exception_fp_ieee_underflow 0
		.amdhsa_exception_fp_ieee_inexact 0
		.amdhsa_exception_int_div_zero 0
	.end_amdhsa_kernel
	.section	.text._ZL23rocblas_trmm_lNx_kernelILi32EffKPKfKPfEv13rocblas_fill_17rocblas_diagonal_iiT1_lPT2_llS9_llPT3_lli,"axG",@progbits,_ZL23rocblas_trmm_lNx_kernelILi32EffKPKfKPfEv13rocblas_fill_17rocblas_diagonal_iiT1_lPT2_llS9_llPT3_lli,comdat
.Lfunc_end145:
	.size	_ZL23rocblas_trmm_lNx_kernelILi32EffKPKfKPfEv13rocblas_fill_17rocblas_diagonal_iiT1_lPT2_llS9_llPT3_lli, .Lfunc_end145-_ZL23rocblas_trmm_lNx_kernelILi32EffKPKfKPfEv13rocblas_fill_17rocblas_diagonal_iiT1_lPT2_llS9_llPT3_lli
                                        ; -- End function
	.section	.AMDGPU.csdata,"",@progbits
; Kernel info:
; codeLenInByte = 1288
; NumSgprs: 34
; NumVgprs: 20
; ScratchSize: 0
; MemoryBound: 0
; FloatMode: 240
; IeeeMode: 1
; LDSByteSize: 8192 bytes/workgroup (compile time only)
; SGPRBlocks: 4
; VGPRBlocks: 2
; NumSGPRsForWavesPerEU: 34
; NumVGPRsForWavesPerEU: 20
; Occupancy: 16
; WaveLimiterHint : 1
; COMPUTE_PGM_RSRC2:SCRATCH_EN: 0
; COMPUTE_PGM_RSRC2:USER_SGPR: 14
; COMPUTE_PGM_RSRC2:TRAP_HANDLER: 0
; COMPUTE_PGM_RSRC2:TGID_X_EN: 1
; COMPUTE_PGM_RSRC2:TGID_Y_EN: 0
; COMPUTE_PGM_RSRC2:TGID_Z_EN: 1
; COMPUTE_PGM_RSRC2:TIDIG_COMP_CNT: 1
	.section	.text._ZL23rocblas_trmm_lTx_kernelILi32ELb0EfPKfKS1_KPfEv13rocblas_fill_17rocblas_diagonal_iiT2_lPT3_llS9_llPT4_lli,"axG",@progbits,_ZL23rocblas_trmm_lTx_kernelILi32ELb0EfPKfKS1_KPfEv13rocblas_fill_17rocblas_diagonal_iiT2_lPT3_llS9_llPT4_lli,comdat
	.globl	_ZL23rocblas_trmm_lTx_kernelILi32ELb0EfPKfKS1_KPfEv13rocblas_fill_17rocblas_diagonal_iiT2_lPT3_llS9_llPT4_lli ; -- Begin function _ZL23rocblas_trmm_lTx_kernelILi32ELb0EfPKfKS1_KPfEv13rocblas_fill_17rocblas_diagonal_iiT2_lPT3_llS9_llPT4_lli
	.p2align	8
	.type	_ZL23rocblas_trmm_lTx_kernelILi32ELb0EfPKfKS1_KPfEv13rocblas_fill_17rocblas_diagonal_iiT2_lPT3_llS9_llPT4_lli,@function
_ZL23rocblas_trmm_lTx_kernelILi32ELb0EfPKfKS1_KPfEv13rocblas_fill_17rocblas_diagonal_iiT2_lPT3_llS9_llPT4_lli: ; @_ZL23rocblas_trmm_lTx_kernelILi32ELb0EfPKfKS1_KPfEv13rocblas_fill_17rocblas_diagonal_iiT2_lPT3_llS9_llPT4_lli
; %bb.0:
	s_load_b512 s[16:31], s[0:1], 0x10
	s_mov_b32 s2, s15
	s_waitcnt lgkmcnt(0)
	s_mul_i32 s3, s15, s19
	s_mul_hi_u32 s4, s15, s18
	s_delay_alu instid0(SALU_CYCLE_1) | instskip(SKIP_1) | instid1(SALU_CYCLE_1)
	s_add_i32 s5, s4, s3
	s_mul_i32 s4, s15, s18
	s_lshl_b64 s[4:5], s[4:5], 2
	s_delay_alu instid0(SALU_CYCLE_1) | instskip(SKIP_4) | instid1(VALU_DEP_1)
	s_add_u32 s4, s16, s4
	s_addc_u32 s5, s17, s5
	s_load_b32 s15, s[4:5], 0x0
	s_waitcnt lgkmcnt(0)
	v_cmp_eq_f32_e64 s3, s15, 0
	s_and_b32 vcc_lo, exec_lo, s3
	s_mov_b32 s3, 0
	s_cbranch_vccnz .LBB146_15
; %bb.1:
	s_clause 0x1
	s_load_b128 s[4:7], s[0:1], 0x50
	s_load_b128 s[8:11], s[0:1], 0x0
	s_lshl_b64 s[2:3], s[2:3], 3
	v_bfe_u32 v1, v0, 10, 10
	s_add_u32 s12, s20, s2
	s_addc_u32 s13, s21, s3
	v_and_b32_e32 v4, 0x3ff, v0
	s_load_b64 s[16:17], s[12:13], 0x0
	s_add_u32 s12, s26, s2
	s_addc_u32 s13, s27, s3
	v_lshlrev_b32_e32 v2, 5, v1
	v_mov_b32_e32 v0, 0
	s_delay_alu instid0(VALU_DEP_2)
	v_add_lshl_u32 v3, v2, v4, 2
	s_waitcnt lgkmcnt(0)
	s_add_u32 s2, s4, s2
	s_addc_u32 s3, s5, s3
	s_load_b64 s[12:13], s[12:13], 0x0
	s_load_b64 s[4:5], s[2:3], 0x0
	v_cmp_gt_i32_e64 s2, s10, v1
	v_cmp_gt_i32_e32 vcc_lo, s10, v4
	ds_store_2addr_stride64_b32 v3, v0, v0 offset1:16
	v_lshlrev_b32_e32 v0, 2, v4
	s_waitcnt lgkmcnt(0)
	s_barrier
	s_and_b32 s2, s2, vcc_lo
	buffer_gl0_inv
	s_and_saveexec_b32 s3, s2
	s_cbranch_execz .LBB146_3
; %bb.2:
	v_mad_u64_u32 v[5:6], null, v1, s22, 0
	s_lshl_b64 s[18:19], s[24:25], 2
	s_delay_alu instid0(SALU_CYCLE_1) | instskip(SKIP_1) | instid1(VALU_DEP_1)
	s_add_u32 s2, s16, s18
	s_addc_u32 s10, s17, s19
	v_mad_u64_u32 v[7:8], null, v1, s23, v[6:7]
	s_delay_alu instid0(VALU_DEP_1) | instskip(NEXT) | instid1(VALU_DEP_1)
	v_mov_b32_e32 v6, v7
	v_lshlrev_b64 v[5:6], 2, v[5:6]
	s_delay_alu instid0(VALU_DEP_1) | instskip(NEXT) | instid1(VALU_DEP_1)
	v_add_co_u32 v5, s2, s2, v5
	v_add_co_ci_u32_e64 v6, s2, s10, v6, s2
	s_delay_alu instid0(VALU_DEP_2) | instskip(NEXT) | instid1(VALU_DEP_1)
	v_add_co_u32 v5, s2, v5, v0
	v_add_co_ci_u32_e64 v6, s2, 0, v6, s2
	global_load_b32 v5, v[5:6], off
	v_lshlrev_b32_e32 v6, 5, v4
	s_delay_alu instid0(VALU_DEP_1)
	v_add_lshl_u32 v6, v6, v1, 2
	s_waitcnt vmcnt(0)
	ds_store_b32 v6, v5
.LBB146_3:
	s_or_b32 exec_lo, exec_lo, s3
	s_add_i32 s2, s11, -1
	s_delay_alu instid0(SALU_CYCLE_1) | instskip(NEXT) | instid1(SALU_CYCLE_1)
	s_ashr_i32 s3, s2, 31
	s_lshr_b32 s3, s3, 27
	s_delay_alu instid0(SALU_CYCLE_1) | instskip(NEXT) | instid1(SALU_CYCLE_1)
	s_add_i32 s2, s2, s3
	s_and_b32 s3, s2, 0xffffffe0
	s_ashr_i32 s2, s2, 5
	s_sub_i32 s3, s11, s3
	s_cmp_ge_i32 s14, s2
	s_cselect_b32 s2, s3, 32
	s_lshl_b32 s3, s14, 5
	v_cmp_gt_i32_e64 s2, s2, v1
	s_ashr_i32 s10, s3, 31
	s_delay_alu instid0(VALU_DEP_1) | instskip(NEXT) | instid1(SALU_CYCLE_1)
	s_and_b32 s2, vcc_lo, s2
	s_and_saveexec_b32 s11, s2
	s_cbranch_execz .LBB146_5
; %bb.4:
	v_mad_u64_u32 v[5:6], null, v1, s28, 0
	s_lshl_b64 s[16:17], s[30:31], 2
	s_mul_i32 s14, s3, s29
	s_mul_hi_u32 s18, s3, s28
	s_add_u32 s16, s12, s16
	s_mul_i32 s19, s10, s28
	s_addc_u32 s17, s13, s17
	s_delay_alu instid0(VALU_DEP_1) | instskip(SKIP_3) | instid1(SALU_CYCLE_1)
	v_mad_u64_u32 v[7:8], null, v1, s29, v[6:7]
	s_add_i32 s13, s18, s14
	s_mul_i32 s12, s3, s28
	s_add_i32 s13, s13, s19
	s_lshl_b64 s[12:13], s[12:13], 2
	s_delay_alu instid0(SALU_CYCLE_1) | instskip(NEXT) | instid1(VALU_DEP_1)
	s_add_u32 s12, s16, s12
	v_mov_b32_e32 v6, v7
	s_addc_u32 s13, s17, s13
	s_delay_alu instid0(VALU_DEP_1) | instskip(NEXT) | instid1(VALU_DEP_1)
	v_lshlrev_b64 v[5:6], 2, v[5:6]
	v_add_co_u32 v5, vcc_lo, s12, v5
	s_delay_alu instid0(VALU_DEP_2) | instskip(NEXT) | instid1(VALU_DEP_2)
	v_add_co_ci_u32_e32 v6, vcc_lo, s13, v6, vcc_lo
	v_add_co_u32 v5, vcc_lo, v5, v0
	s_delay_alu instid0(VALU_DEP_2)
	v_add_co_ci_u32_e32 v6, vcc_lo, 0, v6, vcc_lo
	global_load_b32 v5, v[5:6], off
	v_add_nc_u32_e32 v6, 0x1000, v3
	s_waitcnt vmcnt(0)
	ds_store_b32 v6, v5
.LBB146_5:
	s_or_b32 exec_lo, exec_lo, s11
	v_cmp_eq_u32_e32 vcc_lo, v1, v4
	s_cmpk_eq_i32 s9, 0x84
	s_cselect_b32 s9, -1, 0
	s_delay_alu instid0(SALU_CYCLE_1) | instskip(NEXT) | instid1(SALU_CYCLE_1)
	s_and_b32 s11, vcc_lo, s9
	s_and_saveexec_b32 s9, s11
	s_cbranch_execz .LBB146_7
; %bb.6:
	v_mov_b32_e32 v5, 1.0
	ds_store_b32 v3, v5
.LBB146_7:
	s_or_b32 exec_lo, exec_lo, s9
	s_cmpk_lg_i32 s8, 0x7a
	s_waitcnt lgkmcnt(0)
	s_barrier
	buffer_gl0_inv
	s_cbranch_scc0 .LBB146_9
; %bb.8:
	v_cmp_lt_u32_e32 vcc_lo, v4, v1
	s_and_b32 s8, vcc_lo, exec_lo
	s_cbranch_execz .LBB146_10
	s_branch .LBB146_11
.LBB146_9:
	s_mov_b32 s8, 0
.LBB146_10:
	v_cmp_gt_u32_e32 vcc_lo, v4, v1
	s_and_not1_b32 s8, s8, exec_lo
	s_and_b32 s9, vcc_lo, exec_lo
	s_delay_alu instid0(SALU_CYCLE_1)
	s_or_b32 s8, s8, s9
.LBB146_11:
	s_delay_alu instid0(SALU_CYCLE_1)
	s_and_saveexec_b32 s9, s8
	s_cbranch_execz .LBB146_13
; %bb.12:
	v_mov_b32_e32 v4, 0
	ds_store_b32 v3, v4
.LBB146_13:
	s_or_b32 exec_lo, exec_lo, s9
	s_waitcnt lgkmcnt(0)
	s_barrier
	buffer_gl0_inv
	s_and_saveexec_b32 s8, s2
	s_cbranch_execz .LBB146_15
; %bb.14:
	v_lshlrev_b32_e32 v16, 2, v2
	s_load_b64 s[0:1], s[0:1], 0x60
	s_mul_i32 s2, s3, s7
	s_mul_i32 s10, s10, s6
	ds_load_2addr_b32 v[10:11], v0 offset1:32
	ds_load_b128 v[2:5], v16 offset:4096
	ds_load_2addr_b32 v[12:13], v0 offset0:64 offset1:96
	ds_load_2addr_b32 v[14:15], v0 offset0:128 offset1:160
	ds_load_b128 v[6:9], v16 offset:4112
	v_add_nc_u32_e32 v17, 0x400, v0
	v_add_nc_u32_e32 v19, 0xc00, v0
	s_waitcnt lgkmcnt(0)
	v_fma_f32 v18, v10, v2, 0
	s_lshl_b64 s[0:1], s[0:1], 2
	s_delay_alu instid0(SALU_CYCLE_1) | instskip(SKIP_1) | instid1(VALU_DEP_1)
	s_add_u32 s4, s4, s0
	s_addc_u32 s5, s5, s1
	v_fmac_f32_e32 v18, v11, v3
	ds_load_2addr_b32 v[10:11], v0 offset0:192 offset1:224
	s_mul_i32 s0, s3, s6
	v_fmac_f32_e32 v18, v12, v4
	s_delay_alu instid0(VALU_DEP_1) | instskip(SKIP_3) | instid1(VALU_DEP_1)
	v_fmac_f32_e32 v18, v13, v5
	ds_load_2addr_b32 v[12:13], v17 offset1:32
	ds_load_b128 v[2:5], v16 offset:4128
	v_fmac_f32_e32 v18, v14, v6
	v_fmac_f32_e32 v18, v15, v7
	ds_load_2addr_b32 v[14:15], v17 offset0:64 offset1:96
	s_waitcnt lgkmcnt(3)
	v_fmac_f32_e32 v18, v10, v8
	s_delay_alu instid0(VALU_DEP_1) | instskip(SKIP_4) | instid1(VALU_DEP_1)
	v_fmac_f32_e32 v18, v11, v9
	ds_load_b128 v[6:9], v16 offset:4144
	ds_load_2addr_b32 v[10:11], v17 offset0:128 offset1:160
	s_waitcnt lgkmcnt(3)
	v_fmac_f32_e32 v18, v12, v2
	v_fmac_f32_e32 v18, v13, v3
	ds_load_2addr_b32 v[12:13], v17 offset0:192 offset1:224
	v_add_nc_u32_e32 v17, 0x800, v0
	s_waitcnt lgkmcnt(3)
	v_fmac_f32_e32 v18, v14, v4
	s_delay_alu instid0(VALU_DEP_1) | instskip(SKIP_4) | instid1(VALU_DEP_1)
	v_fmac_f32_e32 v18, v15, v5
	ds_load_2addr_b32 v[14:15], v17 offset1:32
	ds_load_b128 v[2:5], v16 offset:4160
	s_waitcnt lgkmcnt(3)
	v_fmac_f32_e32 v18, v10, v6
	v_fmac_f32_e32 v18, v11, v7
	ds_load_2addr_b32 v[10:11], v17 offset0:64 offset1:96
	s_waitcnt lgkmcnt(3)
	v_fmac_f32_e32 v18, v12, v8
	s_delay_alu instid0(VALU_DEP_1) | instskip(SKIP_4) | instid1(VALU_DEP_1)
	v_fmac_f32_e32 v18, v13, v9
	ds_load_2addr_b32 v[12:13], v17 offset0:128 offset1:160
	ds_load_b128 v[6:9], v16 offset:4176
	s_waitcnt lgkmcnt(3)
	v_fmac_f32_e32 v18, v14, v2
	v_fmac_f32_e32 v18, v15, v3
	ds_load_2addr_b32 v[14:15], v17 offset0:192 offset1:224
	s_waitcnt lgkmcnt(3)
	v_fmac_f32_e32 v18, v10, v4
	s_delay_alu instid0(VALU_DEP_1) | instskip(SKIP_4) | instid1(VALU_DEP_1)
	v_fmac_f32_e32 v18, v11, v5
	ds_load_2addr_b32 v[10:11], v19 offset1:32
	ds_load_b128 v[2:5], v16 offset:4192
	s_waitcnt lgkmcnt(3)
	v_fmac_f32_e32 v18, v12, v6
	v_fmac_f32_e32 v18, v13, v7
	ds_load_2addr_b32 v[12:13], v19 offset0:64 offset1:96
	s_waitcnt lgkmcnt(3)
	v_fmac_f32_e32 v18, v14, v8
	s_delay_alu instid0(VALU_DEP_1)
	v_fmac_f32_e32 v18, v15, v9
	ds_load_2addr_b32 v[14:15], v19 offset0:128 offset1:160
	ds_load_b128 v[6:9], v16 offset:4208
	v_mad_u64_u32 v[16:17], null, v1, s6, 0
	s_waitcnt lgkmcnt(3)
	v_fmac_f32_e32 v18, v10, v2
	s_delay_alu instid0(VALU_DEP_1) | instskip(SKIP_3) | instid1(VALU_DEP_1)
	v_fmac_f32_e32 v18, v11, v3
	ds_load_2addr_b32 v[2:3], v19 offset0:192 offset1:224
	s_waitcnt lgkmcnt(3)
	v_fmac_f32_e32 v18, v12, v4
	v_fmac_f32_e32 v18, v13, v5
	s_waitcnt lgkmcnt(1)
	s_delay_alu instid0(VALU_DEP_1) | instskip(NEXT) | instid1(VALU_DEP_1)
	v_fmac_f32_e32 v18, v14, v6
	v_fmac_f32_e32 v18, v15, v7
	s_waitcnt lgkmcnt(0)
	s_delay_alu instid0(VALU_DEP_1) | instskip(NEXT) | instid1(VALU_DEP_1)
	v_fmac_f32_e32 v18, v2, v8
	v_fmac_f32_e32 v18, v3, v9
	s_delay_alu instid0(VALU_DEP_1) | instskip(NEXT) | instid1(VALU_DEP_1)
	v_dual_mov_b32 v10, v17 :: v_dual_mul_f32 v3, s15, v18
	v_mad_u64_u32 v[11:12], null, v1, s7, v[10:11]
	s_mul_hi_u32 s7, s3, s6
	s_delay_alu instid0(SALU_CYCLE_1) | instskip(NEXT) | instid1(SALU_CYCLE_1)
	s_add_i32 s1, s7, s2
	s_add_i32 s1, s1, s10
	s_delay_alu instid0(VALU_DEP_1) | instskip(SKIP_1) | instid1(SALU_CYCLE_1)
	v_mov_b32_e32 v17, v11
	s_lshl_b64 s[0:1], s[0:1], 2
	s_add_u32 s0, s4, s0
	s_addc_u32 s1, s5, s1
	s_delay_alu instid0(VALU_DEP_1) | instskip(NEXT) | instid1(VALU_DEP_1)
	v_lshlrev_b64 v[4:5], 2, v[16:17]
	v_add_co_u32 v1, vcc_lo, s0, v4
	s_delay_alu instid0(VALU_DEP_2) | instskip(NEXT) | instid1(VALU_DEP_2)
	v_add_co_ci_u32_e32 v2, vcc_lo, s1, v5, vcc_lo
	v_add_co_u32 v0, vcc_lo, v1, v0
	s_delay_alu instid0(VALU_DEP_2)
	v_add_co_ci_u32_e32 v1, vcc_lo, 0, v2, vcc_lo
	global_store_b32 v[0:1], v3, off
.LBB146_15:
	s_nop 0
	s_sendmsg sendmsg(MSG_DEALLOC_VGPRS)
	s_endpgm
	.section	.rodata,"a",@progbits
	.p2align	6, 0x0
	.amdhsa_kernel _ZL23rocblas_trmm_lTx_kernelILi32ELb0EfPKfKS1_KPfEv13rocblas_fill_17rocblas_diagonal_iiT2_lPT3_llS9_llPT4_lli
		.amdhsa_group_segment_fixed_size 8192
		.amdhsa_private_segment_fixed_size 0
		.amdhsa_kernarg_size 108
		.amdhsa_user_sgpr_count 14
		.amdhsa_user_sgpr_dispatch_ptr 0
		.amdhsa_user_sgpr_queue_ptr 0
		.amdhsa_user_sgpr_kernarg_segment_ptr 1
		.amdhsa_user_sgpr_dispatch_id 0
		.amdhsa_user_sgpr_private_segment_size 0
		.amdhsa_wavefront_size32 1
		.amdhsa_uses_dynamic_stack 0
		.amdhsa_enable_private_segment 0
		.amdhsa_system_sgpr_workgroup_id_x 1
		.amdhsa_system_sgpr_workgroup_id_y 0
		.amdhsa_system_sgpr_workgroup_id_z 1
		.amdhsa_system_sgpr_workgroup_info 0
		.amdhsa_system_vgpr_workitem_id 1
		.amdhsa_next_free_vgpr 20
		.amdhsa_next_free_sgpr 32
		.amdhsa_reserve_vcc 1
		.amdhsa_float_round_mode_32 0
		.amdhsa_float_round_mode_16_64 0
		.amdhsa_float_denorm_mode_32 3
		.amdhsa_float_denorm_mode_16_64 3
		.amdhsa_dx10_clamp 1
		.amdhsa_ieee_mode 1
		.amdhsa_fp16_overflow 0
		.amdhsa_workgroup_processor_mode 1
		.amdhsa_memory_ordered 1
		.amdhsa_forward_progress 0
		.amdhsa_shared_vgpr_count 0
		.amdhsa_exception_fp_ieee_invalid_op 0
		.amdhsa_exception_fp_denorm_src 0
		.amdhsa_exception_fp_ieee_div_zero 0
		.amdhsa_exception_fp_ieee_overflow 0
		.amdhsa_exception_fp_ieee_underflow 0
		.amdhsa_exception_fp_ieee_inexact 0
		.amdhsa_exception_int_div_zero 0
	.end_amdhsa_kernel
	.section	.text._ZL23rocblas_trmm_lTx_kernelILi32ELb0EfPKfKS1_KPfEv13rocblas_fill_17rocblas_diagonal_iiT2_lPT3_llS9_llPT4_lli,"axG",@progbits,_ZL23rocblas_trmm_lTx_kernelILi32ELb0EfPKfKS1_KPfEv13rocblas_fill_17rocblas_diagonal_iiT2_lPT3_llS9_llPT4_lli,comdat
.Lfunc_end146:
	.size	_ZL23rocblas_trmm_lTx_kernelILi32ELb0EfPKfKS1_KPfEv13rocblas_fill_17rocblas_diagonal_iiT2_lPT3_llS9_llPT4_lli, .Lfunc_end146-_ZL23rocblas_trmm_lTx_kernelILi32ELb0EfPKfKS1_KPfEv13rocblas_fill_17rocblas_diagonal_iiT2_lPT3_llS9_llPT4_lli
                                        ; -- End function
	.section	.AMDGPU.csdata,"",@progbits
; Kernel info:
; codeLenInByte = 1376
; NumSgprs: 34
; NumVgprs: 20
; ScratchSize: 0
; MemoryBound: 0
; FloatMode: 240
; IeeeMode: 1
; LDSByteSize: 8192 bytes/workgroup (compile time only)
; SGPRBlocks: 4
; VGPRBlocks: 2
; NumSGPRsForWavesPerEU: 34
; NumVGPRsForWavesPerEU: 20
; Occupancy: 16
; WaveLimiterHint : 1
; COMPUTE_PGM_RSRC2:SCRATCH_EN: 0
; COMPUTE_PGM_RSRC2:USER_SGPR: 14
; COMPUTE_PGM_RSRC2:TRAP_HANDLER: 0
; COMPUTE_PGM_RSRC2:TGID_X_EN: 1
; COMPUTE_PGM_RSRC2:TGID_Y_EN: 0
; COMPUTE_PGM_RSRC2:TGID_Z_EN: 1
; COMPUTE_PGM_RSRC2:TIDIG_COMP_CNT: 1
	.section	.text._ZL23rocblas_trmm_lTx_kernelILi32ELb0EffKPKfKPfEv13rocblas_fill_17rocblas_diagonal_iiT2_lPT3_llS9_llPT4_lli,"axG",@progbits,_ZL23rocblas_trmm_lTx_kernelILi32ELb0EffKPKfKPfEv13rocblas_fill_17rocblas_diagonal_iiT2_lPT3_llS9_llPT4_lli,comdat
	.globl	_ZL23rocblas_trmm_lTx_kernelILi32ELb0EffKPKfKPfEv13rocblas_fill_17rocblas_diagonal_iiT2_lPT3_llS9_llPT4_lli ; -- Begin function _ZL23rocblas_trmm_lTx_kernelILi32ELb0EffKPKfKPfEv13rocblas_fill_17rocblas_diagonal_iiT2_lPT3_llS9_llPT4_lli
	.p2align	8
	.type	_ZL23rocblas_trmm_lTx_kernelILi32ELb0EffKPKfKPfEv13rocblas_fill_17rocblas_diagonal_iiT2_lPT3_llS9_llPT4_lli,@function
_ZL23rocblas_trmm_lTx_kernelILi32ELb0EffKPKfKPfEv13rocblas_fill_17rocblas_diagonal_iiT2_lPT3_llS9_llPT4_lli: ; @_ZL23rocblas_trmm_lTx_kernelILi32ELb0EffKPKfKPfEv13rocblas_fill_17rocblas_diagonal_iiT2_lPT3_llS9_llPT4_lli
; %bb.0:
	s_mov_b32 s2, s15
	s_load_b32 s15, s[0:1], 0x10
	s_waitcnt lgkmcnt(0)
	v_cmp_eq_f32_e64 s3, s15, 0
	s_delay_alu instid0(VALU_DEP_1)
	s_and_b32 vcc_lo, exec_lo, s3
	s_mov_b32 s3, 0
	s_cbranch_vccnz .LBB147_15
; %bb.1:
	s_clause 0x1
	s_load_b512 s[16:31], s[0:1], 0x20
	s_load_b128 s[4:7], s[0:1], 0x0
	s_lshl_b64 s[2:3], s[2:3], 3
	v_bfe_u32 v1, v0, 10, 10
	v_and_b32_e32 v4, 0x3ff, v0
	v_mov_b32_e32 v0, 0
	s_delay_alu instid0(VALU_DEP_3) | instskip(NEXT) | instid1(VALU_DEP_1)
	v_lshlrev_b32_e32 v2, 5, v1
	v_add_lshl_u32 v3, v2, v4, 2
	s_waitcnt lgkmcnt(0)
	s_add_u32 s8, s16, s2
	s_addc_u32 s9, s17, s3
	s_add_u32 s10, s22, s2
	s_addc_u32 s11, s23, s3
	;; [unrolled: 2-line block ×3, first 2 shown]
	s_load_b64 s[12:13], s[8:9], 0x0
	s_load_b64 s[10:11], s[10:11], 0x0
	;; [unrolled: 1-line block ×3, first 2 shown]
	v_cmp_gt_i32_e64 s2, s6, v1
	v_cmp_gt_i32_e32 vcc_lo, s6, v4
	ds_store_2addr_stride64_b32 v3, v0, v0 offset1:16
	v_lshlrev_b32_e32 v0, 2, v4
	s_waitcnt lgkmcnt(0)
	s_barrier
	s_and_b32 s2, s2, vcc_lo
	buffer_gl0_inv
	s_and_saveexec_b32 s3, s2
	s_cbranch_execz .LBB147_3
; %bb.2:
	v_mad_u64_u32 v[5:6], null, v1, s18, 0
	s_lshl_b64 s[16:17], s[20:21], 2
	s_delay_alu instid0(SALU_CYCLE_1) | instskip(SKIP_1) | instid1(VALU_DEP_1)
	s_add_u32 s2, s12, s16
	s_addc_u32 s6, s13, s17
	v_mad_u64_u32 v[7:8], null, v1, s19, v[6:7]
	s_delay_alu instid0(VALU_DEP_1) | instskip(NEXT) | instid1(VALU_DEP_1)
	v_mov_b32_e32 v6, v7
	v_lshlrev_b64 v[5:6], 2, v[5:6]
	s_delay_alu instid0(VALU_DEP_1) | instskip(NEXT) | instid1(VALU_DEP_1)
	v_add_co_u32 v5, s2, s2, v5
	v_add_co_ci_u32_e64 v6, s2, s6, v6, s2
	s_delay_alu instid0(VALU_DEP_2) | instskip(NEXT) | instid1(VALU_DEP_1)
	v_add_co_u32 v5, s2, v5, v0
	v_add_co_ci_u32_e64 v6, s2, 0, v6, s2
	global_load_b32 v5, v[5:6], off
	v_lshlrev_b32_e32 v6, 5, v4
	s_delay_alu instid0(VALU_DEP_1)
	v_add_lshl_u32 v6, v6, v1, 2
	s_waitcnt vmcnt(0)
	ds_store_b32 v6, v5
.LBB147_3:
	s_or_b32 exec_lo, exec_lo, s3
	s_add_i32 s2, s7, -1
	s_delay_alu instid0(SALU_CYCLE_1) | instskip(NEXT) | instid1(SALU_CYCLE_1)
	s_ashr_i32 s3, s2, 31
	s_lshr_b32 s3, s3, 27
	s_delay_alu instid0(SALU_CYCLE_1) | instskip(NEXT) | instid1(SALU_CYCLE_1)
	s_add_i32 s2, s2, s3
	s_and_b32 s3, s2, 0xffffffe0
	s_ashr_i32 s2, s2, 5
	s_sub_i32 s3, s7, s3
	s_cmp_ge_i32 s14, s2
	s_cselect_b32 s2, s3, 32
	s_lshl_b32 s3, s14, 5
	v_cmp_gt_i32_e64 s2, s2, v1
	s_ashr_i32 s6, s3, 31
	s_delay_alu instid0(VALU_DEP_1) | instskip(NEXT) | instid1(SALU_CYCLE_1)
	s_and_b32 s2, vcc_lo, s2
	s_and_saveexec_b32 s7, s2
	s_cbranch_execz .LBB147_5
; %bb.4:
	v_mad_u64_u32 v[5:6], null, v1, s24, 0
	s_lshl_b64 s[12:13], s[26:27], 2
	s_mul_i32 s14, s3, s25
	s_mul_hi_u32 s16, s3, s24
	s_add_u32 s12, s10, s12
	s_mul_i32 s17, s6, s24
	s_addc_u32 s13, s11, s13
	s_delay_alu instid0(VALU_DEP_1) | instskip(SKIP_3) | instid1(SALU_CYCLE_1)
	v_mad_u64_u32 v[7:8], null, v1, s25, v[6:7]
	s_add_i32 s11, s16, s14
	s_mul_i32 s10, s3, s24
	s_add_i32 s11, s11, s17
	s_lshl_b64 s[10:11], s[10:11], 2
	s_delay_alu instid0(SALU_CYCLE_1) | instskip(NEXT) | instid1(VALU_DEP_1)
	s_add_u32 s10, s12, s10
	v_mov_b32_e32 v6, v7
	s_addc_u32 s11, s13, s11
	s_delay_alu instid0(VALU_DEP_1) | instskip(NEXT) | instid1(VALU_DEP_1)
	v_lshlrev_b64 v[5:6], 2, v[5:6]
	v_add_co_u32 v5, vcc_lo, s10, v5
	s_delay_alu instid0(VALU_DEP_2) | instskip(NEXT) | instid1(VALU_DEP_2)
	v_add_co_ci_u32_e32 v6, vcc_lo, s11, v6, vcc_lo
	v_add_co_u32 v5, vcc_lo, v5, v0
	s_delay_alu instid0(VALU_DEP_2)
	v_add_co_ci_u32_e32 v6, vcc_lo, 0, v6, vcc_lo
	global_load_b32 v5, v[5:6], off
	v_add_nc_u32_e32 v6, 0x1000, v3
	s_waitcnt vmcnt(0)
	ds_store_b32 v6, v5
.LBB147_5:
	s_or_b32 exec_lo, exec_lo, s7
	v_cmp_eq_u32_e32 vcc_lo, v1, v4
	s_cmpk_eq_i32 s5, 0x84
	s_cselect_b32 s5, -1, 0
	s_delay_alu instid0(SALU_CYCLE_1) | instskip(NEXT) | instid1(SALU_CYCLE_1)
	s_and_b32 s7, vcc_lo, s5
	s_and_saveexec_b32 s5, s7
	s_cbranch_execz .LBB147_7
; %bb.6:
	v_mov_b32_e32 v5, 1.0
	ds_store_b32 v3, v5
.LBB147_7:
	s_or_b32 exec_lo, exec_lo, s5
	s_cmpk_lg_i32 s4, 0x7a
	s_waitcnt lgkmcnt(0)
	s_barrier
	buffer_gl0_inv
	s_cbranch_scc0 .LBB147_9
; %bb.8:
	v_cmp_lt_u32_e32 vcc_lo, v4, v1
	s_and_b32 s4, vcc_lo, exec_lo
	s_cbranch_execz .LBB147_10
	s_branch .LBB147_11
.LBB147_9:
	s_mov_b32 s4, 0
.LBB147_10:
	v_cmp_gt_u32_e32 vcc_lo, v4, v1
	s_and_not1_b32 s4, s4, exec_lo
	s_and_b32 s5, vcc_lo, exec_lo
	s_delay_alu instid0(SALU_CYCLE_1)
	s_or_b32 s4, s4, s5
.LBB147_11:
	s_delay_alu instid0(SALU_CYCLE_1)
	s_and_saveexec_b32 s5, s4
	s_cbranch_execz .LBB147_13
; %bb.12:
	v_mov_b32_e32 v4, 0
	ds_store_b32 v3, v4
.LBB147_13:
	s_or_b32 exec_lo, exec_lo, s5
	s_waitcnt lgkmcnt(0)
	s_barrier
	buffer_gl0_inv
	s_and_saveexec_b32 s4, s2
	s_cbranch_execz .LBB147_15
; %bb.14:
	v_lshlrev_b32_e32 v16, 2, v2
	s_load_b64 s[0:1], s[0:1], 0x60
	s_mul_i32 s2, s3, s31
	s_mul_hi_u32 s4, s3, s30
	ds_load_2addr_b32 v[10:11], v0 offset1:32
	ds_load_b128 v[2:5], v16 offset:4096
	ds_load_2addr_b32 v[12:13], v0 offset0:64 offset1:96
	ds_load_2addr_b32 v[14:15], v0 offset0:128 offset1:160
	ds_load_b128 v[6:9], v16 offset:4112
	s_mul_i32 s6, s6, s30
	v_add_nc_u32_e32 v17, 0x400, v0
	v_add_nc_u32_e32 v19, 0xc00, v0
	s_waitcnt lgkmcnt(0)
	v_fma_f32 v18, v10, v2, 0
	s_lshl_b64 s[0:1], s[0:1], 2
	s_delay_alu instid0(SALU_CYCLE_1) | instskip(SKIP_1) | instid1(VALU_DEP_1)
	s_add_u32 s5, s8, s0
	s_addc_u32 s7, s9, s1
	v_fmac_f32_e32 v18, v11, v3
	ds_load_2addr_b32 v[10:11], v0 offset0:192 offset1:224
	s_add_i32 s1, s4, s2
	s_mul_i32 s0, s3, s30
	s_add_i32 s1, s1, s6
	v_fmac_f32_e32 v18, v12, v4
	s_lshl_b64 s[0:1], s[0:1], 2
	s_delay_alu instid0(SALU_CYCLE_1) | instskip(SKIP_1) | instid1(VALU_DEP_1)
	s_add_u32 s0, s5, s0
	s_addc_u32 s1, s7, s1
	v_fmac_f32_e32 v18, v13, v5
	ds_load_2addr_b32 v[12:13], v17 offset1:32
	ds_load_b128 v[2:5], v16 offset:4128
	v_fmac_f32_e32 v18, v14, v6
	s_delay_alu instid0(VALU_DEP_1) | instskip(SKIP_3) | instid1(VALU_DEP_1)
	v_fmac_f32_e32 v18, v15, v7
	ds_load_2addr_b32 v[14:15], v17 offset0:64 offset1:96
	s_waitcnt lgkmcnt(3)
	v_fmac_f32_e32 v18, v10, v8
	v_fmac_f32_e32 v18, v11, v9
	ds_load_b128 v[6:9], v16 offset:4144
	ds_load_2addr_b32 v[10:11], v17 offset0:128 offset1:160
	s_waitcnt lgkmcnt(3)
	v_fmac_f32_e32 v18, v12, v2
	s_delay_alu instid0(VALU_DEP_1) | instskip(SKIP_4) | instid1(VALU_DEP_1)
	v_fmac_f32_e32 v18, v13, v3
	ds_load_2addr_b32 v[12:13], v17 offset0:192 offset1:224
	v_add_nc_u32_e32 v17, 0x800, v0
	s_waitcnt lgkmcnt(3)
	v_fmac_f32_e32 v18, v14, v4
	v_fmac_f32_e32 v18, v15, v5
	ds_load_2addr_b32 v[14:15], v17 offset1:32
	ds_load_b128 v[2:5], v16 offset:4160
	s_waitcnt lgkmcnt(3)
	v_fmac_f32_e32 v18, v10, v6
	s_delay_alu instid0(VALU_DEP_1) | instskip(SKIP_3) | instid1(VALU_DEP_1)
	v_fmac_f32_e32 v18, v11, v7
	ds_load_2addr_b32 v[10:11], v17 offset0:64 offset1:96
	s_waitcnt lgkmcnt(3)
	v_fmac_f32_e32 v18, v12, v8
	v_fmac_f32_e32 v18, v13, v9
	ds_load_2addr_b32 v[12:13], v17 offset0:128 offset1:160
	ds_load_b128 v[6:9], v16 offset:4176
	s_waitcnt lgkmcnt(3)
	v_fmac_f32_e32 v18, v14, v2
	s_delay_alu instid0(VALU_DEP_1) | instskip(SKIP_3) | instid1(VALU_DEP_1)
	v_fmac_f32_e32 v18, v15, v3
	ds_load_2addr_b32 v[14:15], v17 offset0:192 offset1:224
	s_waitcnt lgkmcnt(3)
	v_fmac_f32_e32 v18, v10, v4
	v_fmac_f32_e32 v18, v11, v5
	ds_load_2addr_b32 v[10:11], v19 offset1:32
	ds_load_b128 v[2:5], v16 offset:4192
	s_waitcnt lgkmcnt(3)
	v_fmac_f32_e32 v18, v12, v6
	s_delay_alu instid0(VALU_DEP_1) | instskip(SKIP_3) | instid1(VALU_DEP_1)
	v_fmac_f32_e32 v18, v13, v7
	ds_load_2addr_b32 v[12:13], v19 offset0:64 offset1:96
	s_waitcnt lgkmcnt(3)
	v_fmac_f32_e32 v18, v14, v8
	v_fmac_f32_e32 v18, v15, v9
	ds_load_2addr_b32 v[14:15], v19 offset0:128 offset1:160
	ds_load_b128 v[6:9], v16 offset:4208
	v_mad_u64_u32 v[16:17], null, v1, s30, 0
	s_waitcnt lgkmcnt(3)
	v_fmac_f32_e32 v18, v10, v2
	s_delay_alu instid0(VALU_DEP_1) | instskip(SKIP_3) | instid1(VALU_DEP_1)
	v_fmac_f32_e32 v18, v11, v3
	ds_load_2addr_b32 v[2:3], v19 offset0:192 offset1:224
	s_waitcnt lgkmcnt(3)
	v_fmac_f32_e32 v18, v12, v4
	v_fmac_f32_e32 v18, v13, v5
	s_waitcnt lgkmcnt(1)
	s_delay_alu instid0(VALU_DEP_1) | instskip(NEXT) | instid1(VALU_DEP_1)
	v_fmac_f32_e32 v18, v14, v6
	v_fmac_f32_e32 v18, v15, v7
	s_waitcnt lgkmcnt(0)
	s_delay_alu instid0(VALU_DEP_1) | instskip(NEXT) | instid1(VALU_DEP_1)
	v_fmac_f32_e32 v18, v2, v8
	v_fmac_f32_e32 v18, v3, v9
	s_delay_alu instid0(VALU_DEP_1) | instskip(NEXT) | instid1(VALU_DEP_1)
	v_dual_mov_b32 v10, v17 :: v_dual_mul_f32 v3, s15, v18
	v_mad_u64_u32 v[11:12], null, v1, s31, v[10:11]
	s_delay_alu instid0(VALU_DEP_1) | instskip(NEXT) | instid1(VALU_DEP_1)
	v_mov_b32_e32 v17, v11
	v_lshlrev_b64 v[4:5], 2, v[16:17]
	s_delay_alu instid0(VALU_DEP_1) | instskip(NEXT) | instid1(VALU_DEP_2)
	v_add_co_u32 v1, vcc_lo, s0, v4
	v_add_co_ci_u32_e32 v2, vcc_lo, s1, v5, vcc_lo
	s_delay_alu instid0(VALU_DEP_2) | instskip(NEXT) | instid1(VALU_DEP_2)
	v_add_co_u32 v0, vcc_lo, v1, v0
	v_add_co_ci_u32_e32 v1, vcc_lo, 0, v2, vcc_lo
	global_store_b32 v[0:1], v3, off
.LBB147_15:
	s_nop 0
	s_sendmsg sendmsg(MSG_DEALLOC_VGPRS)
	s_endpgm
	.section	.rodata,"a",@progbits
	.p2align	6, 0x0
	.amdhsa_kernel _ZL23rocblas_trmm_lTx_kernelILi32ELb0EffKPKfKPfEv13rocblas_fill_17rocblas_diagonal_iiT2_lPT3_llS9_llPT4_lli
		.amdhsa_group_segment_fixed_size 8192
		.amdhsa_private_segment_fixed_size 0
		.amdhsa_kernarg_size 108
		.amdhsa_user_sgpr_count 14
		.amdhsa_user_sgpr_dispatch_ptr 0
		.amdhsa_user_sgpr_queue_ptr 0
		.amdhsa_user_sgpr_kernarg_segment_ptr 1
		.amdhsa_user_sgpr_dispatch_id 0
		.amdhsa_user_sgpr_private_segment_size 0
		.amdhsa_wavefront_size32 1
		.amdhsa_uses_dynamic_stack 0
		.amdhsa_enable_private_segment 0
		.amdhsa_system_sgpr_workgroup_id_x 1
		.amdhsa_system_sgpr_workgroup_id_y 0
		.amdhsa_system_sgpr_workgroup_id_z 1
		.amdhsa_system_sgpr_workgroup_info 0
		.amdhsa_system_vgpr_workitem_id 1
		.amdhsa_next_free_vgpr 20
		.amdhsa_next_free_sgpr 32
		.amdhsa_reserve_vcc 1
		.amdhsa_float_round_mode_32 0
		.amdhsa_float_round_mode_16_64 0
		.amdhsa_float_denorm_mode_32 3
		.amdhsa_float_denorm_mode_16_64 3
		.amdhsa_dx10_clamp 1
		.amdhsa_ieee_mode 1
		.amdhsa_fp16_overflow 0
		.amdhsa_workgroup_processor_mode 1
		.amdhsa_memory_ordered 1
		.amdhsa_forward_progress 0
		.amdhsa_shared_vgpr_count 0
		.amdhsa_exception_fp_ieee_invalid_op 0
		.amdhsa_exception_fp_denorm_src 0
		.amdhsa_exception_fp_ieee_div_zero 0
		.amdhsa_exception_fp_ieee_overflow 0
		.amdhsa_exception_fp_ieee_underflow 0
		.amdhsa_exception_fp_ieee_inexact 0
		.amdhsa_exception_int_div_zero 0
	.end_amdhsa_kernel
	.section	.text._ZL23rocblas_trmm_lTx_kernelILi32ELb0EffKPKfKPfEv13rocblas_fill_17rocblas_diagonal_iiT2_lPT3_llS9_llPT4_lli,"axG",@progbits,_ZL23rocblas_trmm_lTx_kernelILi32ELb0EffKPKfKPfEv13rocblas_fill_17rocblas_diagonal_iiT2_lPT3_llS9_llPT4_lli,comdat
.Lfunc_end147:
	.size	_ZL23rocblas_trmm_lTx_kernelILi32ELb0EffKPKfKPfEv13rocblas_fill_17rocblas_diagonal_iiT2_lPT3_llS9_llPT4_lli, .Lfunc_end147-_ZL23rocblas_trmm_lTx_kernelILi32ELb0EffKPKfKPfEv13rocblas_fill_17rocblas_diagonal_iiT2_lPT3_llS9_llPT4_lli
                                        ; -- End function
	.section	.AMDGPU.csdata,"",@progbits
; Kernel info:
; codeLenInByte = 1324
; NumSgprs: 34
; NumVgprs: 20
; ScratchSize: 0
; MemoryBound: 0
; FloatMode: 240
; IeeeMode: 1
; LDSByteSize: 8192 bytes/workgroup (compile time only)
; SGPRBlocks: 4
; VGPRBlocks: 2
; NumSGPRsForWavesPerEU: 34
; NumVGPRsForWavesPerEU: 20
; Occupancy: 16
; WaveLimiterHint : 1
; COMPUTE_PGM_RSRC2:SCRATCH_EN: 0
; COMPUTE_PGM_RSRC2:USER_SGPR: 14
; COMPUTE_PGM_RSRC2:TRAP_HANDLER: 0
; COMPUTE_PGM_RSRC2:TGID_X_EN: 1
; COMPUTE_PGM_RSRC2:TGID_Y_EN: 0
; COMPUTE_PGM_RSRC2:TGID_Z_EN: 1
; COMPUTE_PGM_RSRC2:TIDIG_COMP_CNT: 1
	.section	.text._ZL23rocblas_trmm_lTx_kernelILi32ELb1EfPKfKS1_KPfEv13rocblas_fill_17rocblas_diagonal_iiT2_lPT3_llS9_llPT4_lli,"axG",@progbits,_ZL23rocblas_trmm_lTx_kernelILi32ELb1EfPKfKS1_KPfEv13rocblas_fill_17rocblas_diagonal_iiT2_lPT3_llS9_llPT4_lli,comdat
	.globl	_ZL23rocblas_trmm_lTx_kernelILi32ELb1EfPKfKS1_KPfEv13rocblas_fill_17rocblas_diagonal_iiT2_lPT3_llS9_llPT4_lli ; -- Begin function _ZL23rocblas_trmm_lTx_kernelILi32ELb1EfPKfKS1_KPfEv13rocblas_fill_17rocblas_diagonal_iiT2_lPT3_llS9_llPT4_lli
	.p2align	8
	.type	_ZL23rocblas_trmm_lTx_kernelILi32ELb1EfPKfKS1_KPfEv13rocblas_fill_17rocblas_diagonal_iiT2_lPT3_llS9_llPT4_lli,@function
_ZL23rocblas_trmm_lTx_kernelILi32ELb1EfPKfKS1_KPfEv13rocblas_fill_17rocblas_diagonal_iiT2_lPT3_llS9_llPT4_lli: ; @_ZL23rocblas_trmm_lTx_kernelILi32ELb1EfPKfKS1_KPfEv13rocblas_fill_17rocblas_diagonal_iiT2_lPT3_llS9_llPT4_lli
; %bb.0:
	s_load_b512 s[16:31], s[0:1], 0x10
	s_mov_b32 s2, s15
	s_waitcnt lgkmcnt(0)
	s_mul_i32 s3, s15, s19
	s_mul_hi_u32 s4, s15, s18
	s_delay_alu instid0(SALU_CYCLE_1) | instskip(SKIP_1) | instid1(SALU_CYCLE_1)
	s_add_i32 s5, s4, s3
	s_mul_i32 s4, s15, s18
	s_lshl_b64 s[4:5], s[4:5], 2
	s_delay_alu instid0(SALU_CYCLE_1) | instskip(SKIP_4) | instid1(VALU_DEP_1)
	s_add_u32 s4, s16, s4
	s_addc_u32 s5, s17, s5
	s_load_b32 s15, s[4:5], 0x0
	s_waitcnt lgkmcnt(0)
	v_cmp_eq_f32_e64 s3, s15, 0
	s_and_b32 vcc_lo, exec_lo, s3
	s_mov_b32 s3, 0
	s_cbranch_vccnz .LBB148_15
; %bb.1:
	s_clause 0x1
	s_load_b128 s[4:7], s[0:1], 0x50
	s_load_b128 s[8:11], s[0:1], 0x0
	s_lshl_b64 s[2:3], s[2:3], 3
	v_bfe_u32 v1, v0, 10, 10
	s_add_u32 s12, s20, s2
	s_addc_u32 s13, s21, s3
	v_and_b32_e32 v4, 0x3ff, v0
	s_load_b64 s[16:17], s[12:13], 0x0
	s_add_u32 s12, s26, s2
	s_addc_u32 s13, s27, s3
	v_lshlrev_b32_e32 v2, 5, v1
	v_mov_b32_e32 v0, 0
	s_delay_alu instid0(VALU_DEP_2)
	v_add_lshl_u32 v3, v2, v4, 2
	s_waitcnt lgkmcnt(0)
	s_add_u32 s2, s4, s2
	s_addc_u32 s3, s5, s3
	s_load_b64 s[12:13], s[12:13], 0x0
	s_load_b64 s[4:5], s[2:3], 0x0
	v_cmp_gt_i32_e64 s2, s10, v1
	v_cmp_gt_i32_e32 vcc_lo, s10, v4
	ds_store_2addr_stride64_b32 v3, v0, v0 offset1:16
	v_lshlrev_b32_e32 v0, 2, v4
	s_waitcnt lgkmcnt(0)
	s_barrier
	s_and_b32 s2, s2, vcc_lo
	buffer_gl0_inv
	s_and_saveexec_b32 s3, s2
	s_cbranch_execz .LBB148_3
; %bb.2:
	v_mad_u64_u32 v[5:6], null, v1, s22, 0
	s_lshl_b64 s[18:19], s[24:25], 2
	s_delay_alu instid0(SALU_CYCLE_1) | instskip(SKIP_1) | instid1(VALU_DEP_1)
	s_add_u32 s2, s16, s18
	s_addc_u32 s10, s17, s19
	v_mad_u64_u32 v[7:8], null, v1, s23, v[6:7]
	s_delay_alu instid0(VALU_DEP_1) | instskip(NEXT) | instid1(VALU_DEP_1)
	v_mov_b32_e32 v6, v7
	v_lshlrev_b64 v[5:6], 2, v[5:6]
	s_delay_alu instid0(VALU_DEP_1) | instskip(NEXT) | instid1(VALU_DEP_1)
	v_add_co_u32 v5, s2, s2, v5
	v_add_co_ci_u32_e64 v6, s2, s10, v6, s2
	s_delay_alu instid0(VALU_DEP_2) | instskip(NEXT) | instid1(VALU_DEP_1)
	v_add_co_u32 v5, s2, v5, v0
	v_add_co_ci_u32_e64 v6, s2, 0, v6, s2
	global_load_b32 v5, v[5:6], off
	v_lshlrev_b32_e32 v6, 5, v4
	s_delay_alu instid0(VALU_DEP_1)
	v_add_lshl_u32 v6, v6, v1, 2
	s_waitcnt vmcnt(0)
	ds_store_b32 v6, v5
.LBB148_3:
	s_or_b32 exec_lo, exec_lo, s3
	s_add_i32 s2, s11, -1
	s_delay_alu instid0(SALU_CYCLE_1) | instskip(NEXT) | instid1(SALU_CYCLE_1)
	s_ashr_i32 s3, s2, 31
	s_lshr_b32 s3, s3, 27
	s_delay_alu instid0(SALU_CYCLE_1) | instskip(NEXT) | instid1(SALU_CYCLE_1)
	s_add_i32 s2, s2, s3
	s_and_b32 s3, s2, 0xffffffe0
	s_ashr_i32 s2, s2, 5
	s_sub_i32 s3, s11, s3
	s_cmp_ge_i32 s14, s2
	s_cselect_b32 s2, s3, 32
	s_lshl_b32 s3, s14, 5
	v_cmp_gt_i32_e64 s2, s2, v1
	s_ashr_i32 s10, s3, 31
	s_delay_alu instid0(VALU_DEP_1) | instskip(NEXT) | instid1(SALU_CYCLE_1)
	s_and_b32 s2, vcc_lo, s2
	s_and_saveexec_b32 s11, s2
	s_cbranch_execz .LBB148_5
; %bb.4:
	v_mad_u64_u32 v[5:6], null, v1, s28, 0
	s_lshl_b64 s[16:17], s[30:31], 2
	s_mul_i32 s14, s3, s29
	s_mul_hi_u32 s18, s3, s28
	s_add_u32 s16, s12, s16
	s_mul_i32 s19, s10, s28
	s_addc_u32 s17, s13, s17
	s_delay_alu instid0(VALU_DEP_1) | instskip(SKIP_3) | instid1(SALU_CYCLE_1)
	v_mad_u64_u32 v[7:8], null, v1, s29, v[6:7]
	s_add_i32 s13, s18, s14
	s_mul_i32 s12, s3, s28
	s_add_i32 s13, s13, s19
	s_lshl_b64 s[12:13], s[12:13], 2
	s_delay_alu instid0(SALU_CYCLE_1) | instskip(NEXT) | instid1(VALU_DEP_1)
	s_add_u32 s12, s16, s12
	v_mov_b32_e32 v6, v7
	s_addc_u32 s13, s17, s13
	s_delay_alu instid0(VALU_DEP_1) | instskip(NEXT) | instid1(VALU_DEP_1)
	v_lshlrev_b64 v[5:6], 2, v[5:6]
	v_add_co_u32 v5, vcc_lo, s12, v5
	s_delay_alu instid0(VALU_DEP_2) | instskip(NEXT) | instid1(VALU_DEP_2)
	v_add_co_ci_u32_e32 v6, vcc_lo, s13, v6, vcc_lo
	v_add_co_u32 v5, vcc_lo, v5, v0
	s_delay_alu instid0(VALU_DEP_2)
	v_add_co_ci_u32_e32 v6, vcc_lo, 0, v6, vcc_lo
	global_load_b32 v5, v[5:6], off
	v_add_nc_u32_e32 v6, 0x1000, v3
	s_waitcnt vmcnt(0)
	ds_store_b32 v6, v5
.LBB148_5:
	s_or_b32 exec_lo, exec_lo, s11
	v_cmp_eq_u32_e32 vcc_lo, v1, v4
	s_cmpk_eq_i32 s9, 0x84
	s_cselect_b32 s9, -1, 0
	s_delay_alu instid0(SALU_CYCLE_1) | instskip(NEXT) | instid1(SALU_CYCLE_1)
	s_and_b32 s11, vcc_lo, s9
	s_and_saveexec_b32 s9, s11
	s_cbranch_execz .LBB148_7
; %bb.6:
	v_mov_b32_e32 v5, 1.0
	ds_store_b32 v3, v5
.LBB148_7:
	s_or_b32 exec_lo, exec_lo, s9
	s_cmpk_lg_i32 s8, 0x7a
	s_waitcnt lgkmcnt(0)
	s_barrier
	buffer_gl0_inv
	s_cbranch_scc0 .LBB148_9
; %bb.8:
	v_cmp_lt_u32_e32 vcc_lo, v4, v1
	s_and_b32 s8, vcc_lo, exec_lo
	s_cbranch_execz .LBB148_10
	s_branch .LBB148_11
.LBB148_9:
	s_mov_b32 s8, 0
.LBB148_10:
	v_cmp_gt_u32_e32 vcc_lo, v4, v1
	s_and_not1_b32 s8, s8, exec_lo
	s_and_b32 s9, vcc_lo, exec_lo
	s_delay_alu instid0(SALU_CYCLE_1)
	s_or_b32 s8, s8, s9
.LBB148_11:
	s_delay_alu instid0(SALU_CYCLE_1)
	s_and_saveexec_b32 s9, s8
	s_cbranch_execz .LBB148_13
; %bb.12:
	v_mov_b32_e32 v4, 0
	ds_store_b32 v3, v4
.LBB148_13:
	s_or_b32 exec_lo, exec_lo, s9
	s_waitcnt lgkmcnt(0)
	s_barrier
	buffer_gl0_inv
	s_and_saveexec_b32 s8, s2
	s_cbranch_execz .LBB148_15
; %bb.14:
	v_lshlrev_b32_e32 v16, 2, v2
	s_load_b64 s[0:1], s[0:1], 0x60
	s_mul_i32 s2, s3, s7
	s_mul_i32 s10, s10, s6
	ds_load_2addr_b32 v[10:11], v0 offset1:32
	ds_load_b128 v[2:5], v16 offset:4096
	ds_load_2addr_b32 v[12:13], v0 offset0:64 offset1:96
	ds_load_2addr_b32 v[14:15], v0 offset0:128 offset1:160
	ds_load_b128 v[6:9], v16 offset:4112
	v_add_nc_u32_e32 v17, 0x400, v0
	v_add_nc_u32_e32 v19, 0xc00, v0
	s_waitcnt lgkmcnt(0)
	v_fma_f32 v18, v10, v2, 0
	s_lshl_b64 s[0:1], s[0:1], 2
	s_delay_alu instid0(SALU_CYCLE_1) | instskip(SKIP_1) | instid1(VALU_DEP_1)
	s_add_u32 s4, s4, s0
	s_addc_u32 s5, s5, s1
	v_fmac_f32_e32 v18, v11, v3
	ds_load_2addr_b32 v[10:11], v0 offset0:192 offset1:224
	s_mul_i32 s0, s3, s6
	v_fmac_f32_e32 v18, v12, v4
	s_delay_alu instid0(VALU_DEP_1) | instskip(SKIP_3) | instid1(VALU_DEP_1)
	v_fmac_f32_e32 v18, v13, v5
	ds_load_2addr_b32 v[12:13], v17 offset1:32
	ds_load_b128 v[2:5], v16 offset:4128
	v_fmac_f32_e32 v18, v14, v6
	v_fmac_f32_e32 v18, v15, v7
	ds_load_2addr_b32 v[14:15], v17 offset0:64 offset1:96
	s_waitcnt lgkmcnt(3)
	v_fmac_f32_e32 v18, v10, v8
	s_delay_alu instid0(VALU_DEP_1) | instskip(SKIP_4) | instid1(VALU_DEP_1)
	v_fmac_f32_e32 v18, v11, v9
	ds_load_b128 v[6:9], v16 offset:4144
	ds_load_2addr_b32 v[10:11], v17 offset0:128 offset1:160
	s_waitcnt lgkmcnt(3)
	v_fmac_f32_e32 v18, v12, v2
	v_fmac_f32_e32 v18, v13, v3
	ds_load_2addr_b32 v[12:13], v17 offset0:192 offset1:224
	v_add_nc_u32_e32 v17, 0x800, v0
	s_waitcnt lgkmcnt(3)
	v_fmac_f32_e32 v18, v14, v4
	s_delay_alu instid0(VALU_DEP_1) | instskip(SKIP_4) | instid1(VALU_DEP_1)
	v_fmac_f32_e32 v18, v15, v5
	ds_load_2addr_b32 v[14:15], v17 offset1:32
	ds_load_b128 v[2:5], v16 offset:4160
	s_waitcnt lgkmcnt(3)
	v_fmac_f32_e32 v18, v10, v6
	v_fmac_f32_e32 v18, v11, v7
	ds_load_2addr_b32 v[10:11], v17 offset0:64 offset1:96
	s_waitcnt lgkmcnt(3)
	v_fmac_f32_e32 v18, v12, v8
	s_delay_alu instid0(VALU_DEP_1) | instskip(SKIP_4) | instid1(VALU_DEP_1)
	v_fmac_f32_e32 v18, v13, v9
	ds_load_2addr_b32 v[12:13], v17 offset0:128 offset1:160
	ds_load_b128 v[6:9], v16 offset:4176
	s_waitcnt lgkmcnt(3)
	v_fmac_f32_e32 v18, v14, v2
	v_fmac_f32_e32 v18, v15, v3
	ds_load_2addr_b32 v[14:15], v17 offset0:192 offset1:224
	s_waitcnt lgkmcnt(3)
	v_fmac_f32_e32 v18, v10, v4
	s_delay_alu instid0(VALU_DEP_1) | instskip(SKIP_4) | instid1(VALU_DEP_1)
	v_fmac_f32_e32 v18, v11, v5
	ds_load_2addr_b32 v[10:11], v19 offset1:32
	ds_load_b128 v[2:5], v16 offset:4192
	s_waitcnt lgkmcnt(3)
	v_fmac_f32_e32 v18, v12, v6
	v_fmac_f32_e32 v18, v13, v7
	ds_load_2addr_b32 v[12:13], v19 offset0:64 offset1:96
	s_waitcnt lgkmcnt(3)
	v_fmac_f32_e32 v18, v14, v8
	s_delay_alu instid0(VALU_DEP_1)
	v_fmac_f32_e32 v18, v15, v9
	ds_load_2addr_b32 v[14:15], v19 offset0:128 offset1:160
	ds_load_b128 v[6:9], v16 offset:4208
	v_mad_u64_u32 v[16:17], null, v1, s6, 0
	s_waitcnt lgkmcnt(3)
	v_fmac_f32_e32 v18, v10, v2
	s_delay_alu instid0(VALU_DEP_1) | instskip(SKIP_3) | instid1(VALU_DEP_1)
	v_fmac_f32_e32 v18, v11, v3
	ds_load_2addr_b32 v[2:3], v19 offset0:192 offset1:224
	s_waitcnt lgkmcnt(3)
	v_fmac_f32_e32 v18, v12, v4
	v_fmac_f32_e32 v18, v13, v5
	s_waitcnt lgkmcnt(1)
	s_delay_alu instid0(VALU_DEP_1) | instskip(NEXT) | instid1(VALU_DEP_1)
	v_fmac_f32_e32 v18, v14, v6
	v_fmac_f32_e32 v18, v15, v7
	s_waitcnt lgkmcnt(0)
	s_delay_alu instid0(VALU_DEP_1) | instskip(NEXT) | instid1(VALU_DEP_1)
	v_fmac_f32_e32 v18, v2, v8
	v_fmac_f32_e32 v18, v3, v9
	s_delay_alu instid0(VALU_DEP_1) | instskip(NEXT) | instid1(VALU_DEP_1)
	v_dual_mov_b32 v10, v17 :: v_dual_mul_f32 v3, s15, v18
	v_mad_u64_u32 v[11:12], null, v1, s7, v[10:11]
	s_mul_hi_u32 s7, s3, s6
	s_delay_alu instid0(SALU_CYCLE_1) | instskip(NEXT) | instid1(SALU_CYCLE_1)
	s_add_i32 s1, s7, s2
	s_add_i32 s1, s1, s10
	s_delay_alu instid0(VALU_DEP_1) | instskip(SKIP_1) | instid1(SALU_CYCLE_1)
	v_mov_b32_e32 v17, v11
	s_lshl_b64 s[0:1], s[0:1], 2
	s_add_u32 s0, s4, s0
	s_addc_u32 s1, s5, s1
	s_delay_alu instid0(VALU_DEP_1) | instskip(NEXT) | instid1(VALU_DEP_1)
	v_lshlrev_b64 v[4:5], 2, v[16:17]
	v_add_co_u32 v1, vcc_lo, s0, v4
	s_delay_alu instid0(VALU_DEP_2) | instskip(NEXT) | instid1(VALU_DEP_2)
	v_add_co_ci_u32_e32 v2, vcc_lo, s1, v5, vcc_lo
	v_add_co_u32 v0, vcc_lo, v1, v0
	s_delay_alu instid0(VALU_DEP_2)
	v_add_co_ci_u32_e32 v1, vcc_lo, 0, v2, vcc_lo
	global_store_b32 v[0:1], v3, off
.LBB148_15:
	s_nop 0
	s_sendmsg sendmsg(MSG_DEALLOC_VGPRS)
	s_endpgm
	.section	.rodata,"a",@progbits
	.p2align	6, 0x0
	.amdhsa_kernel _ZL23rocblas_trmm_lTx_kernelILi32ELb1EfPKfKS1_KPfEv13rocblas_fill_17rocblas_diagonal_iiT2_lPT3_llS9_llPT4_lli
		.amdhsa_group_segment_fixed_size 8192
		.amdhsa_private_segment_fixed_size 0
		.amdhsa_kernarg_size 108
		.amdhsa_user_sgpr_count 14
		.amdhsa_user_sgpr_dispatch_ptr 0
		.amdhsa_user_sgpr_queue_ptr 0
		.amdhsa_user_sgpr_kernarg_segment_ptr 1
		.amdhsa_user_sgpr_dispatch_id 0
		.amdhsa_user_sgpr_private_segment_size 0
		.amdhsa_wavefront_size32 1
		.amdhsa_uses_dynamic_stack 0
		.amdhsa_enable_private_segment 0
		.amdhsa_system_sgpr_workgroup_id_x 1
		.amdhsa_system_sgpr_workgroup_id_y 0
		.amdhsa_system_sgpr_workgroup_id_z 1
		.amdhsa_system_sgpr_workgroup_info 0
		.amdhsa_system_vgpr_workitem_id 1
		.amdhsa_next_free_vgpr 20
		.amdhsa_next_free_sgpr 32
		.amdhsa_reserve_vcc 1
		.amdhsa_float_round_mode_32 0
		.amdhsa_float_round_mode_16_64 0
		.amdhsa_float_denorm_mode_32 3
		.amdhsa_float_denorm_mode_16_64 3
		.amdhsa_dx10_clamp 1
		.amdhsa_ieee_mode 1
		.amdhsa_fp16_overflow 0
		.amdhsa_workgroup_processor_mode 1
		.amdhsa_memory_ordered 1
		.amdhsa_forward_progress 0
		.amdhsa_shared_vgpr_count 0
		.amdhsa_exception_fp_ieee_invalid_op 0
		.amdhsa_exception_fp_denorm_src 0
		.amdhsa_exception_fp_ieee_div_zero 0
		.amdhsa_exception_fp_ieee_overflow 0
		.amdhsa_exception_fp_ieee_underflow 0
		.amdhsa_exception_fp_ieee_inexact 0
		.amdhsa_exception_int_div_zero 0
	.end_amdhsa_kernel
	.section	.text._ZL23rocblas_trmm_lTx_kernelILi32ELb1EfPKfKS1_KPfEv13rocblas_fill_17rocblas_diagonal_iiT2_lPT3_llS9_llPT4_lli,"axG",@progbits,_ZL23rocblas_trmm_lTx_kernelILi32ELb1EfPKfKS1_KPfEv13rocblas_fill_17rocblas_diagonal_iiT2_lPT3_llS9_llPT4_lli,comdat
.Lfunc_end148:
	.size	_ZL23rocblas_trmm_lTx_kernelILi32ELb1EfPKfKS1_KPfEv13rocblas_fill_17rocblas_diagonal_iiT2_lPT3_llS9_llPT4_lli, .Lfunc_end148-_ZL23rocblas_trmm_lTx_kernelILi32ELb1EfPKfKS1_KPfEv13rocblas_fill_17rocblas_diagonal_iiT2_lPT3_llS9_llPT4_lli
                                        ; -- End function
	.section	.AMDGPU.csdata,"",@progbits
; Kernel info:
; codeLenInByte = 1376
; NumSgprs: 34
; NumVgprs: 20
; ScratchSize: 0
; MemoryBound: 0
; FloatMode: 240
; IeeeMode: 1
; LDSByteSize: 8192 bytes/workgroup (compile time only)
; SGPRBlocks: 4
; VGPRBlocks: 2
; NumSGPRsForWavesPerEU: 34
; NumVGPRsForWavesPerEU: 20
; Occupancy: 16
; WaveLimiterHint : 1
; COMPUTE_PGM_RSRC2:SCRATCH_EN: 0
; COMPUTE_PGM_RSRC2:USER_SGPR: 14
; COMPUTE_PGM_RSRC2:TRAP_HANDLER: 0
; COMPUTE_PGM_RSRC2:TGID_X_EN: 1
; COMPUTE_PGM_RSRC2:TGID_Y_EN: 0
; COMPUTE_PGM_RSRC2:TGID_Z_EN: 1
; COMPUTE_PGM_RSRC2:TIDIG_COMP_CNT: 1
	.section	.text._ZL23rocblas_trmm_lTx_kernelILi32ELb1EffKPKfKPfEv13rocblas_fill_17rocblas_diagonal_iiT2_lPT3_llS9_llPT4_lli,"axG",@progbits,_ZL23rocblas_trmm_lTx_kernelILi32ELb1EffKPKfKPfEv13rocblas_fill_17rocblas_diagonal_iiT2_lPT3_llS9_llPT4_lli,comdat
	.globl	_ZL23rocblas_trmm_lTx_kernelILi32ELb1EffKPKfKPfEv13rocblas_fill_17rocblas_diagonal_iiT2_lPT3_llS9_llPT4_lli ; -- Begin function _ZL23rocblas_trmm_lTx_kernelILi32ELb1EffKPKfKPfEv13rocblas_fill_17rocblas_diagonal_iiT2_lPT3_llS9_llPT4_lli
	.p2align	8
	.type	_ZL23rocblas_trmm_lTx_kernelILi32ELb1EffKPKfKPfEv13rocblas_fill_17rocblas_diagonal_iiT2_lPT3_llS9_llPT4_lli,@function
_ZL23rocblas_trmm_lTx_kernelILi32ELb1EffKPKfKPfEv13rocblas_fill_17rocblas_diagonal_iiT2_lPT3_llS9_llPT4_lli: ; @_ZL23rocblas_trmm_lTx_kernelILi32ELb1EffKPKfKPfEv13rocblas_fill_17rocblas_diagonal_iiT2_lPT3_llS9_llPT4_lli
; %bb.0:
	s_mov_b32 s2, s15
	s_load_b32 s15, s[0:1], 0x10
	s_waitcnt lgkmcnt(0)
	v_cmp_eq_f32_e64 s3, s15, 0
	s_delay_alu instid0(VALU_DEP_1)
	s_and_b32 vcc_lo, exec_lo, s3
	s_mov_b32 s3, 0
	s_cbranch_vccnz .LBB149_15
; %bb.1:
	s_clause 0x1
	s_load_b512 s[16:31], s[0:1], 0x20
	s_load_b128 s[4:7], s[0:1], 0x0
	s_lshl_b64 s[2:3], s[2:3], 3
	v_bfe_u32 v1, v0, 10, 10
	v_and_b32_e32 v4, 0x3ff, v0
	v_mov_b32_e32 v0, 0
	s_delay_alu instid0(VALU_DEP_3) | instskip(NEXT) | instid1(VALU_DEP_1)
	v_lshlrev_b32_e32 v2, 5, v1
	v_add_lshl_u32 v3, v2, v4, 2
	s_waitcnt lgkmcnt(0)
	s_add_u32 s8, s16, s2
	s_addc_u32 s9, s17, s3
	s_add_u32 s10, s22, s2
	s_addc_u32 s11, s23, s3
	;; [unrolled: 2-line block ×3, first 2 shown]
	s_load_b64 s[12:13], s[8:9], 0x0
	s_load_b64 s[10:11], s[10:11], 0x0
	;; [unrolled: 1-line block ×3, first 2 shown]
	v_cmp_gt_i32_e64 s2, s6, v1
	v_cmp_gt_i32_e32 vcc_lo, s6, v4
	ds_store_2addr_stride64_b32 v3, v0, v0 offset1:16
	v_lshlrev_b32_e32 v0, 2, v4
	s_waitcnt lgkmcnt(0)
	s_barrier
	s_and_b32 s2, s2, vcc_lo
	buffer_gl0_inv
	s_and_saveexec_b32 s3, s2
	s_cbranch_execz .LBB149_3
; %bb.2:
	v_mad_u64_u32 v[5:6], null, v1, s18, 0
	s_lshl_b64 s[16:17], s[20:21], 2
	s_delay_alu instid0(SALU_CYCLE_1) | instskip(SKIP_1) | instid1(VALU_DEP_1)
	s_add_u32 s2, s12, s16
	s_addc_u32 s6, s13, s17
	v_mad_u64_u32 v[7:8], null, v1, s19, v[6:7]
	s_delay_alu instid0(VALU_DEP_1) | instskip(NEXT) | instid1(VALU_DEP_1)
	v_mov_b32_e32 v6, v7
	v_lshlrev_b64 v[5:6], 2, v[5:6]
	s_delay_alu instid0(VALU_DEP_1) | instskip(NEXT) | instid1(VALU_DEP_1)
	v_add_co_u32 v5, s2, s2, v5
	v_add_co_ci_u32_e64 v6, s2, s6, v6, s2
	s_delay_alu instid0(VALU_DEP_2) | instskip(NEXT) | instid1(VALU_DEP_1)
	v_add_co_u32 v5, s2, v5, v0
	v_add_co_ci_u32_e64 v6, s2, 0, v6, s2
	global_load_b32 v5, v[5:6], off
	v_lshlrev_b32_e32 v6, 5, v4
	s_delay_alu instid0(VALU_DEP_1)
	v_add_lshl_u32 v6, v6, v1, 2
	s_waitcnt vmcnt(0)
	ds_store_b32 v6, v5
.LBB149_3:
	s_or_b32 exec_lo, exec_lo, s3
	s_add_i32 s2, s7, -1
	s_delay_alu instid0(SALU_CYCLE_1) | instskip(NEXT) | instid1(SALU_CYCLE_1)
	s_ashr_i32 s3, s2, 31
	s_lshr_b32 s3, s3, 27
	s_delay_alu instid0(SALU_CYCLE_1) | instskip(NEXT) | instid1(SALU_CYCLE_1)
	s_add_i32 s2, s2, s3
	s_and_b32 s3, s2, 0xffffffe0
	s_ashr_i32 s2, s2, 5
	s_sub_i32 s3, s7, s3
	s_cmp_ge_i32 s14, s2
	s_cselect_b32 s2, s3, 32
	s_lshl_b32 s3, s14, 5
	v_cmp_gt_i32_e64 s2, s2, v1
	s_ashr_i32 s6, s3, 31
	s_delay_alu instid0(VALU_DEP_1) | instskip(NEXT) | instid1(SALU_CYCLE_1)
	s_and_b32 s2, vcc_lo, s2
	s_and_saveexec_b32 s7, s2
	s_cbranch_execz .LBB149_5
; %bb.4:
	v_mad_u64_u32 v[5:6], null, v1, s24, 0
	s_lshl_b64 s[12:13], s[26:27], 2
	s_mul_i32 s14, s3, s25
	s_mul_hi_u32 s16, s3, s24
	s_add_u32 s12, s10, s12
	s_mul_i32 s17, s6, s24
	s_addc_u32 s13, s11, s13
	s_delay_alu instid0(VALU_DEP_1) | instskip(SKIP_3) | instid1(SALU_CYCLE_1)
	v_mad_u64_u32 v[7:8], null, v1, s25, v[6:7]
	s_add_i32 s11, s16, s14
	s_mul_i32 s10, s3, s24
	s_add_i32 s11, s11, s17
	s_lshl_b64 s[10:11], s[10:11], 2
	s_delay_alu instid0(SALU_CYCLE_1) | instskip(NEXT) | instid1(VALU_DEP_1)
	s_add_u32 s10, s12, s10
	v_mov_b32_e32 v6, v7
	s_addc_u32 s11, s13, s11
	s_delay_alu instid0(VALU_DEP_1) | instskip(NEXT) | instid1(VALU_DEP_1)
	v_lshlrev_b64 v[5:6], 2, v[5:6]
	v_add_co_u32 v5, vcc_lo, s10, v5
	s_delay_alu instid0(VALU_DEP_2) | instskip(NEXT) | instid1(VALU_DEP_2)
	v_add_co_ci_u32_e32 v6, vcc_lo, s11, v6, vcc_lo
	v_add_co_u32 v5, vcc_lo, v5, v0
	s_delay_alu instid0(VALU_DEP_2)
	v_add_co_ci_u32_e32 v6, vcc_lo, 0, v6, vcc_lo
	global_load_b32 v5, v[5:6], off
	v_add_nc_u32_e32 v6, 0x1000, v3
	s_waitcnt vmcnt(0)
	ds_store_b32 v6, v5
.LBB149_5:
	s_or_b32 exec_lo, exec_lo, s7
	v_cmp_eq_u32_e32 vcc_lo, v1, v4
	s_cmpk_eq_i32 s5, 0x84
	s_cselect_b32 s5, -1, 0
	s_delay_alu instid0(SALU_CYCLE_1) | instskip(NEXT) | instid1(SALU_CYCLE_1)
	s_and_b32 s7, vcc_lo, s5
	s_and_saveexec_b32 s5, s7
	s_cbranch_execz .LBB149_7
; %bb.6:
	v_mov_b32_e32 v5, 1.0
	ds_store_b32 v3, v5
.LBB149_7:
	s_or_b32 exec_lo, exec_lo, s5
	s_cmpk_lg_i32 s4, 0x7a
	s_waitcnt lgkmcnt(0)
	s_barrier
	buffer_gl0_inv
	s_cbranch_scc0 .LBB149_9
; %bb.8:
	v_cmp_lt_u32_e32 vcc_lo, v4, v1
	s_and_b32 s4, vcc_lo, exec_lo
	s_cbranch_execz .LBB149_10
	s_branch .LBB149_11
.LBB149_9:
	s_mov_b32 s4, 0
.LBB149_10:
	v_cmp_gt_u32_e32 vcc_lo, v4, v1
	s_and_not1_b32 s4, s4, exec_lo
	s_and_b32 s5, vcc_lo, exec_lo
	s_delay_alu instid0(SALU_CYCLE_1)
	s_or_b32 s4, s4, s5
.LBB149_11:
	s_delay_alu instid0(SALU_CYCLE_1)
	s_and_saveexec_b32 s5, s4
	s_cbranch_execz .LBB149_13
; %bb.12:
	v_mov_b32_e32 v4, 0
	ds_store_b32 v3, v4
.LBB149_13:
	s_or_b32 exec_lo, exec_lo, s5
	s_waitcnt lgkmcnt(0)
	s_barrier
	buffer_gl0_inv
	s_and_saveexec_b32 s4, s2
	s_cbranch_execz .LBB149_15
; %bb.14:
	v_lshlrev_b32_e32 v16, 2, v2
	s_load_b64 s[0:1], s[0:1], 0x60
	s_mul_i32 s2, s3, s31
	s_mul_hi_u32 s4, s3, s30
	ds_load_2addr_b32 v[10:11], v0 offset1:32
	ds_load_b128 v[2:5], v16 offset:4096
	ds_load_2addr_b32 v[12:13], v0 offset0:64 offset1:96
	ds_load_2addr_b32 v[14:15], v0 offset0:128 offset1:160
	ds_load_b128 v[6:9], v16 offset:4112
	s_mul_i32 s6, s6, s30
	v_add_nc_u32_e32 v17, 0x400, v0
	v_add_nc_u32_e32 v19, 0xc00, v0
	s_waitcnt lgkmcnt(0)
	v_fma_f32 v18, v10, v2, 0
	s_lshl_b64 s[0:1], s[0:1], 2
	s_delay_alu instid0(SALU_CYCLE_1) | instskip(SKIP_1) | instid1(VALU_DEP_1)
	s_add_u32 s5, s8, s0
	s_addc_u32 s7, s9, s1
	v_fmac_f32_e32 v18, v11, v3
	ds_load_2addr_b32 v[10:11], v0 offset0:192 offset1:224
	s_add_i32 s1, s4, s2
	s_mul_i32 s0, s3, s30
	s_add_i32 s1, s1, s6
	v_fmac_f32_e32 v18, v12, v4
	s_lshl_b64 s[0:1], s[0:1], 2
	s_delay_alu instid0(SALU_CYCLE_1) | instskip(SKIP_1) | instid1(VALU_DEP_1)
	s_add_u32 s0, s5, s0
	s_addc_u32 s1, s7, s1
	v_fmac_f32_e32 v18, v13, v5
	ds_load_2addr_b32 v[12:13], v17 offset1:32
	ds_load_b128 v[2:5], v16 offset:4128
	v_fmac_f32_e32 v18, v14, v6
	s_delay_alu instid0(VALU_DEP_1) | instskip(SKIP_3) | instid1(VALU_DEP_1)
	v_fmac_f32_e32 v18, v15, v7
	ds_load_2addr_b32 v[14:15], v17 offset0:64 offset1:96
	s_waitcnt lgkmcnt(3)
	v_fmac_f32_e32 v18, v10, v8
	v_fmac_f32_e32 v18, v11, v9
	ds_load_b128 v[6:9], v16 offset:4144
	ds_load_2addr_b32 v[10:11], v17 offset0:128 offset1:160
	s_waitcnt lgkmcnt(3)
	v_fmac_f32_e32 v18, v12, v2
	s_delay_alu instid0(VALU_DEP_1) | instskip(SKIP_4) | instid1(VALU_DEP_1)
	v_fmac_f32_e32 v18, v13, v3
	ds_load_2addr_b32 v[12:13], v17 offset0:192 offset1:224
	v_add_nc_u32_e32 v17, 0x800, v0
	s_waitcnt lgkmcnt(3)
	v_fmac_f32_e32 v18, v14, v4
	v_fmac_f32_e32 v18, v15, v5
	ds_load_2addr_b32 v[14:15], v17 offset1:32
	ds_load_b128 v[2:5], v16 offset:4160
	s_waitcnt lgkmcnt(3)
	v_fmac_f32_e32 v18, v10, v6
	s_delay_alu instid0(VALU_DEP_1) | instskip(SKIP_3) | instid1(VALU_DEP_1)
	v_fmac_f32_e32 v18, v11, v7
	ds_load_2addr_b32 v[10:11], v17 offset0:64 offset1:96
	s_waitcnt lgkmcnt(3)
	v_fmac_f32_e32 v18, v12, v8
	v_fmac_f32_e32 v18, v13, v9
	ds_load_2addr_b32 v[12:13], v17 offset0:128 offset1:160
	ds_load_b128 v[6:9], v16 offset:4176
	s_waitcnt lgkmcnt(3)
	v_fmac_f32_e32 v18, v14, v2
	s_delay_alu instid0(VALU_DEP_1) | instskip(SKIP_3) | instid1(VALU_DEP_1)
	v_fmac_f32_e32 v18, v15, v3
	ds_load_2addr_b32 v[14:15], v17 offset0:192 offset1:224
	s_waitcnt lgkmcnt(3)
	v_fmac_f32_e32 v18, v10, v4
	v_fmac_f32_e32 v18, v11, v5
	ds_load_2addr_b32 v[10:11], v19 offset1:32
	ds_load_b128 v[2:5], v16 offset:4192
	s_waitcnt lgkmcnt(3)
	v_fmac_f32_e32 v18, v12, v6
	s_delay_alu instid0(VALU_DEP_1) | instskip(SKIP_3) | instid1(VALU_DEP_1)
	v_fmac_f32_e32 v18, v13, v7
	ds_load_2addr_b32 v[12:13], v19 offset0:64 offset1:96
	s_waitcnt lgkmcnt(3)
	v_fmac_f32_e32 v18, v14, v8
	v_fmac_f32_e32 v18, v15, v9
	ds_load_2addr_b32 v[14:15], v19 offset0:128 offset1:160
	ds_load_b128 v[6:9], v16 offset:4208
	v_mad_u64_u32 v[16:17], null, v1, s30, 0
	s_waitcnt lgkmcnt(3)
	v_fmac_f32_e32 v18, v10, v2
	s_delay_alu instid0(VALU_DEP_1) | instskip(SKIP_3) | instid1(VALU_DEP_1)
	v_fmac_f32_e32 v18, v11, v3
	ds_load_2addr_b32 v[2:3], v19 offset0:192 offset1:224
	s_waitcnt lgkmcnt(3)
	v_fmac_f32_e32 v18, v12, v4
	v_fmac_f32_e32 v18, v13, v5
	s_waitcnt lgkmcnt(1)
	s_delay_alu instid0(VALU_DEP_1) | instskip(NEXT) | instid1(VALU_DEP_1)
	v_fmac_f32_e32 v18, v14, v6
	v_fmac_f32_e32 v18, v15, v7
	s_waitcnt lgkmcnt(0)
	s_delay_alu instid0(VALU_DEP_1) | instskip(NEXT) | instid1(VALU_DEP_1)
	v_fmac_f32_e32 v18, v2, v8
	v_fmac_f32_e32 v18, v3, v9
	s_delay_alu instid0(VALU_DEP_1) | instskip(NEXT) | instid1(VALU_DEP_1)
	v_dual_mov_b32 v10, v17 :: v_dual_mul_f32 v3, s15, v18
	v_mad_u64_u32 v[11:12], null, v1, s31, v[10:11]
	s_delay_alu instid0(VALU_DEP_1) | instskip(NEXT) | instid1(VALU_DEP_1)
	v_mov_b32_e32 v17, v11
	v_lshlrev_b64 v[4:5], 2, v[16:17]
	s_delay_alu instid0(VALU_DEP_1) | instskip(NEXT) | instid1(VALU_DEP_2)
	v_add_co_u32 v1, vcc_lo, s0, v4
	v_add_co_ci_u32_e32 v2, vcc_lo, s1, v5, vcc_lo
	s_delay_alu instid0(VALU_DEP_2) | instskip(NEXT) | instid1(VALU_DEP_2)
	v_add_co_u32 v0, vcc_lo, v1, v0
	v_add_co_ci_u32_e32 v1, vcc_lo, 0, v2, vcc_lo
	global_store_b32 v[0:1], v3, off
.LBB149_15:
	s_nop 0
	s_sendmsg sendmsg(MSG_DEALLOC_VGPRS)
	s_endpgm
	.section	.rodata,"a",@progbits
	.p2align	6, 0x0
	.amdhsa_kernel _ZL23rocblas_trmm_lTx_kernelILi32ELb1EffKPKfKPfEv13rocblas_fill_17rocblas_diagonal_iiT2_lPT3_llS9_llPT4_lli
		.amdhsa_group_segment_fixed_size 8192
		.amdhsa_private_segment_fixed_size 0
		.amdhsa_kernarg_size 108
		.amdhsa_user_sgpr_count 14
		.amdhsa_user_sgpr_dispatch_ptr 0
		.amdhsa_user_sgpr_queue_ptr 0
		.amdhsa_user_sgpr_kernarg_segment_ptr 1
		.amdhsa_user_sgpr_dispatch_id 0
		.amdhsa_user_sgpr_private_segment_size 0
		.amdhsa_wavefront_size32 1
		.amdhsa_uses_dynamic_stack 0
		.amdhsa_enable_private_segment 0
		.amdhsa_system_sgpr_workgroup_id_x 1
		.amdhsa_system_sgpr_workgroup_id_y 0
		.amdhsa_system_sgpr_workgroup_id_z 1
		.amdhsa_system_sgpr_workgroup_info 0
		.amdhsa_system_vgpr_workitem_id 1
		.amdhsa_next_free_vgpr 20
		.amdhsa_next_free_sgpr 32
		.amdhsa_reserve_vcc 1
		.amdhsa_float_round_mode_32 0
		.amdhsa_float_round_mode_16_64 0
		.amdhsa_float_denorm_mode_32 3
		.amdhsa_float_denorm_mode_16_64 3
		.amdhsa_dx10_clamp 1
		.amdhsa_ieee_mode 1
		.amdhsa_fp16_overflow 0
		.amdhsa_workgroup_processor_mode 1
		.amdhsa_memory_ordered 1
		.amdhsa_forward_progress 0
		.amdhsa_shared_vgpr_count 0
		.amdhsa_exception_fp_ieee_invalid_op 0
		.amdhsa_exception_fp_denorm_src 0
		.amdhsa_exception_fp_ieee_div_zero 0
		.amdhsa_exception_fp_ieee_overflow 0
		.amdhsa_exception_fp_ieee_underflow 0
		.amdhsa_exception_fp_ieee_inexact 0
		.amdhsa_exception_int_div_zero 0
	.end_amdhsa_kernel
	.section	.text._ZL23rocblas_trmm_lTx_kernelILi32ELb1EffKPKfKPfEv13rocblas_fill_17rocblas_diagonal_iiT2_lPT3_llS9_llPT4_lli,"axG",@progbits,_ZL23rocblas_trmm_lTx_kernelILi32ELb1EffKPKfKPfEv13rocblas_fill_17rocblas_diagonal_iiT2_lPT3_llS9_llPT4_lli,comdat
.Lfunc_end149:
	.size	_ZL23rocblas_trmm_lTx_kernelILi32ELb1EffKPKfKPfEv13rocblas_fill_17rocblas_diagonal_iiT2_lPT3_llS9_llPT4_lli, .Lfunc_end149-_ZL23rocblas_trmm_lTx_kernelILi32ELb1EffKPKfKPfEv13rocblas_fill_17rocblas_diagonal_iiT2_lPT3_llS9_llPT4_lli
                                        ; -- End function
	.section	.AMDGPU.csdata,"",@progbits
; Kernel info:
; codeLenInByte = 1324
; NumSgprs: 34
; NumVgprs: 20
; ScratchSize: 0
; MemoryBound: 0
; FloatMode: 240
; IeeeMode: 1
; LDSByteSize: 8192 bytes/workgroup (compile time only)
; SGPRBlocks: 4
; VGPRBlocks: 2
; NumSGPRsForWavesPerEU: 34
; NumVGPRsForWavesPerEU: 20
; Occupancy: 16
; WaveLimiterHint : 1
; COMPUTE_PGM_RSRC2:SCRATCH_EN: 0
; COMPUTE_PGM_RSRC2:USER_SGPR: 14
; COMPUTE_PGM_RSRC2:TRAP_HANDLER: 0
; COMPUTE_PGM_RSRC2:TGID_X_EN: 1
; COMPUTE_PGM_RSRC2:TGID_Y_EN: 0
; COMPUTE_PGM_RSRC2:TGID_Z_EN: 1
; COMPUTE_PGM_RSRC2:TIDIG_COMP_CNT: 1
	.section	.text._ZL23rocblas_trmm_rNx_kernelILi32EfPKfKS1_KPfEv13rocblas_fill_17rocblas_diagonal_iiT1_lPT2_llS9_llPT3_lli,"axG",@progbits,_ZL23rocblas_trmm_rNx_kernelILi32EfPKfKS1_KPfEv13rocblas_fill_17rocblas_diagonal_iiT1_lPT2_llS9_llPT3_lli,comdat
	.globl	_ZL23rocblas_trmm_rNx_kernelILi32EfPKfKS1_KPfEv13rocblas_fill_17rocblas_diagonal_iiT1_lPT2_llS9_llPT3_lli ; -- Begin function _ZL23rocblas_trmm_rNx_kernelILi32EfPKfKS1_KPfEv13rocblas_fill_17rocblas_diagonal_iiT1_lPT2_llS9_llPT3_lli
	.p2align	8
	.type	_ZL23rocblas_trmm_rNx_kernelILi32EfPKfKS1_KPfEv13rocblas_fill_17rocblas_diagonal_iiT1_lPT2_llS9_llPT3_lli,@function
_ZL23rocblas_trmm_rNx_kernelILi32EfPKfKS1_KPfEv13rocblas_fill_17rocblas_diagonal_iiT1_lPT2_llS9_llPT3_lli: ; @_ZL23rocblas_trmm_rNx_kernelILi32EfPKfKS1_KPfEv13rocblas_fill_17rocblas_diagonal_iiT1_lPT2_llS9_llPT3_lli
; %bb.0:
	s_load_b512 s[16:31], s[0:1], 0x10
	s_mov_b32 s2, s15
	s_waitcnt lgkmcnt(0)
	s_mul_i32 s3, s15, s19
	s_mul_hi_u32 s4, s15, s18
	s_delay_alu instid0(SALU_CYCLE_1) | instskip(SKIP_1) | instid1(SALU_CYCLE_1)
	s_add_i32 s5, s4, s3
	s_mul_i32 s4, s15, s18
	s_lshl_b64 s[4:5], s[4:5], 2
	s_delay_alu instid0(SALU_CYCLE_1) | instskip(SKIP_4) | instid1(VALU_DEP_1)
	s_add_u32 s4, s16, s4
	s_addc_u32 s5, s17, s5
	s_load_b32 s15, s[4:5], 0x0
	s_waitcnt lgkmcnt(0)
	v_cmp_eq_f32_e64 s3, s15, 0
	s_and_b32 vcc_lo, exec_lo, s3
	s_mov_b32 s3, 0
	s_cbranch_vccnz .LBB150_15
; %bb.1:
	s_clause 0x1
	s_load_b128 s[4:7], s[0:1], 0x50
	s_load_b128 s[8:11], s[0:1], 0x0
	s_lshl_b64 s[16:17], s[2:3], 3
	v_bfe_u32 v1, v0, 10, 10
	s_add_u32 s2, s26, s16
	s_addc_u32 s3, s27, s17
	v_dual_mov_b32 v5, 0 :: v_dual_and_b32 v4, 0x3ff, v0
	s_delay_alu instid0(VALU_DEP_2) | instskip(NEXT) | instid1(VALU_DEP_2)
	v_lshlrev_b32_e32 v2, 5, v1
	v_lshlrev_b32_e32 v0, 2, v4
	s_delay_alu instid0(VALU_DEP_2)
	v_add_lshl_u32 v3, v2, v4, 2
	s_waitcnt lgkmcnt(0)
	s_add_u32 s4, s4, s16
	s_addc_u32 s5, s5, s17
	s_load_b64 s[12:13], s[2:3], 0x0
	s_load_b64 s[4:5], s[4:5], 0x0
	v_cmp_gt_i32_e32 vcc_lo, s11, v1
	v_cmp_gt_i32_e64 s2, s11, v4
	ds_store_2addr_stride64_b32 v3, v5, v5 offset1:16
	s_and_b32 s2, vcc_lo, s2
	s_delay_alu instid0(SALU_CYCLE_1)
	s_and_saveexec_b32 s3, s2
	s_cbranch_execz .LBB150_3
; %bb.2:
	v_mad_u64_u32 v[5:6], null, v1, s22, 0
	s_add_u32 s16, s20, s16
	s_addc_u32 s17, s21, s17
	s_lshl_b64 s[18:19], s[24:25], 2
	s_load_b64 s[16:17], s[16:17], 0x0
	s_delay_alu instid0(VALU_DEP_1) | instskip(NEXT) | instid1(VALU_DEP_1)
	v_mad_u64_u32 v[7:8], null, v1, s23, v[6:7]
	v_mov_b32_e32 v6, v7
	s_delay_alu instid0(VALU_DEP_1) | instskip(SKIP_3) | instid1(VALU_DEP_1)
	v_lshlrev_b64 v[5:6], 2, v[5:6]
	s_waitcnt lgkmcnt(0)
	s_add_u32 s2, s16, s18
	s_addc_u32 s11, s17, s19
	v_add_co_u32 v5, s2, s2, v5
	s_delay_alu instid0(VALU_DEP_1) | instskip(NEXT) | instid1(VALU_DEP_2)
	v_add_co_ci_u32_e64 v6, s2, s11, v6, s2
	v_add_co_u32 v5, s2, v5, v0
	s_delay_alu instid0(VALU_DEP_1)
	v_add_co_ci_u32_e64 v6, s2, 0, v6, s2
	global_load_b32 v5, v[5:6], off
	s_waitcnt vmcnt(0)
	ds_store_b32 v3, v5
.LBB150_3:
	s_or_b32 exec_lo, exec_lo, s3
	s_add_i32 s2, s10, -1
	s_delay_alu instid0(SALU_CYCLE_1) | instskip(NEXT) | instid1(SALU_CYCLE_1)
	s_ashr_i32 s3, s2, 31
	s_lshr_b32 s3, s3, 27
	s_delay_alu instid0(SALU_CYCLE_1) | instskip(NEXT) | instid1(SALU_CYCLE_1)
	s_add_i32 s2, s2, s3
	s_and_b32 s3, s2, 0xffffffe0
	s_ashr_i32 s2, s2, 5
	s_sub_i32 s3, s10, s3
	s_cmp_ge_i32 s14, s2
	s_cselect_b32 s2, s3, 32
	s_lshl_b32 s10, s14, 5
	v_cmp_gt_i32_e64 s2, s2, v4
	s_ashr_i32 s11, s10, 31
	s_delay_alu instid0(VALU_DEP_1) | instskip(NEXT) | instid1(SALU_CYCLE_1)
	s_and_b32 s2, vcc_lo, s2
	s_and_saveexec_b32 s3, s2
	s_cbranch_execz .LBB150_5
; %bb.4:
	v_mad_u64_u32 v[5:6], null, v1, s28, 0
	s_lshl_b64 s[16:17], s[30:31], 2
	s_waitcnt lgkmcnt(0)
	s_add_u32 s14, s12, s16
	s_addc_u32 s16, s13, s17
	s_lshl_b64 s[12:13], s[10:11], 2
	s_delay_alu instid0(SALU_CYCLE_1) | instskip(NEXT) | instid1(VALU_DEP_1)
	s_add_u32 s12, s14, s12
	v_mad_u64_u32 v[7:8], null, v1, s29, v[6:7]
	s_addc_u32 s13, s16, s13
	s_delay_alu instid0(VALU_DEP_1) | instskip(NEXT) | instid1(VALU_DEP_1)
	v_mov_b32_e32 v6, v7
	v_lshlrev_b64 v[5:6], 2, v[5:6]
	s_delay_alu instid0(VALU_DEP_1) | instskip(NEXT) | instid1(VALU_DEP_2)
	v_add_co_u32 v5, vcc_lo, s12, v5
	v_add_co_ci_u32_e32 v6, vcc_lo, s13, v6, vcc_lo
	s_delay_alu instid0(VALU_DEP_2) | instskip(NEXT) | instid1(VALU_DEP_2)
	v_add_co_u32 v5, vcc_lo, v5, v0
	v_add_co_ci_u32_e32 v6, vcc_lo, 0, v6, vcc_lo
	global_load_b32 v5, v[5:6], off
	v_add_nc_u32_e32 v6, 0x1000, v3
	s_waitcnt vmcnt(0)
	ds_store_b32 v6, v5
.LBB150_5:
	s_or_b32 exec_lo, exec_lo, s3
	v_cmp_eq_u32_e32 vcc_lo, v1, v4
	s_cmpk_eq_i32 s9, 0x84
	s_cselect_b32 s3, -1, 0
	s_delay_alu instid0(SALU_CYCLE_1) | instskip(NEXT) | instid1(SALU_CYCLE_1)
	s_and_b32 s9, vcc_lo, s3
	s_and_saveexec_b32 s3, s9
	s_cbranch_execz .LBB150_7
; %bb.6:
	v_mov_b32_e32 v5, 1.0
	ds_store_b32 v3, v5
.LBB150_7:
	s_or_b32 exec_lo, exec_lo, s3
	s_cmpk_lg_i32 s8, 0x79
	s_cbranch_scc0 .LBB150_9
; %bb.8:
	v_cmp_lt_u32_e32 vcc_lo, v4, v1
	s_and_b32 s3, vcc_lo, exec_lo
	s_cbranch_execz .LBB150_10
	s_branch .LBB150_11
.LBB150_9:
	s_mov_b32 s3, 0
.LBB150_10:
	v_cmp_gt_u32_e32 vcc_lo, v4, v1
	s_and_not1_b32 s3, s3, exec_lo
	s_and_b32 s8, vcc_lo, exec_lo
	s_delay_alu instid0(SALU_CYCLE_1)
	s_or_b32 s3, s3, s8
.LBB150_11:
	s_delay_alu instid0(SALU_CYCLE_1)
	s_and_saveexec_b32 s8, s3
	s_cbranch_execz .LBB150_13
; %bb.12:
	v_mov_b32_e32 v4, 0
	ds_store_b32 v3, v4
.LBB150_13:
	s_or_b32 exec_lo, exec_lo, s8
	s_waitcnt lgkmcnt(0)
	s_barrier
	buffer_gl0_inv
	s_and_saveexec_b32 s3, s2
	s_cbranch_execz .LBB150_15
; %bb.14:
	v_add_nc_u32_e32 v16, 0x1000, v0
	v_lshlrev_b32_e32 v17, 2, v2
	s_load_b64 s[0:1], s[0:1], 0x60
	ds_load_2addr_b32 v[10:11], v16 offset1:32
	ds_load_b128 v[2:5], v17
	ds_load_2addr_b32 v[12:13], v16 offset0:64 offset1:96
	ds_load_b128 v[6:9], v17 offset:16
	ds_load_2addr_b32 v[14:15], v16 offset0:128 offset1:160
	v_add_nc_u32_e32 v19, 0x1c00, v0
	s_waitcnt lgkmcnt(0)
	v_fma_f32 v18, v10, v2, 0
	s_lshl_b64 s[0:1], s[0:1], 2
	s_delay_alu instid0(SALU_CYCLE_1) | instskip(SKIP_1) | instid1(VALU_DEP_1)
	s_add_u32 s2, s4, s0
	s_addc_u32 s3, s5, s1
	v_fmac_f32_e32 v18, v11, v3
	ds_load_2addr_b32 v[10:11], v16 offset0:192 offset1:224
	v_add_nc_u32_e32 v16, 0x1400, v0
	s_lshl_b64 s[0:1], s[10:11], 2
	v_fmac_f32_e32 v18, v12, v4
	s_add_u32 s0, s2, s0
	s_addc_u32 s1, s3, s1
	s_delay_alu instid0(VALU_DEP_1) | instskip(SKIP_3) | instid1(VALU_DEP_1)
	v_fmac_f32_e32 v18, v13, v5
	ds_load_2addr_b32 v[12:13], v16 offset1:32
	ds_load_b128 v[2:5], v17 offset:32
	v_fmac_f32_e32 v18, v14, v6
	v_fmac_f32_e32 v18, v15, v7
	ds_load_2addr_b32 v[14:15], v16 offset0:64 offset1:96
	s_waitcnt lgkmcnt(3)
	v_fmac_f32_e32 v18, v10, v8
	s_delay_alu instid0(VALU_DEP_1) | instskip(SKIP_4) | instid1(VALU_DEP_1)
	v_fmac_f32_e32 v18, v11, v9
	ds_load_b128 v[6:9], v17 offset:48
	ds_load_2addr_b32 v[10:11], v16 offset0:128 offset1:160
	s_waitcnt lgkmcnt(3)
	v_fmac_f32_e32 v18, v12, v2
	v_fmac_f32_e32 v18, v13, v3
	ds_load_2addr_b32 v[12:13], v16 offset0:192 offset1:224
	v_add_nc_u32_e32 v16, 0x1800, v0
	s_waitcnt lgkmcnt(3)
	v_fmac_f32_e32 v18, v14, v4
	s_delay_alu instid0(VALU_DEP_1) | instskip(SKIP_4) | instid1(VALU_DEP_1)
	v_fmac_f32_e32 v18, v15, v5
	ds_load_2addr_b32 v[14:15], v16 offset1:32
	ds_load_b128 v[2:5], v17 offset:64
	s_waitcnt lgkmcnt(3)
	v_fmac_f32_e32 v18, v10, v6
	v_fmac_f32_e32 v18, v11, v7
	ds_load_2addr_b32 v[10:11], v16 offset0:64 offset1:96
	s_waitcnt lgkmcnt(3)
	v_fmac_f32_e32 v18, v12, v8
	s_delay_alu instid0(VALU_DEP_1) | instskip(SKIP_4) | instid1(VALU_DEP_1)
	v_fmac_f32_e32 v18, v13, v9
	ds_load_2addr_b32 v[12:13], v16 offset0:128 offset1:160
	ds_load_b128 v[6:9], v17 offset:80
	s_waitcnt lgkmcnt(3)
	v_fmac_f32_e32 v18, v14, v2
	v_fmac_f32_e32 v18, v15, v3
	ds_load_2addr_b32 v[14:15], v16 offset0:192 offset1:224
	s_waitcnt lgkmcnt(3)
	v_fmac_f32_e32 v18, v10, v4
	s_delay_alu instid0(VALU_DEP_1) | instskip(SKIP_4) | instid1(VALU_DEP_1)
	v_fmac_f32_e32 v18, v11, v5
	ds_load_2addr_b32 v[10:11], v19 offset1:32
	ds_load_b128 v[2:5], v17 offset:96
	s_waitcnt lgkmcnt(3)
	v_fmac_f32_e32 v18, v12, v6
	v_fmac_f32_e32 v18, v13, v7
	ds_load_2addr_b32 v[12:13], v19 offset0:64 offset1:96
	s_waitcnt lgkmcnt(3)
	v_fmac_f32_e32 v18, v14, v8
	s_delay_alu instid0(VALU_DEP_1)
	v_fmac_f32_e32 v18, v15, v9
	ds_load_2addr_b32 v[14:15], v19 offset0:128 offset1:160
	ds_load_b128 v[6:9], v17 offset:112
	v_mad_u64_u32 v[16:17], null, v1, s6, 0
	s_waitcnt lgkmcnt(3)
	v_fmac_f32_e32 v18, v10, v2
	s_delay_alu instid0(VALU_DEP_1) | instskip(SKIP_4) | instid1(VALU_DEP_2)
	v_fmac_f32_e32 v18, v11, v3
	ds_load_2addr_b32 v[2:3], v19 offset0:192 offset1:224
	s_waitcnt lgkmcnt(3)
	v_fmac_f32_e32 v18, v12, v4
	v_mov_b32_e32 v4, v17
	v_fmac_f32_e32 v18, v13, v5
	s_delay_alu instid0(VALU_DEP_2) | instskip(SKIP_1) | instid1(VALU_DEP_2)
	v_mad_u64_u32 v[10:11], null, v1, s7, v[4:5]
	s_waitcnt lgkmcnt(1)
	v_fmac_f32_e32 v18, v14, v6
	s_delay_alu instid0(VALU_DEP_1) | instskip(SKIP_1) | instid1(VALU_DEP_1)
	v_dual_mov_b32 v17, v10 :: v_dual_fmac_f32 v18, v15, v7
	s_waitcnt lgkmcnt(0)
	v_fmac_f32_e32 v18, v2, v8
	s_delay_alu instid0(VALU_DEP_2) | instskip(NEXT) | instid1(VALU_DEP_2)
	v_lshlrev_b64 v[1:2], 2, v[16:17]
	v_fmac_f32_e32 v18, v3, v9
	s_delay_alu instid0(VALU_DEP_2) | instskip(NEXT) | instid1(VALU_DEP_3)
	v_add_co_u32 v1, vcc_lo, s0, v1
	v_add_co_ci_u32_e32 v2, vcc_lo, s1, v2, vcc_lo
	s_delay_alu instid0(VALU_DEP_3) | instskip(NEXT) | instid1(VALU_DEP_3)
	v_mul_f32_e32 v3, s15, v18
	v_add_co_u32 v0, vcc_lo, v1, v0
	s_delay_alu instid0(VALU_DEP_3)
	v_add_co_ci_u32_e32 v1, vcc_lo, 0, v2, vcc_lo
	global_store_b32 v[0:1], v3, off
.LBB150_15:
	s_nop 0
	s_sendmsg sendmsg(MSG_DEALLOC_VGPRS)
	s_endpgm
	.section	.rodata,"a",@progbits
	.p2align	6, 0x0
	.amdhsa_kernel _ZL23rocblas_trmm_rNx_kernelILi32EfPKfKS1_KPfEv13rocblas_fill_17rocblas_diagonal_iiT1_lPT2_llS9_llPT3_lli
		.amdhsa_group_segment_fixed_size 8192
		.amdhsa_private_segment_fixed_size 0
		.amdhsa_kernarg_size 108
		.amdhsa_user_sgpr_count 14
		.amdhsa_user_sgpr_dispatch_ptr 0
		.amdhsa_user_sgpr_queue_ptr 0
		.amdhsa_user_sgpr_kernarg_segment_ptr 1
		.amdhsa_user_sgpr_dispatch_id 0
		.amdhsa_user_sgpr_private_segment_size 0
		.amdhsa_wavefront_size32 1
		.amdhsa_uses_dynamic_stack 0
		.amdhsa_enable_private_segment 0
		.amdhsa_system_sgpr_workgroup_id_x 1
		.amdhsa_system_sgpr_workgroup_id_y 0
		.amdhsa_system_sgpr_workgroup_id_z 1
		.amdhsa_system_sgpr_workgroup_info 0
		.amdhsa_system_vgpr_workitem_id 1
		.amdhsa_next_free_vgpr 20
		.amdhsa_next_free_sgpr 32
		.amdhsa_reserve_vcc 1
		.amdhsa_float_round_mode_32 0
		.amdhsa_float_round_mode_16_64 0
		.amdhsa_float_denorm_mode_32 3
		.amdhsa_float_denorm_mode_16_64 3
		.amdhsa_dx10_clamp 1
		.amdhsa_ieee_mode 1
		.amdhsa_fp16_overflow 0
		.amdhsa_workgroup_processor_mode 1
		.amdhsa_memory_ordered 1
		.amdhsa_forward_progress 0
		.amdhsa_shared_vgpr_count 0
		.amdhsa_exception_fp_ieee_invalid_op 0
		.amdhsa_exception_fp_denorm_src 0
		.amdhsa_exception_fp_ieee_div_zero 0
		.amdhsa_exception_fp_ieee_overflow 0
		.amdhsa_exception_fp_ieee_underflow 0
		.amdhsa_exception_fp_ieee_inexact 0
		.amdhsa_exception_int_div_zero 0
	.end_amdhsa_kernel
	.section	.text._ZL23rocblas_trmm_rNx_kernelILi32EfPKfKS1_KPfEv13rocblas_fill_17rocblas_diagonal_iiT1_lPT2_llS9_llPT3_lli,"axG",@progbits,_ZL23rocblas_trmm_rNx_kernelILi32EfPKfKS1_KPfEv13rocblas_fill_17rocblas_diagonal_iiT1_lPT2_llS9_llPT3_lli,comdat
.Lfunc_end150:
	.size	_ZL23rocblas_trmm_rNx_kernelILi32EfPKfKS1_KPfEv13rocblas_fill_17rocblas_diagonal_iiT1_lPT2_llS9_llPT3_lli, .Lfunc_end150-_ZL23rocblas_trmm_rNx_kernelILi32EfPKfKS1_KPfEv13rocblas_fill_17rocblas_diagonal_iiT1_lPT2_llS9_llPT3_lli
                                        ; -- End function
	.section	.AMDGPU.csdata,"",@progbits
; Kernel info:
; codeLenInByte = 1292
; NumSgprs: 34
; NumVgprs: 20
; ScratchSize: 0
; MemoryBound: 0
; FloatMode: 240
; IeeeMode: 1
; LDSByteSize: 8192 bytes/workgroup (compile time only)
; SGPRBlocks: 4
; VGPRBlocks: 2
; NumSGPRsForWavesPerEU: 34
; NumVGPRsForWavesPerEU: 20
; Occupancy: 16
; WaveLimiterHint : 1
; COMPUTE_PGM_RSRC2:SCRATCH_EN: 0
; COMPUTE_PGM_RSRC2:USER_SGPR: 14
; COMPUTE_PGM_RSRC2:TRAP_HANDLER: 0
; COMPUTE_PGM_RSRC2:TGID_X_EN: 1
; COMPUTE_PGM_RSRC2:TGID_Y_EN: 0
; COMPUTE_PGM_RSRC2:TGID_Z_EN: 1
; COMPUTE_PGM_RSRC2:TIDIG_COMP_CNT: 1
	.section	.text._ZL23rocblas_trmm_rNx_kernelILi32EffKPKfKPfEv13rocblas_fill_17rocblas_diagonal_iiT1_lPT2_llS9_llPT3_lli,"axG",@progbits,_ZL23rocblas_trmm_rNx_kernelILi32EffKPKfKPfEv13rocblas_fill_17rocblas_diagonal_iiT1_lPT2_llS9_llPT3_lli,comdat
	.globl	_ZL23rocblas_trmm_rNx_kernelILi32EffKPKfKPfEv13rocblas_fill_17rocblas_diagonal_iiT1_lPT2_llS9_llPT3_lli ; -- Begin function _ZL23rocblas_trmm_rNx_kernelILi32EffKPKfKPfEv13rocblas_fill_17rocblas_diagonal_iiT1_lPT2_llS9_llPT3_lli
	.p2align	8
	.type	_ZL23rocblas_trmm_rNx_kernelILi32EffKPKfKPfEv13rocblas_fill_17rocblas_diagonal_iiT1_lPT2_llS9_llPT3_lli,@function
_ZL23rocblas_trmm_rNx_kernelILi32EffKPKfKPfEv13rocblas_fill_17rocblas_diagonal_iiT1_lPT2_llS9_llPT3_lli: ; @_ZL23rocblas_trmm_rNx_kernelILi32EffKPKfKPfEv13rocblas_fill_17rocblas_diagonal_iiT1_lPT2_llS9_llPT3_lli
; %bb.0:
	s_mov_b32 s2, s15
	s_load_b32 s15, s[0:1], 0x10
	s_waitcnt lgkmcnt(0)
	v_cmp_eq_f32_e64 s3, s15, 0
	s_delay_alu instid0(VALU_DEP_1)
	s_and_b32 vcc_lo, exec_lo, s3
	s_mov_b32 s3, 0
	s_cbranch_vccnz .LBB151_15
; %bb.1:
	s_clause 0x1
	s_load_b512 s[16:31], s[0:1], 0x20
	s_load_b128 s[4:7], s[0:1], 0x0
	s_lshl_b64 s[12:13], s[2:3], 3
	v_bfe_u32 v1, v0, 10, 10
	v_dual_mov_b32 v5, 0 :: v_dual_and_b32 v4, 0x3ff, v0
	s_delay_alu instid0(VALU_DEP_2) | instskip(NEXT) | instid1(VALU_DEP_2)
	v_lshlrev_b32_e32 v2, 5, v1
	v_lshlrev_b32_e32 v0, 2, v4
	s_delay_alu instid0(VALU_DEP_2)
	v_add_lshl_u32 v3, v2, v4, 2
	s_waitcnt lgkmcnt(0)
	s_add_u32 s2, s22, s12
	s_addc_u32 s3, s23, s13
	s_add_u32 s8, s28, s12
	s_addc_u32 s9, s29, s13
	s_load_b64 s[10:11], s[2:3], 0x0
	s_load_b64 s[8:9], s[8:9], 0x0
	v_cmp_gt_i32_e32 vcc_lo, s7, v1
	v_cmp_gt_i32_e64 s2, s7, v4
	ds_store_2addr_stride64_b32 v3, v5, v5 offset1:16
	s_and_b32 s2, vcc_lo, s2
	s_delay_alu instid0(SALU_CYCLE_1)
	s_and_saveexec_b32 s3, s2
	s_cbranch_execz .LBB151_3
; %bb.2:
	v_mad_u64_u32 v[5:6], null, v1, s18, 0
	s_add_u32 s12, s16, s12
	s_addc_u32 s13, s17, s13
	s_lshl_b64 s[16:17], s[20:21], 2
	s_load_b64 s[12:13], s[12:13], 0x0
	s_delay_alu instid0(VALU_DEP_1) | instskip(NEXT) | instid1(VALU_DEP_1)
	v_mad_u64_u32 v[7:8], null, v1, s19, v[6:7]
	v_mov_b32_e32 v6, v7
	s_delay_alu instid0(VALU_DEP_1) | instskip(SKIP_3) | instid1(VALU_DEP_1)
	v_lshlrev_b64 v[5:6], 2, v[5:6]
	s_waitcnt lgkmcnt(0)
	s_add_u32 s2, s12, s16
	s_addc_u32 s7, s13, s17
	v_add_co_u32 v5, s2, s2, v5
	s_delay_alu instid0(VALU_DEP_1) | instskip(NEXT) | instid1(VALU_DEP_2)
	v_add_co_ci_u32_e64 v6, s2, s7, v6, s2
	v_add_co_u32 v5, s2, v5, v0
	s_delay_alu instid0(VALU_DEP_1)
	v_add_co_ci_u32_e64 v6, s2, 0, v6, s2
	global_load_b32 v5, v[5:6], off
	s_waitcnt vmcnt(0)
	ds_store_b32 v3, v5
.LBB151_3:
	s_or_b32 exec_lo, exec_lo, s3
	s_add_i32 s2, s6, -1
	s_delay_alu instid0(SALU_CYCLE_1) | instskip(NEXT) | instid1(SALU_CYCLE_1)
	s_ashr_i32 s3, s2, 31
	s_lshr_b32 s3, s3, 27
	s_delay_alu instid0(SALU_CYCLE_1) | instskip(NEXT) | instid1(SALU_CYCLE_1)
	s_add_i32 s2, s2, s3
	s_and_b32 s3, s2, 0xffffffe0
	s_ashr_i32 s2, s2, 5
	s_sub_i32 s3, s6, s3
	s_cmp_ge_i32 s14, s2
	s_cselect_b32 s2, s3, 32
	s_lshl_b32 s6, s14, 5
	v_cmp_gt_i32_e64 s2, s2, v4
	s_ashr_i32 s7, s6, 31
	s_delay_alu instid0(VALU_DEP_1) | instskip(NEXT) | instid1(SALU_CYCLE_1)
	s_and_b32 s2, vcc_lo, s2
	s_and_saveexec_b32 s3, s2
	s_cbranch_execz .LBB151_5
; %bb.4:
	v_mad_u64_u32 v[5:6], null, v1, s24, 0
	s_lshl_b64 s[12:13], s[26:27], 2
	s_waitcnt lgkmcnt(0)
	s_add_u32 s12, s10, s12
	s_addc_u32 s13, s11, s13
	s_lshl_b64 s[10:11], s[6:7], 2
	s_delay_alu instid0(SALU_CYCLE_1) | instskip(NEXT) | instid1(VALU_DEP_1)
	s_add_u32 s10, s12, s10
	v_mad_u64_u32 v[7:8], null, v1, s25, v[6:7]
	s_addc_u32 s11, s13, s11
	s_delay_alu instid0(VALU_DEP_1) | instskip(NEXT) | instid1(VALU_DEP_1)
	v_mov_b32_e32 v6, v7
	v_lshlrev_b64 v[5:6], 2, v[5:6]
	s_delay_alu instid0(VALU_DEP_1) | instskip(NEXT) | instid1(VALU_DEP_2)
	v_add_co_u32 v5, vcc_lo, s10, v5
	v_add_co_ci_u32_e32 v6, vcc_lo, s11, v6, vcc_lo
	s_delay_alu instid0(VALU_DEP_2) | instskip(NEXT) | instid1(VALU_DEP_2)
	v_add_co_u32 v5, vcc_lo, v5, v0
	v_add_co_ci_u32_e32 v6, vcc_lo, 0, v6, vcc_lo
	global_load_b32 v5, v[5:6], off
	v_add_nc_u32_e32 v6, 0x1000, v3
	s_waitcnt vmcnt(0)
	ds_store_b32 v6, v5
.LBB151_5:
	s_or_b32 exec_lo, exec_lo, s3
	v_cmp_eq_u32_e32 vcc_lo, v1, v4
	s_cmpk_eq_i32 s5, 0x84
	s_cselect_b32 s3, -1, 0
	s_delay_alu instid0(SALU_CYCLE_1) | instskip(NEXT) | instid1(SALU_CYCLE_1)
	s_and_b32 s5, vcc_lo, s3
	s_and_saveexec_b32 s3, s5
	s_cbranch_execz .LBB151_7
; %bb.6:
	v_mov_b32_e32 v5, 1.0
	ds_store_b32 v3, v5
.LBB151_7:
	s_or_b32 exec_lo, exec_lo, s3
	s_cmpk_lg_i32 s4, 0x79
	s_cbranch_scc0 .LBB151_9
; %bb.8:
	v_cmp_lt_u32_e32 vcc_lo, v4, v1
	s_and_b32 s3, vcc_lo, exec_lo
	s_cbranch_execz .LBB151_10
	s_branch .LBB151_11
.LBB151_9:
	s_mov_b32 s3, 0
.LBB151_10:
	v_cmp_gt_u32_e32 vcc_lo, v4, v1
	s_and_not1_b32 s3, s3, exec_lo
	s_and_b32 s4, vcc_lo, exec_lo
	s_delay_alu instid0(SALU_CYCLE_1)
	s_or_b32 s3, s3, s4
.LBB151_11:
	s_delay_alu instid0(SALU_CYCLE_1)
	s_and_saveexec_b32 s4, s3
	s_cbranch_execz .LBB151_13
; %bb.12:
	v_mov_b32_e32 v4, 0
	ds_store_b32 v3, v4
.LBB151_13:
	s_or_b32 exec_lo, exec_lo, s4
	s_waitcnt lgkmcnt(0)
	s_barrier
	buffer_gl0_inv
	s_and_saveexec_b32 s3, s2
	s_cbranch_execz .LBB151_15
; %bb.14:
	v_add_nc_u32_e32 v16, 0x1000, v0
	v_lshlrev_b32_e32 v17, 2, v2
	s_load_b64 s[0:1], s[0:1], 0x60
	ds_load_2addr_b32 v[10:11], v16 offset1:32
	ds_load_b128 v[2:5], v17
	ds_load_2addr_b32 v[12:13], v16 offset0:64 offset1:96
	ds_load_b128 v[6:9], v17 offset:16
	ds_load_2addr_b32 v[14:15], v16 offset0:128 offset1:160
	v_add_nc_u32_e32 v19, 0x1c00, v0
	s_waitcnt lgkmcnt(0)
	v_fma_f32 v18, v10, v2, 0
	s_lshl_b64 s[0:1], s[0:1], 2
	s_delay_alu instid0(SALU_CYCLE_1) | instskip(SKIP_1) | instid1(VALU_DEP_1)
	s_add_u32 s2, s8, s0
	s_addc_u32 s3, s9, s1
	v_fmac_f32_e32 v18, v11, v3
	ds_load_2addr_b32 v[10:11], v16 offset0:192 offset1:224
	v_add_nc_u32_e32 v16, 0x1400, v0
	s_lshl_b64 s[0:1], s[6:7], 2
	v_fmac_f32_e32 v18, v12, v4
	s_add_u32 s0, s2, s0
	s_addc_u32 s1, s3, s1
	s_delay_alu instid0(VALU_DEP_1) | instskip(SKIP_3) | instid1(VALU_DEP_1)
	v_fmac_f32_e32 v18, v13, v5
	ds_load_2addr_b32 v[12:13], v16 offset1:32
	ds_load_b128 v[2:5], v17 offset:32
	v_fmac_f32_e32 v18, v14, v6
	v_fmac_f32_e32 v18, v15, v7
	ds_load_2addr_b32 v[14:15], v16 offset0:64 offset1:96
	s_waitcnt lgkmcnt(3)
	v_fmac_f32_e32 v18, v10, v8
	s_delay_alu instid0(VALU_DEP_1) | instskip(SKIP_4) | instid1(VALU_DEP_1)
	v_fmac_f32_e32 v18, v11, v9
	ds_load_b128 v[6:9], v17 offset:48
	ds_load_2addr_b32 v[10:11], v16 offset0:128 offset1:160
	s_waitcnt lgkmcnt(3)
	v_fmac_f32_e32 v18, v12, v2
	v_fmac_f32_e32 v18, v13, v3
	ds_load_2addr_b32 v[12:13], v16 offset0:192 offset1:224
	v_add_nc_u32_e32 v16, 0x1800, v0
	s_waitcnt lgkmcnt(3)
	v_fmac_f32_e32 v18, v14, v4
	s_delay_alu instid0(VALU_DEP_1) | instskip(SKIP_4) | instid1(VALU_DEP_1)
	v_fmac_f32_e32 v18, v15, v5
	ds_load_2addr_b32 v[14:15], v16 offset1:32
	ds_load_b128 v[2:5], v17 offset:64
	s_waitcnt lgkmcnt(3)
	v_fmac_f32_e32 v18, v10, v6
	v_fmac_f32_e32 v18, v11, v7
	ds_load_2addr_b32 v[10:11], v16 offset0:64 offset1:96
	s_waitcnt lgkmcnt(3)
	v_fmac_f32_e32 v18, v12, v8
	s_delay_alu instid0(VALU_DEP_1) | instskip(SKIP_4) | instid1(VALU_DEP_1)
	v_fmac_f32_e32 v18, v13, v9
	ds_load_2addr_b32 v[12:13], v16 offset0:128 offset1:160
	ds_load_b128 v[6:9], v17 offset:80
	s_waitcnt lgkmcnt(3)
	v_fmac_f32_e32 v18, v14, v2
	v_fmac_f32_e32 v18, v15, v3
	ds_load_2addr_b32 v[14:15], v16 offset0:192 offset1:224
	s_waitcnt lgkmcnt(3)
	v_fmac_f32_e32 v18, v10, v4
	s_delay_alu instid0(VALU_DEP_1) | instskip(SKIP_4) | instid1(VALU_DEP_1)
	v_fmac_f32_e32 v18, v11, v5
	ds_load_2addr_b32 v[10:11], v19 offset1:32
	ds_load_b128 v[2:5], v17 offset:96
	s_waitcnt lgkmcnt(3)
	v_fmac_f32_e32 v18, v12, v6
	v_fmac_f32_e32 v18, v13, v7
	ds_load_2addr_b32 v[12:13], v19 offset0:64 offset1:96
	s_waitcnt lgkmcnt(3)
	v_fmac_f32_e32 v18, v14, v8
	s_delay_alu instid0(VALU_DEP_1)
	v_fmac_f32_e32 v18, v15, v9
	ds_load_2addr_b32 v[14:15], v19 offset0:128 offset1:160
	ds_load_b128 v[6:9], v17 offset:112
	v_mad_u64_u32 v[16:17], null, v1, s30, 0
	s_waitcnt lgkmcnt(3)
	v_fmac_f32_e32 v18, v10, v2
	s_delay_alu instid0(VALU_DEP_1) | instskip(SKIP_4) | instid1(VALU_DEP_2)
	v_fmac_f32_e32 v18, v11, v3
	ds_load_2addr_b32 v[2:3], v19 offset0:192 offset1:224
	s_waitcnt lgkmcnt(3)
	v_fmac_f32_e32 v18, v12, v4
	v_mov_b32_e32 v4, v17
	v_fmac_f32_e32 v18, v13, v5
	s_delay_alu instid0(VALU_DEP_2) | instskip(SKIP_1) | instid1(VALU_DEP_2)
	v_mad_u64_u32 v[10:11], null, v1, s31, v[4:5]
	s_waitcnt lgkmcnt(1)
	v_fmac_f32_e32 v18, v14, v6
	s_delay_alu instid0(VALU_DEP_1) | instskip(SKIP_1) | instid1(VALU_DEP_1)
	v_dual_mov_b32 v17, v10 :: v_dual_fmac_f32 v18, v15, v7
	s_waitcnt lgkmcnt(0)
	v_fmac_f32_e32 v18, v2, v8
	s_delay_alu instid0(VALU_DEP_2) | instskip(NEXT) | instid1(VALU_DEP_2)
	v_lshlrev_b64 v[1:2], 2, v[16:17]
	v_fmac_f32_e32 v18, v3, v9
	s_delay_alu instid0(VALU_DEP_2) | instskip(NEXT) | instid1(VALU_DEP_3)
	v_add_co_u32 v1, vcc_lo, s0, v1
	v_add_co_ci_u32_e32 v2, vcc_lo, s1, v2, vcc_lo
	s_delay_alu instid0(VALU_DEP_3) | instskip(NEXT) | instid1(VALU_DEP_3)
	v_mul_f32_e32 v3, s15, v18
	v_add_co_u32 v0, vcc_lo, v1, v0
	s_delay_alu instid0(VALU_DEP_3)
	v_add_co_ci_u32_e32 v1, vcc_lo, 0, v2, vcc_lo
	global_store_b32 v[0:1], v3, off
.LBB151_15:
	s_nop 0
	s_sendmsg sendmsg(MSG_DEALLOC_VGPRS)
	s_endpgm
	.section	.rodata,"a",@progbits
	.p2align	6, 0x0
	.amdhsa_kernel _ZL23rocblas_trmm_rNx_kernelILi32EffKPKfKPfEv13rocblas_fill_17rocblas_diagonal_iiT1_lPT2_llS9_llPT3_lli
		.amdhsa_group_segment_fixed_size 8192
		.amdhsa_private_segment_fixed_size 0
		.amdhsa_kernarg_size 108
		.amdhsa_user_sgpr_count 14
		.amdhsa_user_sgpr_dispatch_ptr 0
		.amdhsa_user_sgpr_queue_ptr 0
		.amdhsa_user_sgpr_kernarg_segment_ptr 1
		.amdhsa_user_sgpr_dispatch_id 0
		.amdhsa_user_sgpr_private_segment_size 0
		.amdhsa_wavefront_size32 1
		.amdhsa_uses_dynamic_stack 0
		.amdhsa_enable_private_segment 0
		.amdhsa_system_sgpr_workgroup_id_x 1
		.amdhsa_system_sgpr_workgroup_id_y 0
		.amdhsa_system_sgpr_workgroup_id_z 1
		.amdhsa_system_sgpr_workgroup_info 0
		.amdhsa_system_vgpr_workitem_id 1
		.amdhsa_next_free_vgpr 20
		.amdhsa_next_free_sgpr 32
		.amdhsa_reserve_vcc 1
		.amdhsa_float_round_mode_32 0
		.amdhsa_float_round_mode_16_64 0
		.amdhsa_float_denorm_mode_32 3
		.amdhsa_float_denorm_mode_16_64 3
		.amdhsa_dx10_clamp 1
		.amdhsa_ieee_mode 1
		.amdhsa_fp16_overflow 0
		.amdhsa_workgroup_processor_mode 1
		.amdhsa_memory_ordered 1
		.amdhsa_forward_progress 0
		.amdhsa_shared_vgpr_count 0
		.amdhsa_exception_fp_ieee_invalid_op 0
		.amdhsa_exception_fp_denorm_src 0
		.amdhsa_exception_fp_ieee_div_zero 0
		.amdhsa_exception_fp_ieee_overflow 0
		.amdhsa_exception_fp_ieee_underflow 0
		.amdhsa_exception_fp_ieee_inexact 0
		.amdhsa_exception_int_div_zero 0
	.end_amdhsa_kernel
	.section	.text._ZL23rocblas_trmm_rNx_kernelILi32EffKPKfKPfEv13rocblas_fill_17rocblas_diagonal_iiT1_lPT2_llS9_llPT3_lli,"axG",@progbits,_ZL23rocblas_trmm_rNx_kernelILi32EffKPKfKPfEv13rocblas_fill_17rocblas_diagonal_iiT1_lPT2_llS9_llPT3_lli,comdat
.Lfunc_end151:
	.size	_ZL23rocblas_trmm_rNx_kernelILi32EffKPKfKPfEv13rocblas_fill_17rocblas_diagonal_iiT1_lPT2_llS9_llPT3_lli, .Lfunc_end151-_ZL23rocblas_trmm_rNx_kernelILi32EffKPKfKPfEv13rocblas_fill_17rocblas_diagonal_iiT1_lPT2_llS9_llPT3_lli
                                        ; -- End function
	.section	.AMDGPU.csdata,"",@progbits
; Kernel info:
; codeLenInByte = 1248
; NumSgprs: 34
; NumVgprs: 20
; ScratchSize: 0
; MemoryBound: 0
; FloatMode: 240
; IeeeMode: 1
; LDSByteSize: 8192 bytes/workgroup (compile time only)
; SGPRBlocks: 4
; VGPRBlocks: 2
; NumSGPRsForWavesPerEU: 34
; NumVGPRsForWavesPerEU: 20
; Occupancy: 16
; WaveLimiterHint : 1
; COMPUTE_PGM_RSRC2:SCRATCH_EN: 0
; COMPUTE_PGM_RSRC2:USER_SGPR: 14
; COMPUTE_PGM_RSRC2:TRAP_HANDLER: 0
; COMPUTE_PGM_RSRC2:TGID_X_EN: 1
; COMPUTE_PGM_RSRC2:TGID_Y_EN: 0
; COMPUTE_PGM_RSRC2:TGID_Z_EN: 1
; COMPUTE_PGM_RSRC2:TIDIG_COMP_CNT: 1
	.section	.text._ZL23rocblas_trmm_rTx_kernelILi32ELb0EfPKfKS1_KPfEv13rocblas_fill_17rocblas_diagonal_iiT2_lPT3_llS9_llPT4_lli,"axG",@progbits,_ZL23rocblas_trmm_rTx_kernelILi32ELb0EfPKfKS1_KPfEv13rocblas_fill_17rocblas_diagonal_iiT2_lPT3_llS9_llPT4_lli,comdat
	.globl	_ZL23rocblas_trmm_rTx_kernelILi32ELb0EfPKfKS1_KPfEv13rocblas_fill_17rocblas_diagonal_iiT2_lPT3_llS9_llPT4_lli ; -- Begin function _ZL23rocblas_trmm_rTx_kernelILi32ELb0EfPKfKS1_KPfEv13rocblas_fill_17rocblas_diagonal_iiT2_lPT3_llS9_llPT4_lli
	.p2align	8
	.type	_ZL23rocblas_trmm_rTx_kernelILi32ELb0EfPKfKS1_KPfEv13rocblas_fill_17rocblas_diagonal_iiT2_lPT3_llS9_llPT4_lli,@function
_ZL23rocblas_trmm_rTx_kernelILi32ELb0EfPKfKS1_KPfEv13rocblas_fill_17rocblas_diagonal_iiT2_lPT3_llS9_llPT4_lli: ; @_ZL23rocblas_trmm_rTx_kernelILi32ELb0EfPKfKS1_KPfEv13rocblas_fill_17rocblas_diagonal_iiT2_lPT3_llS9_llPT4_lli
; %bb.0:
	s_load_b512 s[16:31], s[0:1], 0x10
	s_mov_b32 s2, s15
	s_waitcnt lgkmcnt(0)
	s_mul_i32 s3, s15, s19
	s_mul_hi_u32 s4, s15, s18
	s_delay_alu instid0(SALU_CYCLE_1) | instskip(SKIP_1) | instid1(SALU_CYCLE_1)
	s_add_i32 s5, s4, s3
	s_mul_i32 s4, s15, s18
	s_lshl_b64 s[4:5], s[4:5], 2
	s_delay_alu instid0(SALU_CYCLE_1) | instskip(SKIP_4) | instid1(VALU_DEP_1)
	s_add_u32 s4, s16, s4
	s_addc_u32 s5, s17, s5
	s_load_b32 s15, s[4:5], 0x0
	s_waitcnt lgkmcnt(0)
	v_cmp_eq_f32_e64 s3, s15, 0
	s_and_b32 vcc_lo, exec_lo, s3
	s_mov_b32 s3, 0
	s_cbranch_vccnz .LBB152_15
; %bb.1:
	s_clause 0x1
	s_load_b128 s[4:7], s[0:1], 0x50
	s_load_b128 s[8:11], s[0:1], 0x0
	s_lshl_b64 s[16:17], s[2:3], 3
	v_bfe_u32 v1, v0, 10, 10
	s_add_u32 s2, s26, s16
	s_addc_u32 s3, s27, s17
	v_dual_mov_b32 v4, 0 :: v_dual_and_b32 v3, 0x3ff, v0
	s_delay_alu instid0(VALU_DEP_2) | instskip(NEXT) | instid1(VALU_DEP_1)
	v_lshlrev_b32_e32 v0, 5, v1
	v_add_lshl_u32 v2, v0, v3, 2
	v_lshlrev_b32_e32 v0, 2, v3
	s_waitcnt lgkmcnt(0)
	s_add_u32 s4, s4, s16
	s_addc_u32 s5, s5, s17
	s_load_b64 s[12:13], s[2:3], 0x0
	s_load_b64 s[4:5], s[4:5], 0x0
	v_cmp_gt_i32_e32 vcc_lo, s11, v1
	v_cmp_gt_i32_e64 s2, s11, v3
	ds_store_2addr_stride64_b32 v2, v4, v4 offset1:16
	s_and_b32 s2, vcc_lo, s2
	s_delay_alu instid0(SALU_CYCLE_1)
	s_and_saveexec_b32 s3, s2
	s_cbranch_execz .LBB152_3
; %bb.2:
	v_mad_u64_u32 v[4:5], null, v1, s22, 0
	s_add_u32 s16, s20, s16
	s_addc_u32 s17, s21, s17
	s_lshl_b64 s[18:19], s[24:25], 2
	s_load_b64 s[16:17], s[16:17], 0x0
	s_delay_alu instid0(VALU_DEP_1) | instskip(NEXT) | instid1(VALU_DEP_1)
	v_mad_u64_u32 v[6:7], null, v1, s23, v[5:6]
	v_mov_b32_e32 v5, v6
	s_delay_alu instid0(VALU_DEP_1) | instskip(SKIP_3) | instid1(VALU_DEP_1)
	v_lshlrev_b64 v[4:5], 2, v[4:5]
	s_waitcnt lgkmcnt(0)
	s_add_u32 s2, s16, s18
	s_addc_u32 s11, s17, s19
	v_add_co_u32 v4, s2, s2, v4
	s_delay_alu instid0(VALU_DEP_1) | instskip(NEXT) | instid1(VALU_DEP_2)
	v_add_co_ci_u32_e64 v5, s2, s11, v5, s2
	v_add_co_u32 v4, s2, v4, v0
	s_delay_alu instid0(VALU_DEP_1)
	v_add_co_ci_u32_e64 v5, s2, 0, v5, s2
	global_load_b32 v4, v[4:5], off
	s_waitcnt vmcnt(0)
	ds_store_b32 v2, v4
.LBB152_3:
	s_or_b32 exec_lo, exec_lo, s3
	s_add_i32 s2, s10, -1
	s_delay_alu instid0(SALU_CYCLE_1) | instskip(NEXT) | instid1(SALU_CYCLE_1)
	s_ashr_i32 s3, s2, 31
	s_lshr_b32 s3, s3, 27
	s_delay_alu instid0(SALU_CYCLE_1) | instskip(NEXT) | instid1(SALU_CYCLE_1)
	s_add_i32 s2, s2, s3
	s_and_b32 s3, s2, 0xffffffe0
	s_ashr_i32 s2, s2, 5
	s_sub_i32 s3, s10, s3
	s_cmp_ge_i32 s14, s2
	s_cselect_b32 s2, s3, 32
	s_lshl_b32 s10, s14, 5
	v_cmp_gt_i32_e64 s2, s2, v3
	s_ashr_i32 s11, s10, 31
	s_delay_alu instid0(VALU_DEP_1) | instskip(NEXT) | instid1(SALU_CYCLE_1)
	s_and_b32 s2, vcc_lo, s2
	s_and_saveexec_b32 s3, s2
	s_cbranch_execz .LBB152_5
; %bb.4:
	v_mad_u64_u32 v[4:5], null, v1, s28, 0
	s_lshl_b64 s[16:17], s[30:31], 2
	s_waitcnt lgkmcnt(0)
	s_add_u32 s14, s12, s16
	s_addc_u32 s16, s13, s17
	s_lshl_b64 s[12:13], s[10:11], 2
	s_delay_alu instid0(SALU_CYCLE_1) | instskip(NEXT) | instid1(VALU_DEP_1)
	s_add_u32 s12, s14, s12
	v_mad_u64_u32 v[6:7], null, v1, s29, v[5:6]
	s_addc_u32 s13, s16, s13
	s_delay_alu instid0(VALU_DEP_1) | instskip(NEXT) | instid1(VALU_DEP_1)
	v_mov_b32_e32 v5, v6
	v_lshlrev_b64 v[4:5], 2, v[4:5]
	s_delay_alu instid0(VALU_DEP_1) | instskip(NEXT) | instid1(VALU_DEP_2)
	v_add_co_u32 v4, vcc_lo, s12, v4
	v_add_co_ci_u32_e32 v5, vcc_lo, s13, v5, vcc_lo
	s_delay_alu instid0(VALU_DEP_2) | instskip(NEXT) | instid1(VALU_DEP_2)
	v_add_co_u32 v4, vcc_lo, v4, v0
	v_add_co_ci_u32_e32 v5, vcc_lo, 0, v5, vcc_lo
	global_load_b32 v4, v[4:5], off
	v_add_nc_u32_e32 v5, 0x1000, v2
	s_waitcnt vmcnt(0)
	ds_store_b32 v5, v4
.LBB152_5:
	s_or_b32 exec_lo, exec_lo, s3
	v_cmp_eq_u32_e32 vcc_lo, v1, v3
	s_cmpk_eq_i32 s9, 0x84
	s_cselect_b32 s3, -1, 0
	s_delay_alu instid0(SALU_CYCLE_1) | instskip(NEXT) | instid1(SALU_CYCLE_1)
	s_and_b32 s9, vcc_lo, s3
	s_and_saveexec_b32 s3, s9
	s_cbranch_execz .LBB152_7
; %bb.6:
	v_mov_b32_e32 v4, 1.0
	ds_store_b32 v2, v4
.LBB152_7:
	s_or_b32 exec_lo, exec_lo, s3
	s_cmpk_lg_i32 s8, 0x79
	s_cbranch_scc0 .LBB152_9
; %bb.8:
	v_cmp_lt_u32_e32 vcc_lo, v3, v1
	s_and_b32 s3, vcc_lo, exec_lo
	s_cbranch_execz .LBB152_10
	s_branch .LBB152_11
.LBB152_9:
	s_mov_b32 s3, 0
.LBB152_10:
	v_cmp_gt_u32_e32 vcc_lo, v3, v1
	s_and_not1_b32 s3, s3, exec_lo
	s_and_b32 s8, vcc_lo, exec_lo
	s_delay_alu instid0(SALU_CYCLE_1)
	s_or_b32 s3, s3, s8
.LBB152_11:
	s_delay_alu instid0(SALU_CYCLE_1)
	s_and_saveexec_b32 s8, s3
	s_cbranch_execz .LBB152_13
; %bb.12:
	v_mov_b32_e32 v3, 0
	ds_store_b32 v2, v3
.LBB152_13:
	s_or_b32 exec_lo, exec_lo, s8
	s_waitcnt lgkmcnt(0)
	s_barrier
	buffer_gl0_inv
	s_and_saveexec_b32 s3, s2
	s_cbranch_execz .LBB152_15
; %bb.14:
	v_add_nc_u32_e32 v14, 0x1000, v0
	v_lshlrev_b32_e32 v15, 2, v1
	s_load_b64 s[0:1], s[0:1], 0x60
	ds_load_2addr_b32 v[2:3], v14 offset1:32
	ds_load_2addr_b32 v[4:5], v15 offset1:32
	ds_load_2addr_b32 v[6:7], v14 offset0:64 offset1:96
	ds_load_2addr_b32 v[8:9], v15 offset0:64 offset1:96
	;; [unrolled: 1-line block ×4, first 2 shown]
	s_waitcnt lgkmcnt(0)
	v_fma_f32 v16, v2, v4, 0
	s_lshl_b64 s[0:1], s[0:1], 2
	s_delay_alu instid0(SALU_CYCLE_1) | instskip(SKIP_1) | instid1(VALU_DEP_1)
	s_add_u32 s2, s4, s0
	s_addc_u32 s3, s5, s1
	v_fmac_f32_e32 v16, v3, v5
	s_lshl_b64 s[0:1], s[10:11], 2
	s_delay_alu instid0(SALU_CYCLE_1) | instskip(SKIP_1) | instid1(VALU_DEP_1)
	s_add_u32 s0, s2, s0
	s_addc_u32 s1, s3, s1
	v_dual_fmac_f32 v16, v6, v8 :: v_dual_add_nc_u32 v17, 0x400, v15
	ds_load_2addr_b32 v[2:3], v14 offset0:192 offset1:224
	ds_load_2addr_b32 v[4:5], v15 offset0:192 offset1:224
	v_add_nc_u32_e32 v14, 0x1400, v0
	v_add_nc_u32_e32 v18, 0xc00, v15
	v_fmac_f32_e32 v16, v7, v9
	ds_load_2addr_b32 v[6:7], v14 offset1:32
	ds_load_2addr_b32 v[8:9], v17 offset1:32
	v_fmac_f32_e32 v16, v10, v12
	s_delay_alu instid0(VALU_DEP_1) | instskip(SKIP_4) | instid1(VALU_DEP_1)
	v_fmac_f32_e32 v16, v11, v13
	ds_load_2addr_b32 v[10:11], v14 offset0:64 offset1:96
	ds_load_2addr_b32 v[12:13], v17 offset0:64 offset1:96
	s_waitcnt lgkmcnt(4)
	v_fmac_f32_e32 v16, v2, v4
	v_fmac_f32_e32 v16, v3, v5
	ds_load_2addr_b32 v[2:3], v14 offset0:128 offset1:160
	ds_load_2addr_b32 v[4:5], v17 offset0:128 offset1:160
	s_waitcnt lgkmcnt(4)
	v_fmac_f32_e32 v16, v6, v8
	s_delay_alu instid0(VALU_DEP_1)
	v_fmac_f32_e32 v16, v7, v9
	ds_load_2addr_b32 v[6:7], v14 offset0:192 offset1:224
	ds_load_2addr_b32 v[8:9], v17 offset0:192 offset1:224
	v_add_nc_u32_e32 v14, 0x1800, v0
	s_waitcnt lgkmcnt(4)
	v_dual_fmac_f32 v16, v10, v12 :: v_dual_add_nc_u32 v17, 0x800, v15
	s_delay_alu instid0(VALU_DEP_1) | instskip(SKIP_4) | instid1(VALU_DEP_1)
	v_fmac_f32_e32 v16, v11, v13
	ds_load_2addr_b32 v[10:11], v14 offset1:32
	ds_load_2addr_b32 v[12:13], v17 offset1:32
	s_waitcnt lgkmcnt(4)
	v_fmac_f32_e32 v16, v2, v4
	v_fmac_f32_e32 v16, v3, v5
	ds_load_2addr_b32 v[2:3], v14 offset0:64 offset1:96
	ds_load_2addr_b32 v[4:5], v17 offset0:64 offset1:96
	s_waitcnt lgkmcnt(4)
	v_fmac_f32_e32 v16, v6, v8
	s_delay_alu instid0(VALU_DEP_1) | instskip(SKIP_4) | instid1(VALU_DEP_1)
	v_fmac_f32_e32 v16, v7, v9
	ds_load_2addr_b32 v[6:7], v14 offset0:128 offset1:160
	ds_load_2addr_b32 v[8:9], v17 offset0:128 offset1:160
	s_waitcnt lgkmcnt(4)
	v_fmac_f32_e32 v16, v10, v12
	v_fmac_f32_e32 v16, v11, v13
	ds_load_2addr_b32 v[10:11], v14 offset0:192 offset1:224
	ds_load_2addr_b32 v[12:13], v17 offset0:192 offset1:224
	v_add_nc_u32_e32 v17, 0x1c00, v0
	v_mad_u64_u32 v[14:15], null, v1, s6, 0
	s_waitcnt lgkmcnt(4)
	v_fmac_f32_e32 v16, v2, v4
	s_delay_alu instid0(VALU_DEP_1) | instskip(SKIP_4) | instid1(VALU_DEP_1)
	v_fmac_f32_e32 v16, v3, v5
	ds_load_2addr_b32 v[2:3], v17 offset1:32
	ds_load_2addr_b32 v[4:5], v18 offset1:32
	s_waitcnt lgkmcnt(4)
	v_fmac_f32_e32 v16, v6, v8
	v_fmac_f32_e32 v16, v7, v9
	ds_load_2addr_b32 v[6:7], v17 offset0:64 offset1:96
	ds_load_2addr_b32 v[8:9], v18 offset0:64 offset1:96
	s_waitcnt lgkmcnt(4)
	v_fmac_f32_e32 v16, v10, v12
	s_delay_alu instid0(VALU_DEP_1) | instskip(SKIP_4) | instid1(VALU_DEP_1)
	v_fmac_f32_e32 v16, v11, v13
	ds_load_2addr_b32 v[10:11], v17 offset0:128 offset1:160
	ds_load_2addr_b32 v[12:13], v18 offset0:128 offset1:160
	s_waitcnt lgkmcnt(4)
	v_fmac_f32_e32 v16, v2, v4
	v_fmac_f32_e32 v16, v3, v5
	ds_load_2addr_b32 v[2:3], v17 offset0:192 offset1:224
	ds_load_2addr_b32 v[4:5], v18 offset0:192 offset1:224
	s_waitcnt lgkmcnt(4)
	v_fmac_f32_e32 v16, v6, v8
	v_mov_b32_e32 v6, v15
	s_delay_alu instid0(VALU_DEP_2) | instskip(NEXT) | instid1(VALU_DEP_2)
	v_fmac_f32_e32 v16, v7, v9
	v_mad_u64_u32 v[7:8], null, v1, s7, v[6:7]
	s_waitcnt lgkmcnt(2)
	s_delay_alu instid0(VALU_DEP_1) | instskip(NEXT) | instid1(VALU_DEP_1)
	v_dual_fmac_f32 v16, v10, v12 :: v_dual_mov_b32 v15, v7
	v_fmac_f32_e32 v16, v11, v13
	s_waitcnt lgkmcnt(0)
	s_delay_alu instid0(VALU_DEP_1) | instskip(NEXT) | instid1(VALU_DEP_3)
	v_fmac_f32_e32 v16, v2, v4
	v_lshlrev_b64 v[1:2], 2, v[14:15]
	s_delay_alu instid0(VALU_DEP_2) | instskip(NEXT) | instid1(VALU_DEP_2)
	v_fmac_f32_e32 v16, v3, v5
	v_add_co_u32 v1, vcc_lo, s0, v1
	s_delay_alu instid0(VALU_DEP_3) | instskip(NEXT) | instid1(VALU_DEP_3)
	v_add_co_ci_u32_e32 v2, vcc_lo, s1, v2, vcc_lo
	v_mul_f32_e32 v3, s15, v16
	s_delay_alu instid0(VALU_DEP_3) | instskip(NEXT) | instid1(VALU_DEP_3)
	v_add_co_u32 v0, vcc_lo, v1, v0
	v_add_co_ci_u32_e32 v1, vcc_lo, 0, v2, vcc_lo
	global_store_b32 v[0:1], v3, off
.LBB152_15:
	s_nop 0
	s_sendmsg sendmsg(MSG_DEALLOC_VGPRS)
	s_endpgm
	.section	.rodata,"a",@progbits
	.p2align	6, 0x0
	.amdhsa_kernel _ZL23rocblas_trmm_rTx_kernelILi32ELb0EfPKfKS1_KPfEv13rocblas_fill_17rocblas_diagonal_iiT2_lPT3_llS9_llPT4_lli
		.amdhsa_group_segment_fixed_size 8192
		.amdhsa_private_segment_fixed_size 0
		.amdhsa_kernarg_size 108
		.amdhsa_user_sgpr_count 14
		.amdhsa_user_sgpr_dispatch_ptr 0
		.amdhsa_user_sgpr_queue_ptr 0
		.amdhsa_user_sgpr_kernarg_segment_ptr 1
		.amdhsa_user_sgpr_dispatch_id 0
		.amdhsa_user_sgpr_private_segment_size 0
		.amdhsa_wavefront_size32 1
		.amdhsa_uses_dynamic_stack 0
		.amdhsa_enable_private_segment 0
		.amdhsa_system_sgpr_workgroup_id_x 1
		.amdhsa_system_sgpr_workgroup_id_y 0
		.amdhsa_system_sgpr_workgroup_id_z 1
		.amdhsa_system_sgpr_workgroup_info 0
		.amdhsa_system_vgpr_workitem_id 1
		.amdhsa_next_free_vgpr 19
		.amdhsa_next_free_sgpr 32
		.amdhsa_reserve_vcc 1
		.amdhsa_float_round_mode_32 0
		.amdhsa_float_round_mode_16_64 0
		.amdhsa_float_denorm_mode_32 3
		.amdhsa_float_denorm_mode_16_64 3
		.amdhsa_dx10_clamp 1
		.amdhsa_ieee_mode 1
		.amdhsa_fp16_overflow 0
		.amdhsa_workgroup_processor_mode 1
		.amdhsa_memory_ordered 1
		.amdhsa_forward_progress 0
		.amdhsa_shared_vgpr_count 0
		.amdhsa_exception_fp_ieee_invalid_op 0
		.amdhsa_exception_fp_denorm_src 0
		.amdhsa_exception_fp_ieee_div_zero 0
		.amdhsa_exception_fp_ieee_overflow 0
		.amdhsa_exception_fp_ieee_underflow 0
		.amdhsa_exception_fp_ieee_inexact 0
		.amdhsa_exception_int_div_zero 0
	.end_amdhsa_kernel
	.section	.text._ZL23rocblas_trmm_rTx_kernelILi32ELb0EfPKfKS1_KPfEv13rocblas_fill_17rocblas_diagonal_iiT2_lPT3_llS9_llPT4_lli,"axG",@progbits,_ZL23rocblas_trmm_rTx_kernelILi32ELb0EfPKfKS1_KPfEv13rocblas_fill_17rocblas_diagonal_iiT2_lPT3_llS9_llPT4_lli,comdat
.Lfunc_end152:
	.size	_ZL23rocblas_trmm_rTx_kernelILi32ELb0EfPKfKS1_KPfEv13rocblas_fill_17rocblas_diagonal_iiT2_lPT3_llS9_llPT4_lli, .Lfunc_end152-_ZL23rocblas_trmm_rTx_kernelILi32ELb0EfPKfKS1_KPfEv13rocblas_fill_17rocblas_diagonal_iiT2_lPT3_llS9_llPT4_lli
                                        ; -- End function
	.section	.AMDGPU.csdata,"",@progbits
; Kernel info:
; codeLenInByte = 1376
; NumSgprs: 34
; NumVgprs: 19
; ScratchSize: 0
; MemoryBound: 0
; FloatMode: 240
; IeeeMode: 1
; LDSByteSize: 8192 bytes/workgroup (compile time only)
; SGPRBlocks: 4
; VGPRBlocks: 2
; NumSGPRsForWavesPerEU: 34
; NumVGPRsForWavesPerEU: 19
; Occupancy: 16
; WaveLimiterHint : 1
; COMPUTE_PGM_RSRC2:SCRATCH_EN: 0
; COMPUTE_PGM_RSRC2:USER_SGPR: 14
; COMPUTE_PGM_RSRC2:TRAP_HANDLER: 0
; COMPUTE_PGM_RSRC2:TGID_X_EN: 1
; COMPUTE_PGM_RSRC2:TGID_Y_EN: 0
; COMPUTE_PGM_RSRC2:TGID_Z_EN: 1
; COMPUTE_PGM_RSRC2:TIDIG_COMP_CNT: 1
	.section	.text._ZL23rocblas_trmm_rTx_kernelILi32ELb0EffKPKfKPfEv13rocblas_fill_17rocblas_diagonal_iiT2_lPT3_llS9_llPT4_lli,"axG",@progbits,_ZL23rocblas_trmm_rTx_kernelILi32ELb0EffKPKfKPfEv13rocblas_fill_17rocblas_diagonal_iiT2_lPT3_llS9_llPT4_lli,comdat
	.globl	_ZL23rocblas_trmm_rTx_kernelILi32ELb0EffKPKfKPfEv13rocblas_fill_17rocblas_diagonal_iiT2_lPT3_llS9_llPT4_lli ; -- Begin function _ZL23rocblas_trmm_rTx_kernelILi32ELb0EffKPKfKPfEv13rocblas_fill_17rocblas_diagonal_iiT2_lPT3_llS9_llPT4_lli
	.p2align	8
	.type	_ZL23rocblas_trmm_rTx_kernelILi32ELb0EffKPKfKPfEv13rocblas_fill_17rocblas_diagonal_iiT2_lPT3_llS9_llPT4_lli,@function
_ZL23rocblas_trmm_rTx_kernelILi32ELb0EffKPKfKPfEv13rocblas_fill_17rocblas_diagonal_iiT2_lPT3_llS9_llPT4_lli: ; @_ZL23rocblas_trmm_rTx_kernelILi32ELb0EffKPKfKPfEv13rocblas_fill_17rocblas_diagonal_iiT2_lPT3_llS9_llPT4_lli
; %bb.0:
	s_mov_b32 s2, s15
	s_load_b32 s15, s[0:1], 0x10
	s_waitcnt lgkmcnt(0)
	v_cmp_eq_f32_e64 s3, s15, 0
	s_delay_alu instid0(VALU_DEP_1)
	s_and_b32 vcc_lo, exec_lo, s3
	s_mov_b32 s3, 0
	s_cbranch_vccnz .LBB153_15
; %bb.1:
	s_clause 0x1
	s_load_b512 s[16:31], s[0:1], 0x20
	s_load_b128 s[4:7], s[0:1], 0x0
	s_lshl_b64 s[12:13], s[2:3], 3
	v_bfe_u32 v1, v0, 10, 10
	v_dual_mov_b32 v4, 0 :: v_dual_and_b32 v3, 0x3ff, v0
	s_delay_alu instid0(VALU_DEP_2) | instskip(NEXT) | instid1(VALU_DEP_1)
	v_lshlrev_b32_e32 v0, 5, v1
	v_add_lshl_u32 v2, v0, v3, 2
	v_lshlrev_b32_e32 v0, 2, v3
	s_waitcnt lgkmcnt(0)
	s_add_u32 s2, s22, s12
	s_addc_u32 s3, s23, s13
	s_add_u32 s8, s28, s12
	s_addc_u32 s9, s29, s13
	s_load_b64 s[10:11], s[2:3], 0x0
	s_load_b64 s[8:9], s[8:9], 0x0
	v_cmp_gt_i32_e32 vcc_lo, s7, v1
	v_cmp_gt_i32_e64 s2, s7, v3
	ds_store_2addr_stride64_b32 v2, v4, v4 offset1:16
	s_and_b32 s2, vcc_lo, s2
	s_delay_alu instid0(SALU_CYCLE_1)
	s_and_saveexec_b32 s3, s2
	s_cbranch_execz .LBB153_3
; %bb.2:
	v_mad_u64_u32 v[4:5], null, v1, s18, 0
	s_add_u32 s12, s16, s12
	s_addc_u32 s13, s17, s13
	s_lshl_b64 s[16:17], s[20:21], 2
	s_load_b64 s[12:13], s[12:13], 0x0
	s_delay_alu instid0(VALU_DEP_1) | instskip(NEXT) | instid1(VALU_DEP_1)
	v_mad_u64_u32 v[6:7], null, v1, s19, v[5:6]
	v_mov_b32_e32 v5, v6
	s_delay_alu instid0(VALU_DEP_1) | instskip(SKIP_3) | instid1(VALU_DEP_1)
	v_lshlrev_b64 v[4:5], 2, v[4:5]
	s_waitcnt lgkmcnt(0)
	s_add_u32 s2, s12, s16
	s_addc_u32 s7, s13, s17
	v_add_co_u32 v4, s2, s2, v4
	s_delay_alu instid0(VALU_DEP_1) | instskip(NEXT) | instid1(VALU_DEP_2)
	v_add_co_ci_u32_e64 v5, s2, s7, v5, s2
	v_add_co_u32 v4, s2, v4, v0
	s_delay_alu instid0(VALU_DEP_1)
	v_add_co_ci_u32_e64 v5, s2, 0, v5, s2
	global_load_b32 v4, v[4:5], off
	s_waitcnt vmcnt(0)
	ds_store_b32 v2, v4
.LBB153_3:
	s_or_b32 exec_lo, exec_lo, s3
	s_add_i32 s2, s6, -1
	s_delay_alu instid0(SALU_CYCLE_1) | instskip(NEXT) | instid1(SALU_CYCLE_1)
	s_ashr_i32 s3, s2, 31
	s_lshr_b32 s3, s3, 27
	s_delay_alu instid0(SALU_CYCLE_1) | instskip(NEXT) | instid1(SALU_CYCLE_1)
	s_add_i32 s2, s2, s3
	s_and_b32 s3, s2, 0xffffffe0
	s_ashr_i32 s2, s2, 5
	s_sub_i32 s3, s6, s3
	s_cmp_ge_i32 s14, s2
	s_cselect_b32 s2, s3, 32
	s_lshl_b32 s6, s14, 5
	v_cmp_gt_i32_e64 s2, s2, v3
	s_ashr_i32 s7, s6, 31
	s_delay_alu instid0(VALU_DEP_1) | instskip(NEXT) | instid1(SALU_CYCLE_1)
	s_and_b32 s2, vcc_lo, s2
	s_and_saveexec_b32 s3, s2
	s_cbranch_execz .LBB153_5
; %bb.4:
	v_mad_u64_u32 v[4:5], null, v1, s24, 0
	s_lshl_b64 s[12:13], s[26:27], 2
	s_waitcnt lgkmcnt(0)
	s_add_u32 s12, s10, s12
	s_addc_u32 s13, s11, s13
	s_lshl_b64 s[10:11], s[6:7], 2
	s_delay_alu instid0(SALU_CYCLE_1) | instskip(NEXT) | instid1(VALU_DEP_1)
	s_add_u32 s10, s12, s10
	v_mad_u64_u32 v[6:7], null, v1, s25, v[5:6]
	s_addc_u32 s11, s13, s11
	s_delay_alu instid0(VALU_DEP_1) | instskip(NEXT) | instid1(VALU_DEP_1)
	v_mov_b32_e32 v5, v6
	v_lshlrev_b64 v[4:5], 2, v[4:5]
	s_delay_alu instid0(VALU_DEP_1) | instskip(NEXT) | instid1(VALU_DEP_2)
	v_add_co_u32 v4, vcc_lo, s10, v4
	v_add_co_ci_u32_e32 v5, vcc_lo, s11, v5, vcc_lo
	s_delay_alu instid0(VALU_DEP_2) | instskip(NEXT) | instid1(VALU_DEP_2)
	v_add_co_u32 v4, vcc_lo, v4, v0
	v_add_co_ci_u32_e32 v5, vcc_lo, 0, v5, vcc_lo
	global_load_b32 v4, v[4:5], off
	v_add_nc_u32_e32 v5, 0x1000, v2
	s_waitcnt vmcnt(0)
	ds_store_b32 v5, v4
.LBB153_5:
	s_or_b32 exec_lo, exec_lo, s3
	v_cmp_eq_u32_e32 vcc_lo, v1, v3
	s_cmpk_eq_i32 s5, 0x84
	s_cselect_b32 s3, -1, 0
	s_delay_alu instid0(SALU_CYCLE_1) | instskip(NEXT) | instid1(SALU_CYCLE_1)
	s_and_b32 s5, vcc_lo, s3
	s_and_saveexec_b32 s3, s5
	s_cbranch_execz .LBB153_7
; %bb.6:
	v_mov_b32_e32 v4, 1.0
	ds_store_b32 v2, v4
.LBB153_7:
	s_or_b32 exec_lo, exec_lo, s3
	s_cmpk_lg_i32 s4, 0x79
	s_cbranch_scc0 .LBB153_9
; %bb.8:
	v_cmp_lt_u32_e32 vcc_lo, v3, v1
	s_and_b32 s3, vcc_lo, exec_lo
	s_cbranch_execz .LBB153_10
	s_branch .LBB153_11
.LBB153_9:
	s_mov_b32 s3, 0
.LBB153_10:
	v_cmp_gt_u32_e32 vcc_lo, v3, v1
	s_and_not1_b32 s3, s3, exec_lo
	s_and_b32 s4, vcc_lo, exec_lo
	s_delay_alu instid0(SALU_CYCLE_1)
	s_or_b32 s3, s3, s4
.LBB153_11:
	s_delay_alu instid0(SALU_CYCLE_1)
	s_and_saveexec_b32 s4, s3
	s_cbranch_execz .LBB153_13
; %bb.12:
	v_mov_b32_e32 v3, 0
	ds_store_b32 v2, v3
.LBB153_13:
	s_or_b32 exec_lo, exec_lo, s4
	s_waitcnt lgkmcnt(0)
	s_barrier
	buffer_gl0_inv
	s_and_saveexec_b32 s3, s2
	s_cbranch_execz .LBB153_15
; %bb.14:
	v_add_nc_u32_e32 v14, 0x1000, v0
	v_lshlrev_b32_e32 v15, 2, v1
	s_load_b64 s[0:1], s[0:1], 0x60
	ds_load_2addr_b32 v[2:3], v14 offset1:32
	ds_load_2addr_b32 v[4:5], v15 offset1:32
	ds_load_2addr_b32 v[6:7], v14 offset0:64 offset1:96
	ds_load_2addr_b32 v[8:9], v15 offset0:64 offset1:96
	;; [unrolled: 1-line block ×4, first 2 shown]
	s_waitcnt lgkmcnt(0)
	v_fma_f32 v16, v2, v4, 0
	s_lshl_b64 s[0:1], s[0:1], 2
	s_delay_alu instid0(SALU_CYCLE_1) | instskip(SKIP_1) | instid1(VALU_DEP_1)
	s_add_u32 s2, s8, s0
	s_addc_u32 s3, s9, s1
	v_fmac_f32_e32 v16, v3, v5
	s_lshl_b64 s[0:1], s[6:7], 2
	s_delay_alu instid0(SALU_CYCLE_1) | instskip(SKIP_1) | instid1(VALU_DEP_1)
	s_add_u32 s0, s2, s0
	s_addc_u32 s1, s3, s1
	v_dual_fmac_f32 v16, v6, v8 :: v_dual_add_nc_u32 v17, 0x400, v15
	ds_load_2addr_b32 v[2:3], v14 offset0:192 offset1:224
	ds_load_2addr_b32 v[4:5], v15 offset0:192 offset1:224
	v_add_nc_u32_e32 v14, 0x1400, v0
	v_add_nc_u32_e32 v18, 0xc00, v15
	v_fmac_f32_e32 v16, v7, v9
	ds_load_2addr_b32 v[6:7], v14 offset1:32
	ds_load_2addr_b32 v[8:9], v17 offset1:32
	v_fmac_f32_e32 v16, v10, v12
	s_delay_alu instid0(VALU_DEP_1) | instskip(SKIP_4) | instid1(VALU_DEP_1)
	v_fmac_f32_e32 v16, v11, v13
	ds_load_2addr_b32 v[10:11], v14 offset0:64 offset1:96
	ds_load_2addr_b32 v[12:13], v17 offset0:64 offset1:96
	s_waitcnt lgkmcnt(4)
	v_fmac_f32_e32 v16, v2, v4
	v_fmac_f32_e32 v16, v3, v5
	ds_load_2addr_b32 v[2:3], v14 offset0:128 offset1:160
	ds_load_2addr_b32 v[4:5], v17 offset0:128 offset1:160
	s_waitcnt lgkmcnt(4)
	v_fmac_f32_e32 v16, v6, v8
	s_delay_alu instid0(VALU_DEP_1)
	v_fmac_f32_e32 v16, v7, v9
	ds_load_2addr_b32 v[6:7], v14 offset0:192 offset1:224
	ds_load_2addr_b32 v[8:9], v17 offset0:192 offset1:224
	v_add_nc_u32_e32 v14, 0x1800, v0
	s_waitcnt lgkmcnt(4)
	v_dual_fmac_f32 v16, v10, v12 :: v_dual_add_nc_u32 v17, 0x800, v15
	s_delay_alu instid0(VALU_DEP_1) | instskip(SKIP_4) | instid1(VALU_DEP_1)
	v_fmac_f32_e32 v16, v11, v13
	ds_load_2addr_b32 v[10:11], v14 offset1:32
	ds_load_2addr_b32 v[12:13], v17 offset1:32
	s_waitcnt lgkmcnt(4)
	v_fmac_f32_e32 v16, v2, v4
	v_fmac_f32_e32 v16, v3, v5
	ds_load_2addr_b32 v[2:3], v14 offset0:64 offset1:96
	ds_load_2addr_b32 v[4:5], v17 offset0:64 offset1:96
	s_waitcnt lgkmcnt(4)
	v_fmac_f32_e32 v16, v6, v8
	s_delay_alu instid0(VALU_DEP_1) | instskip(SKIP_4) | instid1(VALU_DEP_1)
	v_fmac_f32_e32 v16, v7, v9
	ds_load_2addr_b32 v[6:7], v14 offset0:128 offset1:160
	ds_load_2addr_b32 v[8:9], v17 offset0:128 offset1:160
	s_waitcnt lgkmcnt(4)
	v_fmac_f32_e32 v16, v10, v12
	v_fmac_f32_e32 v16, v11, v13
	ds_load_2addr_b32 v[10:11], v14 offset0:192 offset1:224
	ds_load_2addr_b32 v[12:13], v17 offset0:192 offset1:224
	v_add_nc_u32_e32 v17, 0x1c00, v0
	v_mad_u64_u32 v[14:15], null, v1, s30, 0
	s_waitcnt lgkmcnt(4)
	v_fmac_f32_e32 v16, v2, v4
	s_delay_alu instid0(VALU_DEP_1) | instskip(SKIP_4) | instid1(VALU_DEP_1)
	v_fmac_f32_e32 v16, v3, v5
	ds_load_2addr_b32 v[2:3], v17 offset1:32
	ds_load_2addr_b32 v[4:5], v18 offset1:32
	s_waitcnt lgkmcnt(4)
	v_fmac_f32_e32 v16, v6, v8
	v_fmac_f32_e32 v16, v7, v9
	ds_load_2addr_b32 v[6:7], v17 offset0:64 offset1:96
	ds_load_2addr_b32 v[8:9], v18 offset0:64 offset1:96
	s_waitcnt lgkmcnt(4)
	v_fmac_f32_e32 v16, v10, v12
	s_delay_alu instid0(VALU_DEP_1) | instskip(SKIP_4) | instid1(VALU_DEP_1)
	v_fmac_f32_e32 v16, v11, v13
	ds_load_2addr_b32 v[10:11], v17 offset0:128 offset1:160
	ds_load_2addr_b32 v[12:13], v18 offset0:128 offset1:160
	s_waitcnt lgkmcnt(4)
	v_fmac_f32_e32 v16, v2, v4
	v_fmac_f32_e32 v16, v3, v5
	ds_load_2addr_b32 v[2:3], v17 offset0:192 offset1:224
	ds_load_2addr_b32 v[4:5], v18 offset0:192 offset1:224
	s_waitcnt lgkmcnt(4)
	v_fmac_f32_e32 v16, v6, v8
	v_mov_b32_e32 v6, v15
	s_delay_alu instid0(VALU_DEP_2) | instskip(NEXT) | instid1(VALU_DEP_2)
	v_fmac_f32_e32 v16, v7, v9
	v_mad_u64_u32 v[7:8], null, v1, s31, v[6:7]
	s_waitcnt lgkmcnt(2)
	s_delay_alu instid0(VALU_DEP_1) | instskip(NEXT) | instid1(VALU_DEP_1)
	v_dual_fmac_f32 v16, v10, v12 :: v_dual_mov_b32 v15, v7
	v_fmac_f32_e32 v16, v11, v13
	s_waitcnt lgkmcnt(0)
	s_delay_alu instid0(VALU_DEP_1) | instskip(NEXT) | instid1(VALU_DEP_3)
	v_fmac_f32_e32 v16, v2, v4
	v_lshlrev_b64 v[1:2], 2, v[14:15]
	s_delay_alu instid0(VALU_DEP_2) | instskip(NEXT) | instid1(VALU_DEP_2)
	v_fmac_f32_e32 v16, v3, v5
	v_add_co_u32 v1, vcc_lo, s0, v1
	s_delay_alu instid0(VALU_DEP_3) | instskip(NEXT) | instid1(VALU_DEP_3)
	v_add_co_ci_u32_e32 v2, vcc_lo, s1, v2, vcc_lo
	v_mul_f32_e32 v3, s15, v16
	s_delay_alu instid0(VALU_DEP_3) | instskip(NEXT) | instid1(VALU_DEP_3)
	v_add_co_u32 v0, vcc_lo, v1, v0
	v_add_co_ci_u32_e32 v1, vcc_lo, 0, v2, vcc_lo
	global_store_b32 v[0:1], v3, off
.LBB153_15:
	s_nop 0
	s_sendmsg sendmsg(MSG_DEALLOC_VGPRS)
	s_endpgm
	.section	.rodata,"a",@progbits
	.p2align	6, 0x0
	.amdhsa_kernel _ZL23rocblas_trmm_rTx_kernelILi32ELb0EffKPKfKPfEv13rocblas_fill_17rocblas_diagonal_iiT2_lPT3_llS9_llPT4_lli
		.amdhsa_group_segment_fixed_size 8192
		.amdhsa_private_segment_fixed_size 0
		.amdhsa_kernarg_size 108
		.amdhsa_user_sgpr_count 14
		.amdhsa_user_sgpr_dispatch_ptr 0
		.amdhsa_user_sgpr_queue_ptr 0
		.amdhsa_user_sgpr_kernarg_segment_ptr 1
		.amdhsa_user_sgpr_dispatch_id 0
		.amdhsa_user_sgpr_private_segment_size 0
		.amdhsa_wavefront_size32 1
		.amdhsa_uses_dynamic_stack 0
		.amdhsa_enable_private_segment 0
		.amdhsa_system_sgpr_workgroup_id_x 1
		.amdhsa_system_sgpr_workgroup_id_y 0
		.amdhsa_system_sgpr_workgroup_id_z 1
		.amdhsa_system_sgpr_workgroup_info 0
		.amdhsa_system_vgpr_workitem_id 1
		.amdhsa_next_free_vgpr 19
		.amdhsa_next_free_sgpr 32
		.amdhsa_reserve_vcc 1
		.amdhsa_float_round_mode_32 0
		.amdhsa_float_round_mode_16_64 0
		.amdhsa_float_denorm_mode_32 3
		.amdhsa_float_denorm_mode_16_64 3
		.amdhsa_dx10_clamp 1
		.amdhsa_ieee_mode 1
		.amdhsa_fp16_overflow 0
		.amdhsa_workgroup_processor_mode 1
		.amdhsa_memory_ordered 1
		.amdhsa_forward_progress 0
		.amdhsa_shared_vgpr_count 0
		.amdhsa_exception_fp_ieee_invalid_op 0
		.amdhsa_exception_fp_denorm_src 0
		.amdhsa_exception_fp_ieee_div_zero 0
		.amdhsa_exception_fp_ieee_overflow 0
		.amdhsa_exception_fp_ieee_underflow 0
		.amdhsa_exception_fp_ieee_inexact 0
		.amdhsa_exception_int_div_zero 0
	.end_amdhsa_kernel
	.section	.text._ZL23rocblas_trmm_rTx_kernelILi32ELb0EffKPKfKPfEv13rocblas_fill_17rocblas_diagonal_iiT2_lPT3_llS9_llPT4_lli,"axG",@progbits,_ZL23rocblas_trmm_rTx_kernelILi32ELb0EffKPKfKPfEv13rocblas_fill_17rocblas_diagonal_iiT2_lPT3_llS9_llPT4_lli,comdat
.Lfunc_end153:
	.size	_ZL23rocblas_trmm_rTx_kernelILi32ELb0EffKPKfKPfEv13rocblas_fill_17rocblas_diagonal_iiT2_lPT3_llS9_llPT4_lli, .Lfunc_end153-_ZL23rocblas_trmm_rTx_kernelILi32ELb0EffKPKfKPfEv13rocblas_fill_17rocblas_diagonal_iiT2_lPT3_llS9_llPT4_lli
                                        ; -- End function
	.section	.AMDGPU.csdata,"",@progbits
; Kernel info:
; codeLenInByte = 1332
; NumSgprs: 34
; NumVgprs: 19
; ScratchSize: 0
; MemoryBound: 0
; FloatMode: 240
; IeeeMode: 1
; LDSByteSize: 8192 bytes/workgroup (compile time only)
; SGPRBlocks: 4
; VGPRBlocks: 2
; NumSGPRsForWavesPerEU: 34
; NumVGPRsForWavesPerEU: 19
; Occupancy: 16
; WaveLimiterHint : 1
; COMPUTE_PGM_RSRC2:SCRATCH_EN: 0
; COMPUTE_PGM_RSRC2:USER_SGPR: 14
; COMPUTE_PGM_RSRC2:TRAP_HANDLER: 0
; COMPUTE_PGM_RSRC2:TGID_X_EN: 1
; COMPUTE_PGM_RSRC2:TGID_Y_EN: 0
; COMPUTE_PGM_RSRC2:TGID_Z_EN: 1
; COMPUTE_PGM_RSRC2:TIDIG_COMP_CNT: 1
	.section	.text._ZL23rocblas_trmm_rTx_kernelILi32ELb1EfPKfKS1_KPfEv13rocblas_fill_17rocblas_diagonal_iiT2_lPT3_llS9_llPT4_lli,"axG",@progbits,_ZL23rocblas_trmm_rTx_kernelILi32ELb1EfPKfKS1_KPfEv13rocblas_fill_17rocblas_diagonal_iiT2_lPT3_llS9_llPT4_lli,comdat
	.globl	_ZL23rocblas_trmm_rTx_kernelILi32ELb1EfPKfKS1_KPfEv13rocblas_fill_17rocblas_diagonal_iiT2_lPT3_llS9_llPT4_lli ; -- Begin function _ZL23rocblas_trmm_rTx_kernelILi32ELb1EfPKfKS1_KPfEv13rocblas_fill_17rocblas_diagonal_iiT2_lPT3_llS9_llPT4_lli
	.p2align	8
	.type	_ZL23rocblas_trmm_rTx_kernelILi32ELb1EfPKfKS1_KPfEv13rocblas_fill_17rocblas_diagonal_iiT2_lPT3_llS9_llPT4_lli,@function
_ZL23rocblas_trmm_rTx_kernelILi32ELb1EfPKfKS1_KPfEv13rocblas_fill_17rocblas_diagonal_iiT2_lPT3_llS9_llPT4_lli: ; @_ZL23rocblas_trmm_rTx_kernelILi32ELb1EfPKfKS1_KPfEv13rocblas_fill_17rocblas_diagonal_iiT2_lPT3_llS9_llPT4_lli
; %bb.0:
	s_load_b512 s[16:31], s[0:1], 0x10
	s_mov_b32 s2, s15
	s_waitcnt lgkmcnt(0)
	s_mul_i32 s3, s15, s19
	s_mul_hi_u32 s4, s15, s18
	s_delay_alu instid0(SALU_CYCLE_1) | instskip(SKIP_1) | instid1(SALU_CYCLE_1)
	s_add_i32 s5, s4, s3
	s_mul_i32 s4, s15, s18
	s_lshl_b64 s[4:5], s[4:5], 2
	s_delay_alu instid0(SALU_CYCLE_1) | instskip(SKIP_4) | instid1(VALU_DEP_1)
	s_add_u32 s4, s16, s4
	s_addc_u32 s5, s17, s5
	s_load_b32 s15, s[4:5], 0x0
	s_waitcnt lgkmcnt(0)
	v_cmp_eq_f32_e64 s3, s15, 0
	s_and_b32 vcc_lo, exec_lo, s3
	s_mov_b32 s3, 0
	s_cbranch_vccnz .LBB154_15
; %bb.1:
	s_clause 0x1
	s_load_b128 s[4:7], s[0:1], 0x50
	s_load_b128 s[8:11], s[0:1], 0x0
	s_lshl_b64 s[16:17], s[2:3], 3
	v_bfe_u32 v1, v0, 10, 10
	s_add_u32 s2, s26, s16
	s_addc_u32 s3, s27, s17
	v_dual_mov_b32 v4, 0 :: v_dual_and_b32 v3, 0x3ff, v0
	s_delay_alu instid0(VALU_DEP_2) | instskip(NEXT) | instid1(VALU_DEP_1)
	v_lshlrev_b32_e32 v0, 5, v1
	v_add_lshl_u32 v2, v0, v3, 2
	v_lshlrev_b32_e32 v0, 2, v3
	s_waitcnt lgkmcnt(0)
	s_add_u32 s4, s4, s16
	s_addc_u32 s5, s5, s17
	s_load_b64 s[12:13], s[2:3], 0x0
	s_load_b64 s[4:5], s[4:5], 0x0
	v_cmp_gt_i32_e32 vcc_lo, s11, v1
	v_cmp_gt_i32_e64 s2, s11, v3
	ds_store_2addr_stride64_b32 v2, v4, v4 offset1:16
	s_and_b32 s2, vcc_lo, s2
	s_delay_alu instid0(SALU_CYCLE_1)
	s_and_saveexec_b32 s3, s2
	s_cbranch_execz .LBB154_3
; %bb.2:
	v_mad_u64_u32 v[4:5], null, v1, s22, 0
	s_add_u32 s16, s20, s16
	s_addc_u32 s17, s21, s17
	s_lshl_b64 s[18:19], s[24:25], 2
	s_load_b64 s[16:17], s[16:17], 0x0
	s_delay_alu instid0(VALU_DEP_1) | instskip(NEXT) | instid1(VALU_DEP_1)
	v_mad_u64_u32 v[6:7], null, v1, s23, v[5:6]
	v_mov_b32_e32 v5, v6
	s_delay_alu instid0(VALU_DEP_1) | instskip(SKIP_3) | instid1(VALU_DEP_1)
	v_lshlrev_b64 v[4:5], 2, v[4:5]
	s_waitcnt lgkmcnt(0)
	s_add_u32 s2, s16, s18
	s_addc_u32 s11, s17, s19
	v_add_co_u32 v4, s2, s2, v4
	s_delay_alu instid0(VALU_DEP_1) | instskip(NEXT) | instid1(VALU_DEP_2)
	v_add_co_ci_u32_e64 v5, s2, s11, v5, s2
	v_add_co_u32 v4, s2, v4, v0
	s_delay_alu instid0(VALU_DEP_1)
	v_add_co_ci_u32_e64 v5, s2, 0, v5, s2
	global_load_b32 v4, v[4:5], off
	s_waitcnt vmcnt(0)
	ds_store_b32 v2, v4
.LBB154_3:
	s_or_b32 exec_lo, exec_lo, s3
	s_add_i32 s2, s10, -1
	s_delay_alu instid0(SALU_CYCLE_1) | instskip(NEXT) | instid1(SALU_CYCLE_1)
	s_ashr_i32 s3, s2, 31
	s_lshr_b32 s3, s3, 27
	s_delay_alu instid0(SALU_CYCLE_1) | instskip(NEXT) | instid1(SALU_CYCLE_1)
	s_add_i32 s2, s2, s3
	s_and_b32 s3, s2, 0xffffffe0
	s_ashr_i32 s2, s2, 5
	s_sub_i32 s3, s10, s3
	s_cmp_ge_i32 s14, s2
	s_cselect_b32 s2, s3, 32
	s_lshl_b32 s10, s14, 5
	v_cmp_gt_i32_e64 s2, s2, v3
	s_ashr_i32 s11, s10, 31
	s_delay_alu instid0(VALU_DEP_1) | instskip(NEXT) | instid1(SALU_CYCLE_1)
	s_and_b32 s2, vcc_lo, s2
	s_and_saveexec_b32 s3, s2
	s_cbranch_execz .LBB154_5
; %bb.4:
	v_mad_u64_u32 v[4:5], null, v1, s28, 0
	s_lshl_b64 s[16:17], s[30:31], 2
	s_waitcnt lgkmcnt(0)
	s_add_u32 s14, s12, s16
	s_addc_u32 s16, s13, s17
	s_lshl_b64 s[12:13], s[10:11], 2
	s_delay_alu instid0(SALU_CYCLE_1) | instskip(NEXT) | instid1(VALU_DEP_1)
	s_add_u32 s12, s14, s12
	v_mad_u64_u32 v[6:7], null, v1, s29, v[5:6]
	s_addc_u32 s13, s16, s13
	s_delay_alu instid0(VALU_DEP_1) | instskip(NEXT) | instid1(VALU_DEP_1)
	v_mov_b32_e32 v5, v6
	v_lshlrev_b64 v[4:5], 2, v[4:5]
	s_delay_alu instid0(VALU_DEP_1) | instskip(NEXT) | instid1(VALU_DEP_2)
	v_add_co_u32 v4, vcc_lo, s12, v4
	v_add_co_ci_u32_e32 v5, vcc_lo, s13, v5, vcc_lo
	s_delay_alu instid0(VALU_DEP_2) | instskip(NEXT) | instid1(VALU_DEP_2)
	v_add_co_u32 v4, vcc_lo, v4, v0
	v_add_co_ci_u32_e32 v5, vcc_lo, 0, v5, vcc_lo
	global_load_b32 v4, v[4:5], off
	v_add_nc_u32_e32 v5, 0x1000, v2
	s_waitcnt vmcnt(0)
	ds_store_b32 v5, v4
.LBB154_5:
	s_or_b32 exec_lo, exec_lo, s3
	v_cmp_eq_u32_e32 vcc_lo, v1, v3
	s_cmpk_eq_i32 s9, 0x84
	s_cselect_b32 s3, -1, 0
	s_delay_alu instid0(SALU_CYCLE_1) | instskip(NEXT) | instid1(SALU_CYCLE_1)
	s_and_b32 s9, vcc_lo, s3
	s_and_saveexec_b32 s3, s9
	s_cbranch_execz .LBB154_7
; %bb.6:
	v_mov_b32_e32 v4, 1.0
	ds_store_b32 v2, v4
.LBB154_7:
	s_or_b32 exec_lo, exec_lo, s3
	s_cmpk_lg_i32 s8, 0x79
	s_cbranch_scc0 .LBB154_9
; %bb.8:
	v_cmp_lt_u32_e32 vcc_lo, v3, v1
	s_and_b32 s3, vcc_lo, exec_lo
	s_cbranch_execz .LBB154_10
	s_branch .LBB154_11
.LBB154_9:
	s_mov_b32 s3, 0
.LBB154_10:
	v_cmp_gt_u32_e32 vcc_lo, v3, v1
	s_and_not1_b32 s3, s3, exec_lo
	s_and_b32 s8, vcc_lo, exec_lo
	s_delay_alu instid0(SALU_CYCLE_1)
	s_or_b32 s3, s3, s8
.LBB154_11:
	s_delay_alu instid0(SALU_CYCLE_1)
	s_and_saveexec_b32 s8, s3
	s_cbranch_execz .LBB154_13
; %bb.12:
	v_mov_b32_e32 v3, 0
	ds_store_b32 v2, v3
.LBB154_13:
	s_or_b32 exec_lo, exec_lo, s8
	s_waitcnt lgkmcnt(0)
	s_barrier
	buffer_gl0_inv
	s_and_saveexec_b32 s3, s2
	s_cbranch_execz .LBB154_15
; %bb.14:
	v_add_nc_u32_e32 v14, 0x1000, v0
	v_lshlrev_b32_e32 v15, 2, v1
	s_load_b64 s[0:1], s[0:1], 0x60
	ds_load_2addr_b32 v[2:3], v14 offset1:32
	ds_load_2addr_b32 v[4:5], v15 offset1:32
	ds_load_2addr_b32 v[6:7], v14 offset0:64 offset1:96
	ds_load_2addr_b32 v[8:9], v15 offset0:64 offset1:96
	;; [unrolled: 1-line block ×4, first 2 shown]
	s_waitcnt lgkmcnt(0)
	v_fma_f32 v16, v2, v4, 0
	s_lshl_b64 s[0:1], s[0:1], 2
	s_delay_alu instid0(SALU_CYCLE_1) | instskip(SKIP_1) | instid1(VALU_DEP_1)
	s_add_u32 s2, s4, s0
	s_addc_u32 s3, s5, s1
	v_fmac_f32_e32 v16, v3, v5
	s_lshl_b64 s[0:1], s[10:11], 2
	s_delay_alu instid0(SALU_CYCLE_1) | instskip(SKIP_1) | instid1(VALU_DEP_1)
	s_add_u32 s0, s2, s0
	s_addc_u32 s1, s3, s1
	v_dual_fmac_f32 v16, v6, v8 :: v_dual_add_nc_u32 v17, 0x400, v15
	ds_load_2addr_b32 v[2:3], v14 offset0:192 offset1:224
	ds_load_2addr_b32 v[4:5], v15 offset0:192 offset1:224
	v_add_nc_u32_e32 v14, 0x1400, v0
	v_add_nc_u32_e32 v18, 0xc00, v15
	v_fmac_f32_e32 v16, v7, v9
	ds_load_2addr_b32 v[6:7], v14 offset1:32
	ds_load_2addr_b32 v[8:9], v17 offset1:32
	v_fmac_f32_e32 v16, v10, v12
	s_delay_alu instid0(VALU_DEP_1) | instskip(SKIP_4) | instid1(VALU_DEP_1)
	v_fmac_f32_e32 v16, v11, v13
	ds_load_2addr_b32 v[10:11], v14 offset0:64 offset1:96
	ds_load_2addr_b32 v[12:13], v17 offset0:64 offset1:96
	s_waitcnt lgkmcnt(4)
	v_fmac_f32_e32 v16, v2, v4
	v_fmac_f32_e32 v16, v3, v5
	ds_load_2addr_b32 v[2:3], v14 offset0:128 offset1:160
	ds_load_2addr_b32 v[4:5], v17 offset0:128 offset1:160
	s_waitcnt lgkmcnt(4)
	v_fmac_f32_e32 v16, v6, v8
	s_delay_alu instid0(VALU_DEP_1)
	v_fmac_f32_e32 v16, v7, v9
	ds_load_2addr_b32 v[6:7], v14 offset0:192 offset1:224
	ds_load_2addr_b32 v[8:9], v17 offset0:192 offset1:224
	v_add_nc_u32_e32 v14, 0x1800, v0
	s_waitcnt lgkmcnt(4)
	v_dual_fmac_f32 v16, v10, v12 :: v_dual_add_nc_u32 v17, 0x800, v15
	s_delay_alu instid0(VALU_DEP_1) | instskip(SKIP_4) | instid1(VALU_DEP_1)
	v_fmac_f32_e32 v16, v11, v13
	ds_load_2addr_b32 v[10:11], v14 offset1:32
	ds_load_2addr_b32 v[12:13], v17 offset1:32
	s_waitcnt lgkmcnt(4)
	v_fmac_f32_e32 v16, v2, v4
	v_fmac_f32_e32 v16, v3, v5
	ds_load_2addr_b32 v[2:3], v14 offset0:64 offset1:96
	ds_load_2addr_b32 v[4:5], v17 offset0:64 offset1:96
	s_waitcnt lgkmcnt(4)
	v_fmac_f32_e32 v16, v6, v8
	s_delay_alu instid0(VALU_DEP_1) | instskip(SKIP_4) | instid1(VALU_DEP_1)
	v_fmac_f32_e32 v16, v7, v9
	ds_load_2addr_b32 v[6:7], v14 offset0:128 offset1:160
	ds_load_2addr_b32 v[8:9], v17 offset0:128 offset1:160
	s_waitcnt lgkmcnt(4)
	v_fmac_f32_e32 v16, v10, v12
	v_fmac_f32_e32 v16, v11, v13
	ds_load_2addr_b32 v[10:11], v14 offset0:192 offset1:224
	ds_load_2addr_b32 v[12:13], v17 offset0:192 offset1:224
	v_add_nc_u32_e32 v17, 0x1c00, v0
	v_mad_u64_u32 v[14:15], null, v1, s6, 0
	s_waitcnt lgkmcnt(4)
	v_fmac_f32_e32 v16, v2, v4
	s_delay_alu instid0(VALU_DEP_1) | instskip(SKIP_4) | instid1(VALU_DEP_1)
	v_fmac_f32_e32 v16, v3, v5
	ds_load_2addr_b32 v[2:3], v17 offset1:32
	ds_load_2addr_b32 v[4:5], v18 offset1:32
	s_waitcnt lgkmcnt(4)
	v_fmac_f32_e32 v16, v6, v8
	v_fmac_f32_e32 v16, v7, v9
	ds_load_2addr_b32 v[6:7], v17 offset0:64 offset1:96
	ds_load_2addr_b32 v[8:9], v18 offset0:64 offset1:96
	s_waitcnt lgkmcnt(4)
	v_fmac_f32_e32 v16, v10, v12
	s_delay_alu instid0(VALU_DEP_1) | instskip(SKIP_4) | instid1(VALU_DEP_1)
	v_fmac_f32_e32 v16, v11, v13
	ds_load_2addr_b32 v[10:11], v17 offset0:128 offset1:160
	ds_load_2addr_b32 v[12:13], v18 offset0:128 offset1:160
	s_waitcnt lgkmcnt(4)
	v_fmac_f32_e32 v16, v2, v4
	v_fmac_f32_e32 v16, v3, v5
	ds_load_2addr_b32 v[2:3], v17 offset0:192 offset1:224
	ds_load_2addr_b32 v[4:5], v18 offset0:192 offset1:224
	s_waitcnt lgkmcnt(4)
	v_fmac_f32_e32 v16, v6, v8
	v_mov_b32_e32 v6, v15
	s_delay_alu instid0(VALU_DEP_2) | instskip(NEXT) | instid1(VALU_DEP_2)
	v_fmac_f32_e32 v16, v7, v9
	v_mad_u64_u32 v[7:8], null, v1, s7, v[6:7]
	s_waitcnt lgkmcnt(2)
	s_delay_alu instid0(VALU_DEP_1) | instskip(NEXT) | instid1(VALU_DEP_1)
	v_dual_fmac_f32 v16, v10, v12 :: v_dual_mov_b32 v15, v7
	v_fmac_f32_e32 v16, v11, v13
	s_waitcnt lgkmcnt(0)
	s_delay_alu instid0(VALU_DEP_1) | instskip(NEXT) | instid1(VALU_DEP_3)
	v_fmac_f32_e32 v16, v2, v4
	v_lshlrev_b64 v[1:2], 2, v[14:15]
	s_delay_alu instid0(VALU_DEP_2) | instskip(NEXT) | instid1(VALU_DEP_2)
	v_fmac_f32_e32 v16, v3, v5
	v_add_co_u32 v1, vcc_lo, s0, v1
	s_delay_alu instid0(VALU_DEP_3) | instskip(NEXT) | instid1(VALU_DEP_3)
	v_add_co_ci_u32_e32 v2, vcc_lo, s1, v2, vcc_lo
	v_mul_f32_e32 v3, s15, v16
	s_delay_alu instid0(VALU_DEP_3) | instskip(NEXT) | instid1(VALU_DEP_3)
	v_add_co_u32 v0, vcc_lo, v1, v0
	v_add_co_ci_u32_e32 v1, vcc_lo, 0, v2, vcc_lo
	global_store_b32 v[0:1], v3, off
.LBB154_15:
	s_nop 0
	s_sendmsg sendmsg(MSG_DEALLOC_VGPRS)
	s_endpgm
	.section	.rodata,"a",@progbits
	.p2align	6, 0x0
	.amdhsa_kernel _ZL23rocblas_trmm_rTx_kernelILi32ELb1EfPKfKS1_KPfEv13rocblas_fill_17rocblas_diagonal_iiT2_lPT3_llS9_llPT4_lli
		.amdhsa_group_segment_fixed_size 8192
		.amdhsa_private_segment_fixed_size 0
		.amdhsa_kernarg_size 108
		.amdhsa_user_sgpr_count 14
		.amdhsa_user_sgpr_dispatch_ptr 0
		.amdhsa_user_sgpr_queue_ptr 0
		.amdhsa_user_sgpr_kernarg_segment_ptr 1
		.amdhsa_user_sgpr_dispatch_id 0
		.amdhsa_user_sgpr_private_segment_size 0
		.amdhsa_wavefront_size32 1
		.amdhsa_uses_dynamic_stack 0
		.amdhsa_enable_private_segment 0
		.amdhsa_system_sgpr_workgroup_id_x 1
		.amdhsa_system_sgpr_workgroup_id_y 0
		.amdhsa_system_sgpr_workgroup_id_z 1
		.amdhsa_system_sgpr_workgroup_info 0
		.amdhsa_system_vgpr_workitem_id 1
		.amdhsa_next_free_vgpr 19
		.amdhsa_next_free_sgpr 32
		.amdhsa_reserve_vcc 1
		.amdhsa_float_round_mode_32 0
		.amdhsa_float_round_mode_16_64 0
		.amdhsa_float_denorm_mode_32 3
		.amdhsa_float_denorm_mode_16_64 3
		.amdhsa_dx10_clamp 1
		.amdhsa_ieee_mode 1
		.amdhsa_fp16_overflow 0
		.amdhsa_workgroup_processor_mode 1
		.amdhsa_memory_ordered 1
		.amdhsa_forward_progress 0
		.amdhsa_shared_vgpr_count 0
		.amdhsa_exception_fp_ieee_invalid_op 0
		.amdhsa_exception_fp_denorm_src 0
		.amdhsa_exception_fp_ieee_div_zero 0
		.amdhsa_exception_fp_ieee_overflow 0
		.amdhsa_exception_fp_ieee_underflow 0
		.amdhsa_exception_fp_ieee_inexact 0
		.amdhsa_exception_int_div_zero 0
	.end_amdhsa_kernel
	.section	.text._ZL23rocblas_trmm_rTx_kernelILi32ELb1EfPKfKS1_KPfEv13rocblas_fill_17rocblas_diagonal_iiT2_lPT3_llS9_llPT4_lli,"axG",@progbits,_ZL23rocblas_trmm_rTx_kernelILi32ELb1EfPKfKS1_KPfEv13rocblas_fill_17rocblas_diagonal_iiT2_lPT3_llS9_llPT4_lli,comdat
.Lfunc_end154:
	.size	_ZL23rocblas_trmm_rTx_kernelILi32ELb1EfPKfKS1_KPfEv13rocblas_fill_17rocblas_diagonal_iiT2_lPT3_llS9_llPT4_lli, .Lfunc_end154-_ZL23rocblas_trmm_rTx_kernelILi32ELb1EfPKfKS1_KPfEv13rocblas_fill_17rocblas_diagonal_iiT2_lPT3_llS9_llPT4_lli
                                        ; -- End function
	.section	.AMDGPU.csdata,"",@progbits
; Kernel info:
; codeLenInByte = 1376
; NumSgprs: 34
; NumVgprs: 19
; ScratchSize: 0
; MemoryBound: 0
; FloatMode: 240
; IeeeMode: 1
; LDSByteSize: 8192 bytes/workgroup (compile time only)
; SGPRBlocks: 4
; VGPRBlocks: 2
; NumSGPRsForWavesPerEU: 34
; NumVGPRsForWavesPerEU: 19
; Occupancy: 16
; WaveLimiterHint : 1
; COMPUTE_PGM_RSRC2:SCRATCH_EN: 0
; COMPUTE_PGM_RSRC2:USER_SGPR: 14
; COMPUTE_PGM_RSRC2:TRAP_HANDLER: 0
; COMPUTE_PGM_RSRC2:TGID_X_EN: 1
; COMPUTE_PGM_RSRC2:TGID_Y_EN: 0
; COMPUTE_PGM_RSRC2:TGID_Z_EN: 1
; COMPUTE_PGM_RSRC2:TIDIG_COMP_CNT: 1
	.section	.text._ZL23rocblas_trmm_rTx_kernelILi32ELb1EffKPKfKPfEv13rocblas_fill_17rocblas_diagonal_iiT2_lPT3_llS9_llPT4_lli,"axG",@progbits,_ZL23rocblas_trmm_rTx_kernelILi32ELb1EffKPKfKPfEv13rocblas_fill_17rocblas_diagonal_iiT2_lPT3_llS9_llPT4_lli,comdat
	.globl	_ZL23rocblas_trmm_rTx_kernelILi32ELb1EffKPKfKPfEv13rocblas_fill_17rocblas_diagonal_iiT2_lPT3_llS9_llPT4_lli ; -- Begin function _ZL23rocblas_trmm_rTx_kernelILi32ELb1EffKPKfKPfEv13rocblas_fill_17rocblas_diagonal_iiT2_lPT3_llS9_llPT4_lli
	.p2align	8
	.type	_ZL23rocblas_trmm_rTx_kernelILi32ELb1EffKPKfKPfEv13rocblas_fill_17rocblas_diagonal_iiT2_lPT3_llS9_llPT4_lli,@function
_ZL23rocblas_trmm_rTx_kernelILi32ELb1EffKPKfKPfEv13rocblas_fill_17rocblas_diagonal_iiT2_lPT3_llS9_llPT4_lli: ; @_ZL23rocblas_trmm_rTx_kernelILi32ELb1EffKPKfKPfEv13rocblas_fill_17rocblas_diagonal_iiT2_lPT3_llS9_llPT4_lli
; %bb.0:
	s_mov_b32 s2, s15
	s_load_b32 s15, s[0:1], 0x10
	s_waitcnt lgkmcnt(0)
	v_cmp_eq_f32_e64 s3, s15, 0
	s_delay_alu instid0(VALU_DEP_1)
	s_and_b32 vcc_lo, exec_lo, s3
	s_mov_b32 s3, 0
	s_cbranch_vccnz .LBB155_15
; %bb.1:
	s_clause 0x1
	s_load_b512 s[16:31], s[0:1], 0x20
	s_load_b128 s[4:7], s[0:1], 0x0
	s_lshl_b64 s[12:13], s[2:3], 3
	v_bfe_u32 v1, v0, 10, 10
	v_dual_mov_b32 v4, 0 :: v_dual_and_b32 v3, 0x3ff, v0
	s_delay_alu instid0(VALU_DEP_2) | instskip(NEXT) | instid1(VALU_DEP_1)
	v_lshlrev_b32_e32 v0, 5, v1
	v_add_lshl_u32 v2, v0, v3, 2
	v_lshlrev_b32_e32 v0, 2, v3
	s_waitcnt lgkmcnt(0)
	s_add_u32 s2, s22, s12
	s_addc_u32 s3, s23, s13
	s_add_u32 s8, s28, s12
	s_addc_u32 s9, s29, s13
	s_load_b64 s[10:11], s[2:3], 0x0
	s_load_b64 s[8:9], s[8:9], 0x0
	v_cmp_gt_i32_e32 vcc_lo, s7, v1
	v_cmp_gt_i32_e64 s2, s7, v3
	ds_store_2addr_stride64_b32 v2, v4, v4 offset1:16
	s_and_b32 s2, vcc_lo, s2
	s_delay_alu instid0(SALU_CYCLE_1)
	s_and_saveexec_b32 s3, s2
	s_cbranch_execz .LBB155_3
; %bb.2:
	v_mad_u64_u32 v[4:5], null, v1, s18, 0
	s_add_u32 s12, s16, s12
	s_addc_u32 s13, s17, s13
	s_lshl_b64 s[16:17], s[20:21], 2
	s_load_b64 s[12:13], s[12:13], 0x0
	s_delay_alu instid0(VALU_DEP_1) | instskip(NEXT) | instid1(VALU_DEP_1)
	v_mad_u64_u32 v[6:7], null, v1, s19, v[5:6]
	v_mov_b32_e32 v5, v6
	s_delay_alu instid0(VALU_DEP_1) | instskip(SKIP_3) | instid1(VALU_DEP_1)
	v_lshlrev_b64 v[4:5], 2, v[4:5]
	s_waitcnt lgkmcnt(0)
	s_add_u32 s2, s12, s16
	s_addc_u32 s7, s13, s17
	v_add_co_u32 v4, s2, s2, v4
	s_delay_alu instid0(VALU_DEP_1) | instskip(NEXT) | instid1(VALU_DEP_2)
	v_add_co_ci_u32_e64 v5, s2, s7, v5, s2
	v_add_co_u32 v4, s2, v4, v0
	s_delay_alu instid0(VALU_DEP_1)
	v_add_co_ci_u32_e64 v5, s2, 0, v5, s2
	global_load_b32 v4, v[4:5], off
	s_waitcnt vmcnt(0)
	ds_store_b32 v2, v4
.LBB155_3:
	s_or_b32 exec_lo, exec_lo, s3
	s_add_i32 s2, s6, -1
	s_delay_alu instid0(SALU_CYCLE_1) | instskip(NEXT) | instid1(SALU_CYCLE_1)
	s_ashr_i32 s3, s2, 31
	s_lshr_b32 s3, s3, 27
	s_delay_alu instid0(SALU_CYCLE_1) | instskip(NEXT) | instid1(SALU_CYCLE_1)
	s_add_i32 s2, s2, s3
	s_and_b32 s3, s2, 0xffffffe0
	s_ashr_i32 s2, s2, 5
	s_sub_i32 s3, s6, s3
	s_cmp_ge_i32 s14, s2
	s_cselect_b32 s2, s3, 32
	s_lshl_b32 s6, s14, 5
	v_cmp_gt_i32_e64 s2, s2, v3
	s_ashr_i32 s7, s6, 31
	s_delay_alu instid0(VALU_DEP_1) | instskip(NEXT) | instid1(SALU_CYCLE_1)
	s_and_b32 s2, vcc_lo, s2
	s_and_saveexec_b32 s3, s2
	s_cbranch_execz .LBB155_5
; %bb.4:
	v_mad_u64_u32 v[4:5], null, v1, s24, 0
	s_lshl_b64 s[12:13], s[26:27], 2
	s_waitcnt lgkmcnt(0)
	s_add_u32 s12, s10, s12
	s_addc_u32 s13, s11, s13
	s_lshl_b64 s[10:11], s[6:7], 2
	s_delay_alu instid0(SALU_CYCLE_1) | instskip(NEXT) | instid1(VALU_DEP_1)
	s_add_u32 s10, s12, s10
	v_mad_u64_u32 v[6:7], null, v1, s25, v[5:6]
	s_addc_u32 s11, s13, s11
	s_delay_alu instid0(VALU_DEP_1) | instskip(NEXT) | instid1(VALU_DEP_1)
	v_mov_b32_e32 v5, v6
	v_lshlrev_b64 v[4:5], 2, v[4:5]
	s_delay_alu instid0(VALU_DEP_1) | instskip(NEXT) | instid1(VALU_DEP_2)
	v_add_co_u32 v4, vcc_lo, s10, v4
	v_add_co_ci_u32_e32 v5, vcc_lo, s11, v5, vcc_lo
	s_delay_alu instid0(VALU_DEP_2) | instskip(NEXT) | instid1(VALU_DEP_2)
	v_add_co_u32 v4, vcc_lo, v4, v0
	v_add_co_ci_u32_e32 v5, vcc_lo, 0, v5, vcc_lo
	global_load_b32 v4, v[4:5], off
	v_add_nc_u32_e32 v5, 0x1000, v2
	s_waitcnt vmcnt(0)
	ds_store_b32 v5, v4
.LBB155_5:
	s_or_b32 exec_lo, exec_lo, s3
	v_cmp_eq_u32_e32 vcc_lo, v1, v3
	s_cmpk_eq_i32 s5, 0x84
	s_cselect_b32 s3, -1, 0
	s_delay_alu instid0(SALU_CYCLE_1) | instskip(NEXT) | instid1(SALU_CYCLE_1)
	s_and_b32 s5, vcc_lo, s3
	s_and_saveexec_b32 s3, s5
	s_cbranch_execz .LBB155_7
; %bb.6:
	v_mov_b32_e32 v4, 1.0
	ds_store_b32 v2, v4
.LBB155_7:
	s_or_b32 exec_lo, exec_lo, s3
	s_cmpk_lg_i32 s4, 0x79
	s_cbranch_scc0 .LBB155_9
; %bb.8:
	v_cmp_lt_u32_e32 vcc_lo, v3, v1
	s_and_b32 s3, vcc_lo, exec_lo
	s_cbranch_execz .LBB155_10
	s_branch .LBB155_11
.LBB155_9:
	s_mov_b32 s3, 0
.LBB155_10:
	v_cmp_gt_u32_e32 vcc_lo, v3, v1
	s_and_not1_b32 s3, s3, exec_lo
	s_and_b32 s4, vcc_lo, exec_lo
	s_delay_alu instid0(SALU_CYCLE_1)
	s_or_b32 s3, s3, s4
.LBB155_11:
	s_delay_alu instid0(SALU_CYCLE_1)
	s_and_saveexec_b32 s4, s3
	s_cbranch_execz .LBB155_13
; %bb.12:
	v_mov_b32_e32 v3, 0
	ds_store_b32 v2, v3
.LBB155_13:
	s_or_b32 exec_lo, exec_lo, s4
	s_waitcnt lgkmcnt(0)
	s_barrier
	buffer_gl0_inv
	s_and_saveexec_b32 s3, s2
	s_cbranch_execz .LBB155_15
; %bb.14:
	v_add_nc_u32_e32 v14, 0x1000, v0
	v_lshlrev_b32_e32 v15, 2, v1
	s_load_b64 s[0:1], s[0:1], 0x60
	ds_load_2addr_b32 v[2:3], v14 offset1:32
	ds_load_2addr_b32 v[4:5], v15 offset1:32
	ds_load_2addr_b32 v[6:7], v14 offset0:64 offset1:96
	ds_load_2addr_b32 v[8:9], v15 offset0:64 offset1:96
	;; [unrolled: 1-line block ×4, first 2 shown]
	s_waitcnt lgkmcnt(0)
	v_fma_f32 v16, v2, v4, 0
	s_lshl_b64 s[0:1], s[0:1], 2
	s_delay_alu instid0(SALU_CYCLE_1) | instskip(SKIP_1) | instid1(VALU_DEP_1)
	s_add_u32 s2, s8, s0
	s_addc_u32 s3, s9, s1
	v_fmac_f32_e32 v16, v3, v5
	s_lshl_b64 s[0:1], s[6:7], 2
	s_delay_alu instid0(SALU_CYCLE_1) | instskip(SKIP_1) | instid1(VALU_DEP_1)
	s_add_u32 s0, s2, s0
	s_addc_u32 s1, s3, s1
	v_dual_fmac_f32 v16, v6, v8 :: v_dual_add_nc_u32 v17, 0x400, v15
	ds_load_2addr_b32 v[2:3], v14 offset0:192 offset1:224
	ds_load_2addr_b32 v[4:5], v15 offset0:192 offset1:224
	v_add_nc_u32_e32 v14, 0x1400, v0
	v_add_nc_u32_e32 v18, 0xc00, v15
	v_fmac_f32_e32 v16, v7, v9
	ds_load_2addr_b32 v[6:7], v14 offset1:32
	ds_load_2addr_b32 v[8:9], v17 offset1:32
	v_fmac_f32_e32 v16, v10, v12
	s_delay_alu instid0(VALU_DEP_1) | instskip(SKIP_4) | instid1(VALU_DEP_1)
	v_fmac_f32_e32 v16, v11, v13
	ds_load_2addr_b32 v[10:11], v14 offset0:64 offset1:96
	ds_load_2addr_b32 v[12:13], v17 offset0:64 offset1:96
	s_waitcnt lgkmcnt(4)
	v_fmac_f32_e32 v16, v2, v4
	v_fmac_f32_e32 v16, v3, v5
	ds_load_2addr_b32 v[2:3], v14 offset0:128 offset1:160
	ds_load_2addr_b32 v[4:5], v17 offset0:128 offset1:160
	s_waitcnt lgkmcnt(4)
	v_fmac_f32_e32 v16, v6, v8
	s_delay_alu instid0(VALU_DEP_1)
	v_fmac_f32_e32 v16, v7, v9
	ds_load_2addr_b32 v[6:7], v14 offset0:192 offset1:224
	ds_load_2addr_b32 v[8:9], v17 offset0:192 offset1:224
	v_add_nc_u32_e32 v14, 0x1800, v0
	s_waitcnt lgkmcnt(4)
	v_dual_fmac_f32 v16, v10, v12 :: v_dual_add_nc_u32 v17, 0x800, v15
	s_delay_alu instid0(VALU_DEP_1) | instskip(SKIP_4) | instid1(VALU_DEP_1)
	v_fmac_f32_e32 v16, v11, v13
	ds_load_2addr_b32 v[10:11], v14 offset1:32
	ds_load_2addr_b32 v[12:13], v17 offset1:32
	s_waitcnt lgkmcnt(4)
	v_fmac_f32_e32 v16, v2, v4
	v_fmac_f32_e32 v16, v3, v5
	ds_load_2addr_b32 v[2:3], v14 offset0:64 offset1:96
	ds_load_2addr_b32 v[4:5], v17 offset0:64 offset1:96
	s_waitcnt lgkmcnt(4)
	v_fmac_f32_e32 v16, v6, v8
	s_delay_alu instid0(VALU_DEP_1) | instskip(SKIP_4) | instid1(VALU_DEP_1)
	v_fmac_f32_e32 v16, v7, v9
	ds_load_2addr_b32 v[6:7], v14 offset0:128 offset1:160
	ds_load_2addr_b32 v[8:9], v17 offset0:128 offset1:160
	s_waitcnt lgkmcnt(4)
	v_fmac_f32_e32 v16, v10, v12
	v_fmac_f32_e32 v16, v11, v13
	ds_load_2addr_b32 v[10:11], v14 offset0:192 offset1:224
	ds_load_2addr_b32 v[12:13], v17 offset0:192 offset1:224
	v_add_nc_u32_e32 v17, 0x1c00, v0
	v_mad_u64_u32 v[14:15], null, v1, s30, 0
	s_waitcnt lgkmcnt(4)
	v_fmac_f32_e32 v16, v2, v4
	s_delay_alu instid0(VALU_DEP_1) | instskip(SKIP_4) | instid1(VALU_DEP_1)
	v_fmac_f32_e32 v16, v3, v5
	ds_load_2addr_b32 v[2:3], v17 offset1:32
	ds_load_2addr_b32 v[4:5], v18 offset1:32
	s_waitcnt lgkmcnt(4)
	v_fmac_f32_e32 v16, v6, v8
	v_fmac_f32_e32 v16, v7, v9
	ds_load_2addr_b32 v[6:7], v17 offset0:64 offset1:96
	ds_load_2addr_b32 v[8:9], v18 offset0:64 offset1:96
	s_waitcnt lgkmcnt(4)
	v_fmac_f32_e32 v16, v10, v12
	s_delay_alu instid0(VALU_DEP_1) | instskip(SKIP_4) | instid1(VALU_DEP_1)
	v_fmac_f32_e32 v16, v11, v13
	ds_load_2addr_b32 v[10:11], v17 offset0:128 offset1:160
	ds_load_2addr_b32 v[12:13], v18 offset0:128 offset1:160
	s_waitcnt lgkmcnt(4)
	v_fmac_f32_e32 v16, v2, v4
	v_fmac_f32_e32 v16, v3, v5
	ds_load_2addr_b32 v[2:3], v17 offset0:192 offset1:224
	ds_load_2addr_b32 v[4:5], v18 offset0:192 offset1:224
	s_waitcnt lgkmcnt(4)
	v_fmac_f32_e32 v16, v6, v8
	v_mov_b32_e32 v6, v15
	s_delay_alu instid0(VALU_DEP_2) | instskip(NEXT) | instid1(VALU_DEP_2)
	v_fmac_f32_e32 v16, v7, v9
	v_mad_u64_u32 v[7:8], null, v1, s31, v[6:7]
	s_waitcnt lgkmcnt(2)
	s_delay_alu instid0(VALU_DEP_1) | instskip(NEXT) | instid1(VALU_DEP_1)
	v_dual_fmac_f32 v16, v10, v12 :: v_dual_mov_b32 v15, v7
	v_fmac_f32_e32 v16, v11, v13
	s_waitcnt lgkmcnt(0)
	s_delay_alu instid0(VALU_DEP_1) | instskip(NEXT) | instid1(VALU_DEP_3)
	v_fmac_f32_e32 v16, v2, v4
	v_lshlrev_b64 v[1:2], 2, v[14:15]
	s_delay_alu instid0(VALU_DEP_2) | instskip(NEXT) | instid1(VALU_DEP_2)
	v_fmac_f32_e32 v16, v3, v5
	v_add_co_u32 v1, vcc_lo, s0, v1
	s_delay_alu instid0(VALU_DEP_3) | instskip(NEXT) | instid1(VALU_DEP_3)
	v_add_co_ci_u32_e32 v2, vcc_lo, s1, v2, vcc_lo
	v_mul_f32_e32 v3, s15, v16
	s_delay_alu instid0(VALU_DEP_3) | instskip(NEXT) | instid1(VALU_DEP_3)
	v_add_co_u32 v0, vcc_lo, v1, v0
	v_add_co_ci_u32_e32 v1, vcc_lo, 0, v2, vcc_lo
	global_store_b32 v[0:1], v3, off
.LBB155_15:
	s_nop 0
	s_sendmsg sendmsg(MSG_DEALLOC_VGPRS)
	s_endpgm
	.section	.rodata,"a",@progbits
	.p2align	6, 0x0
	.amdhsa_kernel _ZL23rocblas_trmm_rTx_kernelILi32ELb1EffKPKfKPfEv13rocblas_fill_17rocblas_diagonal_iiT2_lPT3_llS9_llPT4_lli
		.amdhsa_group_segment_fixed_size 8192
		.amdhsa_private_segment_fixed_size 0
		.amdhsa_kernarg_size 108
		.amdhsa_user_sgpr_count 14
		.amdhsa_user_sgpr_dispatch_ptr 0
		.amdhsa_user_sgpr_queue_ptr 0
		.amdhsa_user_sgpr_kernarg_segment_ptr 1
		.amdhsa_user_sgpr_dispatch_id 0
		.amdhsa_user_sgpr_private_segment_size 0
		.amdhsa_wavefront_size32 1
		.amdhsa_uses_dynamic_stack 0
		.amdhsa_enable_private_segment 0
		.amdhsa_system_sgpr_workgroup_id_x 1
		.amdhsa_system_sgpr_workgroup_id_y 0
		.amdhsa_system_sgpr_workgroup_id_z 1
		.amdhsa_system_sgpr_workgroup_info 0
		.amdhsa_system_vgpr_workitem_id 1
		.amdhsa_next_free_vgpr 19
		.amdhsa_next_free_sgpr 32
		.amdhsa_reserve_vcc 1
		.amdhsa_float_round_mode_32 0
		.amdhsa_float_round_mode_16_64 0
		.amdhsa_float_denorm_mode_32 3
		.amdhsa_float_denorm_mode_16_64 3
		.amdhsa_dx10_clamp 1
		.amdhsa_ieee_mode 1
		.amdhsa_fp16_overflow 0
		.amdhsa_workgroup_processor_mode 1
		.amdhsa_memory_ordered 1
		.amdhsa_forward_progress 0
		.amdhsa_shared_vgpr_count 0
		.amdhsa_exception_fp_ieee_invalid_op 0
		.amdhsa_exception_fp_denorm_src 0
		.amdhsa_exception_fp_ieee_div_zero 0
		.amdhsa_exception_fp_ieee_overflow 0
		.amdhsa_exception_fp_ieee_underflow 0
		.amdhsa_exception_fp_ieee_inexact 0
		.amdhsa_exception_int_div_zero 0
	.end_amdhsa_kernel
	.section	.text._ZL23rocblas_trmm_rTx_kernelILi32ELb1EffKPKfKPfEv13rocblas_fill_17rocblas_diagonal_iiT2_lPT3_llS9_llPT4_lli,"axG",@progbits,_ZL23rocblas_trmm_rTx_kernelILi32ELb1EffKPKfKPfEv13rocblas_fill_17rocblas_diagonal_iiT2_lPT3_llS9_llPT4_lli,comdat
.Lfunc_end155:
	.size	_ZL23rocblas_trmm_rTx_kernelILi32ELb1EffKPKfKPfEv13rocblas_fill_17rocblas_diagonal_iiT2_lPT3_llS9_llPT4_lli, .Lfunc_end155-_ZL23rocblas_trmm_rTx_kernelILi32ELb1EffKPKfKPfEv13rocblas_fill_17rocblas_diagonal_iiT2_lPT3_llS9_llPT4_lli
                                        ; -- End function
	.section	.AMDGPU.csdata,"",@progbits
; Kernel info:
; codeLenInByte = 1332
; NumSgprs: 34
; NumVgprs: 19
; ScratchSize: 0
; MemoryBound: 0
; FloatMode: 240
; IeeeMode: 1
; LDSByteSize: 8192 bytes/workgroup (compile time only)
; SGPRBlocks: 4
; VGPRBlocks: 2
; NumSGPRsForWavesPerEU: 34
; NumVGPRsForWavesPerEU: 19
; Occupancy: 16
; WaveLimiterHint : 1
; COMPUTE_PGM_RSRC2:SCRATCH_EN: 0
; COMPUTE_PGM_RSRC2:USER_SGPR: 14
; COMPUTE_PGM_RSRC2:TRAP_HANDLER: 0
; COMPUTE_PGM_RSRC2:TGID_X_EN: 1
; COMPUTE_PGM_RSRC2:TGID_Y_EN: 0
; COMPUTE_PGM_RSRC2:TGID_Z_EN: 1
; COMPUTE_PGM_RSRC2:TIDIG_COMP_CNT: 1
	.section	.text._ZL23rocblas_trmm_lNx_kernelILi32EdPKdKS1_KPdEv13rocblas_fill_17rocblas_diagonal_iiT1_lPT2_llS9_llPT3_lli,"axG",@progbits,_ZL23rocblas_trmm_lNx_kernelILi32EdPKdKS1_KPdEv13rocblas_fill_17rocblas_diagonal_iiT1_lPT2_llS9_llPT3_lli,comdat
	.globl	_ZL23rocblas_trmm_lNx_kernelILi32EdPKdKS1_KPdEv13rocblas_fill_17rocblas_diagonal_iiT1_lPT2_llS9_llPT3_lli ; -- Begin function _ZL23rocblas_trmm_lNx_kernelILi32EdPKdKS1_KPdEv13rocblas_fill_17rocblas_diagonal_iiT1_lPT2_llS9_llPT3_lli
	.p2align	8
	.type	_ZL23rocblas_trmm_lNx_kernelILi32EdPKdKS1_KPdEv13rocblas_fill_17rocblas_diagonal_iiT1_lPT2_llS9_llPT3_lli,@function
_ZL23rocblas_trmm_lNx_kernelILi32EdPKdKS1_KPdEv13rocblas_fill_17rocblas_diagonal_iiT1_lPT2_llS9_llPT3_lli: ; @_ZL23rocblas_trmm_lNx_kernelILi32EdPKdKS1_KPdEv13rocblas_fill_17rocblas_diagonal_iiT1_lPT2_llS9_llPT3_lli
; %bb.0:
	s_load_b512 s[16:31], s[0:1], 0x10
	s_waitcnt lgkmcnt(0)
	s_mul_i32 s2, s15, s19
	s_mul_hi_u32 s3, s15, s18
	s_delay_alu instid0(SALU_CYCLE_1) | instskip(SKIP_1) | instid1(SALU_CYCLE_1)
	s_add_i32 s3, s3, s2
	s_mul_i32 s2, s15, s18
	s_lshl_b64 s[2:3], s[2:3], 3
	s_delay_alu instid0(SALU_CYCLE_1) | instskip(SKIP_4) | instid1(VALU_DEP_1)
	s_add_u32 s2, s16, s2
	s_addc_u32 s3, s17, s3
	s_load_b64 s[12:13], s[2:3], 0x0
	s_waitcnt lgkmcnt(0)
	v_cmp_eq_f64_e64 s2, s[12:13], 0
	s_and_b32 vcc_lo, exec_lo, s2
	s_cbranch_vccnz .LBB156_15
; %bb.1:
	s_clause 0x1
	s_load_b128 s[4:7], s[0:1], 0x50
	s_load_b128 s[8:11], s[0:1], 0x0
	s_mov_b32 s34, s15
	s_mov_b32 s35, 0
	v_bfe_u32 v1, v0, 10, 10
	s_lshl_b64 s[18:19], s[34:35], 3
	s_mov_b32 s34, s35
	s_add_u32 s2, s26, s18
	s_addc_u32 s3, s27, s19
	v_dual_mov_b32 v5, s34 :: v_dual_and_b32 v4, 0x3ff, v0
	v_lshlrev_b32_e32 v2, 5, v1
	v_mov_b32_e32 v6, s35
	s_delay_alu instid0(VALU_DEP_3) | instskip(NEXT) | instid1(VALU_DEP_3)
	v_lshlrev_b32_e32 v0, 3, v4
	v_add_lshl_u32 v3, v2, v4, 3
	s_waitcnt lgkmcnt(0)
	s_add_u32 s4, s4, s18
	s_addc_u32 s5, s5, s19
	s_load_b64 s[16:17], s[2:3], 0x0
	s_load_b64 s[4:5], s[4:5], 0x0
	v_cmp_gt_i32_e64 s2, s10, v1
	v_cmp_gt_i32_e32 vcc_lo, s10, v4
	ds_store_2addr_stride64_b64 v3, v[5:6], v[5:6] offset1:16
	s_and_b32 s2, s2, vcc_lo
	s_delay_alu instid0(SALU_CYCLE_1)
	s_and_saveexec_b32 s3, s2
	s_cbranch_execz .LBB156_3
; %bb.2:
	v_mad_u64_u32 v[5:6], null, v1, s22, 0
	s_add_u32 s18, s20, s18
	s_addc_u32 s19, s21, s19
	s_lshl_b64 s[20:21], s[24:25], 3
	s_load_b64 s[18:19], s[18:19], 0x0
	s_delay_alu instid0(VALU_DEP_1) | instskip(NEXT) | instid1(VALU_DEP_1)
	v_mad_u64_u32 v[7:8], null, v1, s23, v[6:7]
	v_mov_b32_e32 v6, v7
	s_delay_alu instid0(VALU_DEP_1) | instskip(SKIP_3) | instid1(VALU_DEP_1)
	v_lshlrev_b64 v[5:6], 3, v[5:6]
	s_waitcnt lgkmcnt(0)
	s_add_u32 s2, s18, s20
	s_addc_u32 s10, s19, s21
	v_add_co_u32 v5, s2, s2, v5
	s_delay_alu instid0(VALU_DEP_1) | instskip(NEXT) | instid1(VALU_DEP_2)
	v_add_co_ci_u32_e64 v6, s2, s10, v6, s2
	v_add_co_u32 v5, s2, v5, v0
	s_delay_alu instid0(VALU_DEP_1)
	v_add_co_ci_u32_e64 v6, s2, 0, v6, s2
	global_load_b64 v[5:6], v[5:6], off
	s_waitcnt vmcnt(0)
	ds_store_b64 v3, v[5:6]
.LBB156_3:
	s_or_b32 exec_lo, exec_lo, s3
	s_add_i32 s2, s11, -1
	s_delay_alu instid0(SALU_CYCLE_1) | instskip(NEXT) | instid1(SALU_CYCLE_1)
	s_ashr_i32 s3, s2, 31
	s_lshr_b32 s3, s3, 27
	s_delay_alu instid0(SALU_CYCLE_1) | instskip(NEXT) | instid1(SALU_CYCLE_1)
	s_add_i32 s2, s2, s3
	s_and_b32 s3, s2, 0xffffffe0
	s_ashr_i32 s2, s2, 5
	s_sub_i32 s3, s11, s3
	s_cmp_ge_i32 s14, s2
	s_cselect_b32 s2, s3, 32
	s_lshl_b32 s3, s14, 5
	v_cmp_gt_i32_e64 s2, s2, v1
	s_ashr_i32 s10, s3, 31
	s_delay_alu instid0(VALU_DEP_1) | instskip(NEXT) | instid1(SALU_CYCLE_1)
	s_and_b32 s2, vcc_lo, s2
	s_and_saveexec_b32 s11, s2
	s_cbranch_execz .LBB156_5
; %bb.4:
	v_mad_u64_u32 v[5:6], null, v1, s28, 0
	s_lshl_b64 s[14:15], s[30:31], 3
	s_mul_i32 s18, s3, s29
	s_mul_hi_u32 s19, s3, s28
	s_waitcnt lgkmcnt(0)
	s_add_u32 s16, s16, s14
	s_mul_i32 s20, s10, s28
	s_addc_u32 s17, s17, s15
	v_mad_u64_u32 v[7:8], null, v1, s29, v[6:7]
	s_add_i32 s15, s19, s18
	s_mul_i32 s14, s3, s28
	s_add_i32 s15, s15, s20
	s_delay_alu instid0(SALU_CYCLE_1) | instskip(NEXT) | instid1(SALU_CYCLE_1)
	s_lshl_b64 s[14:15], s[14:15], 3
	s_add_u32 s14, s16, s14
	s_delay_alu instid0(VALU_DEP_1) | instskip(SKIP_1) | instid1(VALU_DEP_1)
	v_dual_mov_b32 v6, v7 :: v_dual_add_nc_u32 v7, 0x2000, v3
	s_addc_u32 s15, s17, s15
	v_lshlrev_b64 v[5:6], 3, v[5:6]
	s_delay_alu instid0(VALU_DEP_1) | instskip(NEXT) | instid1(VALU_DEP_2)
	v_add_co_u32 v5, vcc_lo, s14, v5
	v_add_co_ci_u32_e32 v6, vcc_lo, s15, v6, vcc_lo
	s_delay_alu instid0(VALU_DEP_2) | instskip(NEXT) | instid1(VALU_DEP_2)
	v_add_co_u32 v5, vcc_lo, v5, v0
	v_add_co_ci_u32_e32 v6, vcc_lo, 0, v6, vcc_lo
	global_load_b64 v[5:6], v[5:6], off
	s_waitcnt vmcnt(0)
	ds_store_b64 v7, v[5:6]
.LBB156_5:
	s_or_b32 exec_lo, exec_lo, s11
	v_cmp_eq_u32_e32 vcc_lo, v1, v4
	s_cmpk_eq_i32 s9, 0x84
	s_cselect_b32 s9, -1, 0
	s_delay_alu instid0(SALU_CYCLE_1) | instskip(NEXT) | instid1(SALU_CYCLE_1)
	s_and_b32 s11, vcc_lo, s9
	s_and_saveexec_b32 s9, s11
	s_cbranch_execz .LBB156_7
; %bb.6:
	v_dual_mov_b32 v5, 0 :: v_dual_mov_b32 v6, 0x3ff00000
	ds_store_b64 v3, v[5:6]
.LBB156_7:
	s_or_b32 exec_lo, exec_lo, s9
	s_cmpk_lg_i32 s8, 0x79
	s_cbranch_scc0 .LBB156_9
; %bb.8:
	v_cmp_lt_u32_e32 vcc_lo, v4, v1
	s_and_b32 s8, vcc_lo, exec_lo
	s_cbranch_execz .LBB156_10
	s_branch .LBB156_11
.LBB156_9:
	s_mov_b32 s8, 0
.LBB156_10:
	v_cmp_gt_u32_e32 vcc_lo, v4, v1
	s_and_not1_b32 s8, s8, exec_lo
	s_and_b32 s9, vcc_lo, exec_lo
	s_delay_alu instid0(SALU_CYCLE_1)
	s_or_b32 s8, s8, s9
.LBB156_11:
	s_delay_alu instid0(SALU_CYCLE_1)
	s_and_saveexec_b32 s9, s8
	s_cbranch_execz .LBB156_13
; %bb.12:
	v_mov_b32_e32 v4, 0
	s_delay_alu instid0(VALU_DEP_1)
	v_mov_b32_e32 v5, v4
	ds_store_b64 v3, v[4:5]
.LBB156_13:
	s_or_b32 exec_lo, exec_lo, s9
	s_waitcnt lgkmcnt(0)
	s_barrier
	buffer_gl0_inv
	s_and_saveexec_b32 s8, s2
	s_cbranch_execz .LBB156_15
; %bb.14:
	v_lshlrev_b32_e32 v16, 3, v2
	v_add_nc_u32_e32 v17, 0x800, v0
	s_load_b64 s[0:1], s[0:1], 0x60
	s_mul_i32 s10, s10, s6
	ds_load_2addr_b64 v[2:5], v0 offset1:32
	ds_load_b128 v[6:9], v16 offset:8192
	ds_load_b128 v[10:13], v16 offset:8208
	s_waitcnt lgkmcnt(0)
	s_lshl_b64 s[0:1], s[0:1], 3
	v_fma_f64 v[2:3], v[2:3], v[6:7], 0
	s_add_u32 s2, s4, s0
	s_mul_i32 s0, s3, s7
	s_mul_hi_u32 s4, s3, s6
	s_addc_u32 s5, s5, s1
	s_add_i32 s0, s4, s0
	s_delay_alu instid0(SALU_CYCLE_1) | instskip(SKIP_1) | instid1(SALU_CYCLE_1)
	s_add_i32 s1, s0, s10
	s_mul_i32 s0, s3, s6
	s_lshl_b64 s[0:1], s[0:1], 3
	s_delay_alu instid0(SALU_CYCLE_1) | instskip(SKIP_1) | instid1(VALU_DEP_1)
	s_add_u32 s0, s2, s0
	s_addc_u32 s1, s5, s1
	v_fma_f64 v[6:7], v[4:5], v[8:9], v[2:3]
	ds_load_2addr_b64 v[2:5], v0 offset0:64 offset1:96
	s_waitcnt lgkmcnt(0)
	v_fma_f64 v[2:3], v[2:3], v[10:11], v[6:7]
	s_delay_alu instid0(VALU_DEP_1)
	v_fma_f64 v[14:15], v[4:5], v[12:13], v[2:3]
	ds_load_2addr_b64 v[2:5], v0 offset0:128 offset1:160
	ds_load_b128 v[6:9], v16 offset:8224
	ds_load_b128 v[10:13], v16 offset:8240
	s_waitcnt lgkmcnt(1)
	v_fma_f64 v[2:3], v[2:3], v[6:7], v[14:15]
	s_delay_alu instid0(VALU_DEP_1) | instskip(SKIP_3) | instid1(VALU_DEP_1)
	v_fma_f64 v[6:7], v[4:5], v[8:9], v[2:3]
	ds_load_2addr_b64 v[2:5], v0 offset0:192 offset1:224
	s_waitcnt lgkmcnt(0)
	v_fma_f64 v[2:3], v[2:3], v[10:11], v[6:7]
	v_fma_f64 v[14:15], v[4:5], v[12:13], v[2:3]
	ds_load_2addr_b64 v[2:5], v17 offset1:32
	ds_load_b128 v[6:9], v16 offset:8256
	ds_load_b128 v[10:13], v16 offset:8272
	s_waitcnt lgkmcnt(1)
	v_fma_f64 v[2:3], v[2:3], v[6:7], v[14:15]
	s_delay_alu instid0(VALU_DEP_1) | instskip(SKIP_3) | instid1(VALU_DEP_1)
	v_fma_f64 v[6:7], v[4:5], v[8:9], v[2:3]
	ds_load_2addr_b64 v[2:5], v17 offset0:64 offset1:96
	s_waitcnt lgkmcnt(0)
	v_fma_f64 v[2:3], v[2:3], v[10:11], v[6:7]
	v_fma_f64 v[14:15], v[4:5], v[12:13], v[2:3]
	ds_load_2addr_b64 v[2:5], v17 offset0:128 offset1:160
	ds_load_b128 v[6:9], v16 offset:8288
	ds_load_b128 v[10:13], v16 offset:8304
	s_waitcnt lgkmcnt(1)
	v_fma_f64 v[2:3], v[2:3], v[6:7], v[14:15]
	s_delay_alu instid0(VALU_DEP_1) | instskip(SKIP_4) | instid1(VALU_DEP_1)
	v_fma_f64 v[6:7], v[4:5], v[8:9], v[2:3]
	ds_load_2addr_b64 v[2:5], v17 offset0:192 offset1:224
	v_add_nc_u32_e32 v17, 0x1000, v0
	s_waitcnt lgkmcnt(0)
	v_fma_f64 v[2:3], v[2:3], v[10:11], v[6:7]
	v_fma_f64 v[14:15], v[4:5], v[12:13], v[2:3]
	ds_load_2addr_b64 v[2:5], v17 offset1:32
	ds_load_b128 v[6:9], v16 offset:8320
	ds_load_b128 v[10:13], v16 offset:8336
	s_waitcnt lgkmcnt(1)
	v_fma_f64 v[2:3], v[2:3], v[6:7], v[14:15]
	s_delay_alu instid0(VALU_DEP_1) | instskip(SKIP_3) | instid1(VALU_DEP_1)
	v_fma_f64 v[6:7], v[4:5], v[8:9], v[2:3]
	ds_load_2addr_b64 v[2:5], v17 offset0:64 offset1:96
	s_waitcnt lgkmcnt(0)
	v_fma_f64 v[2:3], v[2:3], v[10:11], v[6:7]
	v_fma_f64 v[14:15], v[4:5], v[12:13], v[2:3]
	ds_load_2addr_b64 v[2:5], v17 offset0:128 offset1:160
	ds_load_b128 v[6:9], v16 offset:8352
	ds_load_b128 v[10:13], v16 offset:8368
	s_waitcnt lgkmcnt(1)
	v_fma_f64 v[2:3], v[2:3], v[6:7], v[14:15]
	s_delay_alu instid0(VALU_DEP_1) | instskip(SKIP_4) | instid1(VALU_DEP_1)
	v_fma_f64 v[6:7], v[4:5], v[8:9], v[2:3]
	ds_load_2addr_b64 v[2:5], v17 offset0:192 offset1:224
	v_add_nc_u32_e32 v17, 0x1800, v0
	s_waitcnt lgkmcnt(0)
	v_fma_f64 v[2:3], v[2:3], v[10:11], v[6:7]
	v_fma_f64 v[14:15], v[4:5], v[12:13], v[2:3]
	ds_load_2addr_b64 v[2:5], v17 offset1:32
	ds_load_b128 v[6:9], v16 offset:8384
	ds_load_b128 v[10:13], v16 offset:8400
	s_waitcnt lgkmcnt(1)
	v_fma_f64 v[2:3], v[2:3], v[6:7], v[14:15]
	s_delay_alu instid0(VALU_DEP_1) | instskip(SKIP_3) | instid1(VALU_DEP_1)
	v_fma_f64 v[6:7], v[4:5], v[8:9], v[2:3]
	ds_load_2addr_b64 v[2:5], v17 offset0:64 offset1:96
	s_waitcnt lgkmcnt(0)
	v_fma_f64 v[2:3], v[2:3], v[10:11], v[6:7]
	v_fma_f64 v[14:15], v[4:5], v[12:13], v[2:3]
	ds_load_2addr_b64 v[2:5], v17 offset0:128 offset1:160
	ds_load_b128 v[6:9], v16 offset:8416
	ds_load_b128 v[10:13], v16 offset:8432
	s_waitcnt lgkmcnt(1)
	v_fma_f64 v[2:3], v[2:3], v[6:7], v[14:15]
	s_delay_alu instid0(VALU_DEP_1) | instskip(SKIP_3) | instid1(VALU_DEP_1)
	v_fma_f64 v[6:7], v[4:5], v[8:9], v[2:3]
	ds_load_2addr_b64 v[2:5], v17 offset0:192 offset1:224
	s_waitcnt lgkmcnt(0)
	v_fma_f64 v[2:3], v[2:3], v[10:11], v[6:7]
	v_fma_f64 v[2:3], v[4:5], v[12:13], v[2:3]
	v_mad_u64_u32 v[4:5], null, v1, s6, 0
	s_delay_alu instid0(VALU_DEP_1) | instskip(NEXT) | instid1(VALU_DEP_1)
	v_mad_u64_u32 v[6:7], null, v1, s7, v[5:6]
	v_mov_b32_e32 v5, v6
	s_delay_alu instid0(VALU_DEP_1) | instskip(NEXT) | instid1(VALU_DEP_1)
	v_lshlrev_b64 v[4:5], 3, v[4:5]
	v_add_co_u32 v1, vcc_lo, s0, v4
	s_delay_alu instid0(VALU_DEP_2) | instskip(NEXT) | instid1(VALU_DEP_2)
	v_add_co_ci_u32_e32 v4, vcc_lo, s1, v5, vcc_lo
	v_add_co_u32 v0, vcc_lo, v1, v0
	s_delay_alu instid0(VALU_DEP_2)
	v_add_co_ci_u32_e32 v1, vcc_lo, 0, v4, vcc_lo
	v_mul_f64 v[2:3], s[12:13], v[2:3]
	global_store_b64 v[0:1], v[2:3], off
.LBB156_15:
	s_nop 0
	s_sendmsg sendmsg(MSG_DEALLOC_VGPRS)
	s_endpgm
	.section	.rodata,"a",@progbits
	.p2align	6, 0x0
	.amdhsa_kernel _ZL23rocblas_trmm_lNx_kernelILi32EdPKdKS1_KPdEv13rocblas_fill_17rocblas_diagonal_iiT1_lPT2_llS9_llPT3_lli
		.amdhsa_group_segment_fixed_size 16384
		.amdhsa_private_segment_fixed_size 0
		.amdhsa_kernarg_size 108
		.amdhsa_user_sgpr_count 14
		.amdhsa_user_sgpr_dispatch_ptr 0
		.amdhsa_user_sgpr_queue_ptr 0
		.amdhsa_user_sgpr_kernarg_segment_ptr 1
		.amdhsa_user_sgpr_dispatch_id 0
		.amdhsa_user_sgpr_private_segment_size 0
		.amdhsa_wavefront_size32 1
		.amdhsa_uses_dynamic_stack 0
		.amdhsa_enable_private_segment 0
		.amdhsa_system_sgpr_workgroup_id_x 1
		.amdhsa_system_sgpr_workgroup_id_y 0
		.amdhsa_system_sgpr_workgroup_id_z 1
		.amdhsa_system_sgpr_workgroup_info 0
		.amdhsa_system_vgpr_workitem_id 1
		.amdhsa_next_free_vgpr 18
		.amdhsa_next_free_sgpr 36
		.amdhsa_reserve_vcc 1
		.amdhsa_float_round_mode_32 0
		.amdhsa_float_round_mode_16_64 0
		.amdhsa_float_denorm_mode_32 3
		.amdhsa_float_denorm_mode_16_64 3
		.amdhsa_dx10_clamp 1
		.amdhsa_ieee_mode 1
		.amdhsa_fp16_overflow 0
		.amdhsa_workgroup_processor_mode 1
		.amdhsa_memory_ordered 1
		.amdhsa_forward_progress 0
		.amdhsa_shared_vgpr_count 0
		.amdhsa_exception_fp_ieee_invalid_op 0
		.amdhsa_exception_fp_denorm_src 0
		.amdhsa_exception_fp_ieee_div_zero 0
		.amdhsa_exception_fp_ieee_overflow 0
		.amdhsa_exception_fp_ieee_underflow 0
		.amdhsa_exception_fp_ieee_inexact 0
		.amdhsa_exception_int_div_zero 0
	.end_amdhsa_kernel
	.section	.text._ZL23rocblas_trmm_lNx_kernelILi32EdPKdKS1_KPdEv13rocblas_fill_17rocblas_diagonal_iiT1_lPT2_llS9_llPT3_lli,"axG",@progbits,_ZL23rocblas_trmm_lNx_kernelILi32EdPKdKS1_KPdEv13rocblas_fill_17rocblas_diagonal_iiT1_lPT2_llS9_llPT3_lli,comdat
.Lfunc_end156:
	.size	_ZL23rocblas_trmm_lNx_kernelILi32EdPKdKS1_KPdEv13rocblas_fill_17rocblas_diagonal_iiT1_lPT2_llS9_llPT3_lli, .Lfunc_end156-_ZL23rocblas_trmm_lNx_kernelILi32EdPKdKS1_KPdEv13rocblas_fill_17rocblas_diagonal_iiT1_lPT2_llS9_llPT3_lli
                                        ; -- End function
	.section	.AMDGPU.csdata,"",@progbits
; Kernel info:
; codeLenInByte = 1548
; NumSgprs: 38
; NumVgprs: 18
; ScratchSize: 0
; MemoryBound: 0
; FloatMode: 240
; IeeeMode: 1
; LDSByteSize: 16384 bytes/workgroup (compile time only)
; SGPRBlocks: 4
; VGPRBlocks: 2
; NumSGPRsForWavesPerEU: 38
; NumVGPRsForWavesPerEU: 18
; Occupancy: 16
; WaveLimiterHint : 1
; COMPUTE_PGM_RSRC2:SCRATCH_EN: 0
; COMPUTE_PGM_RSRC2:USER_SGPR: 14
; COMPUTE_PGM_RSRC2:TRAP_HANDLER: 0
; COMPUTE_PGM_RSRC2:TGID_X_EN: 1
; COMPUTE_PGM_RSRC2:TGID_Y_EN: 0
; COMPUTE_PGM_RSRC2:TGID_Z_EN: 1
; COMPUTE_PGM_RSRC2:TIDIG_COMP_CNT: 1
	.section	.text._ZL23rocblas_trmm_lNx_kernelILi32EddKPKdKPdEv13rocblas_fill_17rocblas_diagonal_iiT1_lPT2_llS9_llPT3_lli,"axG",@progbits,_ZL23rocblas_trmm_lNx_kernelILi32EddKPKdKPdEv13rocblas_fill_17rocblas_diagonal_iiT1_lPT2_llS9_llPT3_lli,comdat
	.globl	_ZL23rocblas_trmm_lNx_kernelILi32EddKPKdKPdEv13rocblas_fill_17rocblas_diagonal_iiT1_lPT2_llS9_llPT3_lli ; -- Begin function _ZL23rocblas_trmm_lNx_kernelILi32EddKPKdKPdEv13rocblas_fill_17rocblas_diagonal_iiT1_lPT2_llS9_llPT3_lli
	.p2align	8
	.type	_ZL23rocblas_trmm_lNx_kernelILi32EddKPKdKPdEv13rocblas_fill_17rocblas_diagonal_iiT1_lPT2_llS9_llPT3_lli,@function
_ZL23rocblas_trmm_lNx_kernelILi32EddKPKdKPdEv13rocblas_fill_17rocblas_diagonal_iiT1_lPT2_llS9_llPT3_lli: ; @_ZL23rocblas_trmm_lNx_kernelILi32EddKPKdKPdEv13rocblas_fill_17rocblas_diagonal_iiT1_lPT2_llS9_llPT3_lli
; %bb.0:
	s_load_b64 s[8:9], s[0:1], 0x10
	s_waitcnt lgkmcnt(0)
	v_cmp_eq_f64_e64 s2, s[8:9], 0
	s_delay_alu instid0(VALU_DEP_1)
	s_and_b32 vcc_lo, exec_lo, s2
	s_cbranch_vccnz .LBB157_15
; %bb.1:
	s_load_b512 s[16:31], s[0:1], 0x20
	s_mov_b32 s36, s15
	s_mov_b32 s37, 0
	s_load_b128 s[4:7], s[0:1], 0x0
	s_lshl_b64 s[34:35], s[36:37], 3
	v_bfe_u32 v1, v0, 10, 10
	s_mov_b32 s36, s37
	s_delay_alu instid0(SALU_CYCLE_1) | instskip(SKIP_1) | instid1(VALU_DEP_3)
	v_dual_mov_b32 v5, s36 :: v_dual_and_b32 v4, 0x3ff, v0
	v_mov_b32_e32 v6, s37
	v_lshlrev_b32_e32 v2, 5, v1
	s_delay_alu instid0(VALU_DEP_3) | instskip(NEXT) | instid1(VALU_DEP_2)
	v_lshlrev_b32_e32 v0, 3, v4
	v_add_lshl_u32 v3, v2, v4, 3
	s_waitcnt lgkmcnt(0)
	s_add_u32 s2, s22, s34
	s_addc_u32 s3, s23, s35
	s_add_u32 s10, s28, s34
	s_addc_u32 s11, s29, s35
	s_load_b64 s[12:13], s[2:3], 0x0
	s_load_b64 s[10:11], s[10:11], 0x0
	v_cmp_gt_i32_e64 s2, s6, v1
	v_cmp_gt_i32_e32 vcc_lo, s6, v4
	ds_store_2addr_stride64_b64 v3, v[5:6], v[5:6] offset1:16
	s_and_b32 s2, s2, vcc_lo
	s_delay_alu instid0(SALU_CYCLE_1)
	s_and_saveexec_b32 s3, s2
	s_cbranch_execz .LBB157_3
; %bb.2:
	v_mad_u64_u32 v[5:6], null, v1, s18, 0
	s_add_u32 s16, s16, s34
	s_addc_u32 s17, s17, s35
	s_load_b64 s[16:17], s[16:17], 0x0
	s_delay_alu instid0(VALU_DEP_1) | instskip(SKIP_1) | instid1(VALU_DEP_1)
	v_mad_u64_u32 v[7:8], null, v1, s19, v[6:7]
	s_lshl_b64 s[18:19], s[20:21], 3
	v_mov_b32_e32 v6, v7
	s_delay_alu instid0(VALU_DEP_1) | instskip(SKIP_3) | instid1(VALU_DEP_1)
	v_lshlrev_b64 v[5:6], 3, v[5:6]
	s_waitcnt lgkmcnt(0)
	s_add_u32 s2, s16, s18
	s_addc_u32 s6, s17, s19
	v_add_co_u32 v5, s2, s2, v5
	s_delay_alu instid0(VALU_DEP_1) | instskip(NEXT) | instid1(VALU_DEP_2)
	v_add_co_ci_u32_e64 v6, s2, s6, v6, s2
	v_add_co_u32 v5, s2, v5, v0
	s_delay_alu instid0(VALU_DEP_1)
	v_add_co_ci_u32_e64 v6, s2, 0, v6, s2
	global_load_b64 v[5:6], v[5:6], off
	s_waitcnt vmcnt(0)
	ds_store_b64 v3, v[5:6]
.LBB157_3:
	s_or_b32 exec_lo, exec_lo, s3
	s_add_i32 s2, s7, -1
	s_delay_alu instid0(SALU_CYCLE_1) | instskip(NEXT) | instid1(SALU_CYCLE_1)
	s_ashr_i32 s3, s2, 31
	s_lshr_b32 s3, s3, 27
	s_delay_alu instid0(SALU_CYCLE_1) | instskip(NEXT) | instid1(SALU_CYCLE_1)
	s_add_i32 s2, s2, s3
	s_and_b32 s3, s2, 0xffffffe0
	s_ashr_i32 s2, s2, 5
	s_sub_i32 s3, s7, s3
	s_cmp_ge_i32 s14, s2
	s_cselect_b32 s2, s3, 32
	s_lshl_b32 s3, s14, 5
	v_cmp_gt_i32_e64 s2, s2, v1
	s_ashr_i32 s6, s3, 31
	s_delay_alu instid0(VALU_DEP_1) | instskip(NEXT) | instid1(SALU_CYCLE_1)
	s_and_b32 s2, vcc_lo, s2
	s_and_saveexec_b32 s7, s2
	s_cbranch_execz .LBB157_5
; %bb.4:
	v_mad_u64_u32 v[5:6], null, v1, s24, 0
	s_lshl_b64 s[14:15], s[26:27], 3
	s_mul_i32 s16, s3, s25
	s_mul_hi_u32 s17, s3, s24
	s_waitcnt lgkmcnt(0)
	s_add_u32 s14, s12, s14
	s_mul_i32 s18, s6, s24
	s_addc_u32 s15, s13, s15
	v_mad_u64_u32 v[7:8], null, v1, s25, v[6:7]
	s_add_i32 s13, s17, s16
	s_mul_i32 s12, s3, s24
	s_add_i32 s13, s13, s18
	s_delay_alu instid0(SALU_CYCLE_1) | instskip(NEXT) | instid1(SALU_CYCLE_1)
	s_lshl_b64 s[12:13], s[12:13], 3
	s_add_u32 s12, s14, s12
	s_delay_alu instid0(VALU_DEP_1) | instskip(SKIP_1) | instid1(VALU_DEP_1)
	v_dual_mov_b32 v6, v7 :: v_dual_add_nc_u32 v7, 0x2000, v3
	s_addc_u32 s13, s15, s13
	v_lshlrev_b64 v[5:6], 3, v[5:6]
	s_delay_alu instid0(VALU_DEP_1) | instskip(NEXT) | instid1(VALU_DEP_2)
	v_add_co_u32 v5, vcc_lo, s12, v5
	v_add_co_ci_u32_e32 v6, vcc_lo, s13, v6, vcc_lo
	s_delay_alu instid0(VALU_DEP_2) | instskip(NEXT) | instid1(VALU_DEP_2)
	v_add_co_u32 v5, vcc_lo, v5, v0
	v_add_co_ci_u32_e32 v6, vcc_lo, 0, v6, vcc_lo
	global_load_b64 v[5:6], v[5:6], off
	s_waitcnt vmcnt(0)
	ds_store_b64 v7, v[5:6]
.LBB157_5:
	s_or_b32 exec_lo, exec_lo, s7
	v_cmp_eq_u32_e32 vcc_lo, v1, v4
	s_cmpk_eq_i32 s5, 0x84
	s_cselect_b32 s5, -1, 0
	s_delay_alu instid0(SALU_CYCLE_1) | instskip(NEXT) | instid1(SALU_CYCLE_1)
	s_and_b32 s7, vcc_lo, s5
	s_and_saveexec_b32 s5, s7
	s_cbranch_execz .LBB157_7
; %bb.6:
	v_dual_mov_b32 v5, 0 :: v_dual_mov_b32 v6, 0x3ff00000
	ds_store_b64 v3, v[5:6]
.LBB157_7:
	s_or_b32 exec_lo, exec_lo, s5
	s_cmpk_lg_i32 s4, 0x79
	s_cbranch_scc0 .LBB157_9
; %bb.8:
	v_cmp_lt_u32_e32 vcc_lo, v4, v1
	s_and_b32 s4, vcc_lo, exec_lo
	s_cbranch_execz .LBB157_10
	s_branch .LBB157_11
.LBB157_9:
	s_mov_b32 s4, 0
.LBB157_10:
	v_cmp_gt_u32_e32 vcc_lo, v4, v1
	s_and_not1_b32 s4, s4, exec_lo
	s_and_b32 s5, vcc_lo, exec_lo
	s_delay_alu instid0(SALU_CYCLE_1)
	s_or_b32 s4, s4, s5
.LBB157_11:
	s_delay_alu instid0(SALU_CYCLE_1)
	s_and_saveexec_b32 s5, s4
	s_cbranch_execz .LBB157_13
; %bb.12:
	v_mov_b32_e32 v4, 0
	s_delay_alu instid0(VALU_DEP_1)
	v_mov_b32_e32 v5, v4
	ds_store_b64 v3, v[4:5]
.LBB157_13:
	s_or_b32 exec_lo, exec_lo, s5
	s_waitcnt lgkmcnt(0)
	s_barrier
	buffer_gl0_inv
	s_and_saveexec_b32 s4, s2
	s_cbranch_execz .LBB157_15
; %bb.14:
	v_lshlrev_b32_e32 v16, 3, v2
	v_add_nc_u32_e32 v17, 0x800, v0
	s_load_b64 s[0:1], s[0:1], 0x60
	s_mul_hi_u32 s4, s3, s30
	ds_load_2addr_b64 v[2:5], v0 offset1:32
	ds_load_b128 v[6:9], v16 offset:8192
	ds_load_b128 v[10:13], v16 offset:8208
	s_mul_i32 s6, s6, s30
	s_waitcnt lgkmcnt(0)
	s_lshl_b64 s[0:1], s[0:1], 3
	v_fma_f64 v[2:3], v[2:3], v[6:7], 0
	s_add_u32 s2, s10, s0
	s_mul_i32 s0, s3, s31
	s_addc_u32 s5, s11, s1
	s_add_i32 s0, s4, s0
	s_delay_alu instid0(SALU_CYCLE_1) | instskip(SKIP_1) | instid1(SALU_CYCLE_1)
	s_add_i32 s1, s0, s6
	s_mul_i32 s0, s3, s30
	s_lshl_b64 s[0:1], s[0:1], 3
	s_delay_alu instid0(SALU_CYCLE_1) | instskip(SKIP_1) | instid1(VALU_DEP_1)
	s_add_u32 s0, s2, s0
	s_addc_u32 s1, s5, s1
	v_fma_f64 v[6:7], v[4:5], v[8:9], v[2:3]
	ds_load_2addr_b64 v[2:5], v0 offset0:64 offset1:96
	s_waitcnt lgkmcnt(0)
	v_fma_f64 v[2:3], v[2:3], v[10:11], v[6:7]
	s_delay_alu instid0(VALU_DEP_1)
	v_fma_f64 v[14:15], v[4:5], v[12:13], v[2:3]
	ds_load_2addr_b64 v[2:5], v0 offset0:128 offset1:160
	ds_load_b128 v[6:9], v16 offset:8224
	ds_load_b128 v[10:13], v16 offset:8240
	s_waitcnt lgkmcnt(1)
	v_fma_f64 v[2:3], v[2:3], v[6:7], v[14:15]
	s_delay_alu instid0(VALU_DEP_1) | instskip(SKIP_3) | instid1(VALU_DEP_1)
	v_fma_f64 v[6:7], v[4:5], v[8:9], v[2:3]
	ds_load_2addr_b64 v[2:5], v0 offset0:192 offset1:224
	s_waitcnt lgkmcnt(0)
	v_fma_f64 v[2:3], v[2:3], v[10:11], v[6:7]
	v_fma_f64 v[14:15], v[4:5], v[12:13], v[2:3]
	ds_load_2addr_b64 v[2:5], v17 offset1:32
	ds_load_b128 v[6:9], v16 offset:8256
	ds_load_b128 v[10:13], v16 offset:8272
	s_waitcnt lgkmcnt(1)
	v_fma_f64 v[2:3], v[2:3], v[6:7], v[14:15]
	s_delay_alu instid0(VALU_DEP_1) | instskip(SKIP_3) | instid1(VALU_DEP_1)
	v_fma_f64 v[6:7], v[4:5], v[8:9], v[2:3]
	ds_load_2addr_b64 v[2:5], v17 offset0:64 offset1:96
	s_waitcnt lgkmcnt(0)
	v_fma_f64 v[2:3], v[2:3], v[10:11], v[6:7]
	v_fma_f64 v[14:15], v[4:5], v[12:13], v[2:3]
	ds_load_2addr_b64 v[2:5], v17 offset0:128 offset1:160
	ds_load_b128 v[6:9], v16 offset:8288
	ds_load_b128 v[10:13], v16 offset:8304
	s_waitcnt lgkmcnt(1)
	v_fma_f64 v[2:3], v[2:3], v[6:7], v[14:15]
	s_delay_alu instid0(VALU_DEP_1) | instskip(SKIP_4) | instid1(VALU_DEP_1)
	v_fma_f64 v[6:7], v[4:5], v[8:9], v[2:3]
	ds_load_2addr_b64 v[2:5], v17 offset0:192 offset1:224
	v_add_nc_u32_e32 v17, 0x1000, v0
	s_waitcnt lgkmcnt(0)
	v_fma_f64 v[2:3], v[2:3], v[10:11], v[6:7]
	v_fma_f64 v[14:15], v[4:5], v[12:13], v[2:3]
	ds_load_2addr_b64 v[2:5], v17 offset1:32
	ds_load_b128 v[6:9], v16 offset:8320
	ds_load_b128 v[10:13], v16 offset:8336
	s_waitcnt lgkmcnt(1)
	v_fma_f64 v[2:3], v[2:3], v[6:7], v[14:15]
	s_delay_alu instid0(VALU_DEP_1) | instskip(SKIP_3) | instid1(VALU_DEP_1)
	v_fma_f64 v[6:7], v[4:5], v[8:9], v[2:3]
	ds_load_2addr_b64 v[2:5], v17 offset0:64 offset1:96
	s_waitcnt lgkmcnt(0)
	v_fma_f64 v[2:3], v[2:3], v[10:11], v[6:7]
	v_fma_f64 v[14:15], v[4:5], v[12:13], v[2:3]
	ds_load_2addr_b64 v[2:5], v17 offset0:128 offset1:160
	ds_load_b128 v[6:9], v16 offset:8352
	ds_load_b128 v[10:13], v16 offset:8368
	s_waitcnt lgkmcnt(1)
	v_fma_f64 v[2:3], v[2:3], v[6:7], v[14:15]
	s_delay_alu instid0(VALU_DEP_1) | instskip(SKIP_4) | instid1(VALU_DEP_1)
	v_fma_f64 v[6:7], v[4:5], v[8:9], v[2:3]
	ds_load_2addr_b64 v[2:5], v17 offset0:192 offset1:224
	v_add_nc_u32_e32 v17, 0x1800, v0
	s_waitcnt lgkmcnt(0)
	v_fma_f64 v[2:3], v[2:3], v[10:11], v[6:7]
	v_fma_f64 v[14:15], v[4:5], v[12:13], v[2:3]
	ds_load_2addr_b64 v[2:5], v17 offset1:32
	ds_load_b128 v[6:9], v16 offset:8384
	ds_load_b128 v[10:13], v16 offset:8400
	s_waitcnt lgkmcnt(1)
	v_fma_f64 v[2:3], v[2:3], v[6:7], v[14:15]
	s_delay_alu instid0(VALU_DEP_1) | instskip(SKIP_3) | instid1(VALU_DEP_1)
	v_fma_f64 v[6:7], v[4:5], v[8:9], v[2:3]
	ds_load_2addr_b64 v[2:5], v17 offset0:64 offset1:96
	s_waitcnt lgkmcnt(0)
	v_fma_f64 v[2:3], v[2:3], v[10:11], v[6:7]
	v_fma_f64 v[14:15], v[4:5], v[12:13], v[2:3]
	ds_load_2addr_b64 v[2:5], v17 offset0:128 offset1:160
	ds_load_b128 v[6:9], v16 offset:8416
	ds_load_b128 v[10:13], v16 offset:8432
	s_waitcnt lgkmcnt(1)
	v_fma_f64 v[2:3], v[2:3], v[6:7], v[14:15]
	s_delay_alu instid0(VALU_DEP_1) | instskip(SKIP_3) | instid1(VALU_DEP_1)
	v_fma_f64 v[6:7], v[4:5], v[8:9], v[2:3]
	ds_load_2addr_b64 v[2:5], v17 offset0:192 offset1:224
	s_waitcnt lgkmcnt(0)
	v_fma_f64 v[2:3], v[2:3], v[10:11], v[6:7]
	v_fma_f64 v[2:3], v[4:5], v[12:13], v[2:3]
	v_mad_u64_u32 v[4:5], null, v1, s30, 0
	s_delay_alu instid0(VALU_DEP_1) | instskip(NEXT) | instid1(VALU_DEP_1)
	v_mad_u64_u32 v[6:7], null, v1, s31, v[5:6]
	v_mov_b32_e32 v5, v6
	s_delay_alu instid0(VALU_DEP_1) | instskip(NEXT) | instid1(VALU_DEP_1)
	v_lshlrev_b64 v[4:5], 3, v[4:5]
	v_add_co_u32 v1, vcc_lo, s0, v4
	s_delay_alu instid0(VALU_DEP_2) | instskip(NEXT) | instid1(VALU_DEP_2)
	v_add_co_ci_u32_e32 v4, vcc_lo, s1, v5, vcc_lo
	v_add_co_u32 v0, vcc_lo, v1, v0
	s_delay_alu instid0(VALU_DEP_2)
	v_add_co_ci_u32_e32 v1, vcc_lo, 0, v4, vcc_lo
	v_mul_f64 v[2:3], v[2:3], s[8:9]
	global_store_b64 v[0:1], v[2:3], off
.LBB157_15:
	s_nop 0
	s_sendmsg sendmsg(MSG_DEALLOC_VGPRS)
	s_endpgm
	.section	.rodata,"a",@progbits
	.p2align	6, 0x0
	.amdhsa_kernel _ZL23rocblas_trmm_lNx_kernelILi32EddKPKdKPdEv13rocblas_fill_17rocblas_diagonal_iiT1_lPT2_llS9_llPT3_lli
		.amdhsa_group_segment_fixed_size 16384
		.amdhsa_private_segment_fixed_size 0
		.amdhsa_kernarg_size 108
		.amdhsa_user_sgpr_count 14
		.amdhsa_user_sgpr_dispatch_ptr 0
		.amdhsa_user_sgpr_queue_ptr 0
		.amdhsa_user_sgpr_kernarg_segment_ptr 1
		.amdhsa_user_sgpr_dispatch_id 0
		.amdhsa_user_sgpr_private_segment_size 0
		.amdhsa_wavefront_size32 1
		.amdhsa_uses_dynamic_stack 0
		.amdhsa_enable_private_segment 0
		.amdhsa_system_sgpr_workgroup_id_x 1
		.amdhsa_system_sgpr_workgroup_id_y 0
		.amdhsa_system_sgpr_workgroup_id_z 1
		.amdhsa_system_sgpr_workgroup_info 0
		.amdhsa_system_vgpr_workitem_id 1
		.amdhsa_next_free_vgpr 18
		.amdhsa_next_free_sgpr 38
		.amdhsa_reserve_vcc 1
		.amdhsa_float_round_mode_32 0
		.amdhsa_float_round_mode_16_64 0
		.amdhsa_float_denorm_mode_32 3
		.amdhsa_float_denorm_mode_16_64 3
		.amdhsa_dx10_clamp 1
		.amdhsa_ieee_mode 1
		.amdhsa_fp16_overflow 0
		.amdhsa_workgroup_processor_mode 1
		.amdhsa_memory_ordered 1
		.amdhsa_forward_progress 0
		.amdhsa_shared_vgpr_count 0
		.amdhsa_exception_fp_ieee_invalid_op 0
		.amdhsa_exception_fp_denorm_src 0
		.amdhsa_exception_fp_ieee_div_zero 0
		.amdhsa_exception_fp_ieee_overflow 0
		.amdhsa_exception_fp_ieee_underflow 0
		.amdhsa_exception_fp_ieee_inexact 0
		.amdhsa_exception_int_div_zero 0
	.end_amdhsa_kernel
	.section	.text._ZL23rocblas_trmm_lNx_kernelILi32EddKPKdKPdEv13rocblas_fill_17rocblas_diagonal_iiT1_lPT2_llS9_llPT3_lli,"axG",@progbits,_ZL23rocblas_trmm_lNx_kernelILi32EddKPKdKPdEv13rocblas_fill_17rocblas_diagonal_iiT1_lPT2_llS9_llPT3_lli,comdat
.Lfunc_end157:
	.size	_ZL23rocblas_trmm_lNx_kernelILi32EddKPKdKPdEv13rocblas_fill_17rocblas_diagonal_iiT1_lPT2_llS9_llPT3_lli, .Lfunc_end157-_ZL23rocblas_trmm_lNx_kernelILi32EddKPKdKPdEv13rocblas_fill_17rocblas_diagonal_iiT1_lPT2_llS9_llPT3_lli
                                        ; -- End function
	.section	.AMDGPU.csdata,"",@progbits
; Kernel info:
; codeLenInByte = 1504
; NumSgprs: 40
; NumVgprs: 18
; ScratchSize: 0
; MemoryBound: 0
; FloatMode: 240
; IeeeMode: 1
; LDSByteSize: 16384 bytes/workgroup (compile time only)
; SGPRBlocks: 4
; VGPRBlocks: 2
; NumSGPRsForWavesPerEU: 40
; NumVGPRsForWavesPerEU: 18
; Occupancy: 16
; WaveLimiterHint : 1
; COMPUTE_PGM_RSRC2:SCRATCH_EN: 0
; COMPUTE_PGM_RSRC2:USER_SGPR: 14
; COMPUTE_PGM_RSRC2:TRAP_HANDLER: 0
; COMPUTE_PGM_RSRC2:TGID_X_EN: 1
; COMPUTE_PGM_RSRC2:TGID_Y_EN: 0
; COMPUTE_PGM_RSRC2:TGID_Z_EN: 1
; COMPUTE_PGM_RSRC2:TIDIG_COMP_CNT: 1
	.section	.text._ZL23rocblas_trmm_lTx_kernelILi32ELb0EdPKdKS1_KPdEv13rocblas_fill_17rocblas_diagonal_iiT2_lPT3_llS9_llPT4_lli,"axG",@progbits,_ZL23rocblas_trmm_lTx_kernelILi32ELb0EdPKdKS1_KPdEv13rocblas_fill_17rocblas_diagonal_iiT2_lPT3_llS9_llPT4_lli,comdat
	.globl	_ZL23rocblas_trmm_lTx_kernelILi32ELb0EdPKdKS1_KPdEv13rocblas_fill_17rocblas_diagonal_iiT2_lPT3_llS9_llPT4_lli ; -- Begin function _ZL23rocblas_trmm_lTx_kernelILi32ELb0EdPKdKS1_KPdEv13rocblas_fill_17rocblas_diagonal_iiT2_lPT3_llS9_llPT4_lli
	.p2align	8
	.type	_ZL23rocblas_trmm_lTx_kernelILi32ELb0EdPKdKS1_KPdEv13rocblas_fill_17rocblas_diagonal_iiT2_lPT3_llS9_llPT4_lli,@function
_ZL23rocblas_trmm_lTx_kernelILi32ELb0EdPKdKS1_KPdEv13rocblas_fill_17rocblas_diagonal_iiT2_lPT3_llS9_llPT4_lli: ; @_ZL23rocblas_trmm_lTx_kernelILi32ELb0EdPKdKS1_KPdEv13rocblas_fill_17rocblas_diagonal_iiT2_lPT3_llS9_llPT4_lli
; %bb.0:
	s_load_b512 s[16:31], s[0:1], 0x10
	s_waitcnt lgkmcnt(0)
	s_mul_i32 s3, s15, s19
	s_mul_hi_u32 s4, s15, s18
	s_delay_alu instid0(SALU_CYCLE_1) | instskip(SKIP_1) | instid1(SALU_CYCLE_1)
	s_add_i32 s5, s4, s3
	s_mul_i32 s4, s15, s18
	s_lshl_b64 s[4:5], s[4:5], 3
	s_delay_alu instid0(SALU_CYCLE_1) | instskip(SKIP_4) | instid1(VALU_DEP_1)
	s_add_u32 s4, s16, s4
	s_addc_u32 s5, s17, s5
	s_load_b64 s[12:13], s[4:5], 0x0
	s_waitcnt lgkmcnt(0)
	v_cmp_eq_f64_e64 s3, s[12:13], 0
	s_and_b32 vcc_lo, exec_lo, s3
	s_cbranch_vccnz .LBB158_15
; %bb.1:
	s_clause 0x1
	s_load_b128 s[4:7], s[0:1], 0x50
	s_load_b128 s[8:11], s[0:1], 0x0
	s_mov_b32 s2, s15
	s_mov_b32 s3, 0
	v_bfe_u32 v1, v0, 10, 10
	s_lshl_b64 s[16:17], s[2:3], 3
	s_mov_b32 s2, s3
	s_add_u32 s18, s20, s16
	s_addc_u32 s19, s21, s17
	s_add_u32 s20, s26, s16
	s_addc_u32 s21, s27, s17
	s_load_b64 s[18:19], s[18:19], 0x0
	v_and_b32_e32 v4, 0x3ff, v0
	v_lshlrev_b32_e32 v2, 5, v1
	v_dual_mov_b32 v6, s3 :: v_dual_mov_b32 v5, s2
	s_delay_alu instid0(VALU_DEP_3) | instskip(NEXT) | instid1(VALU_DEP_3)
	v_lshlrev_b32_e32 v0, 3, v4
	v_add_lshl_u32 v3, v2, v4, 3
	s_waitcnt lgkmcnt(0)
	s_add_u32 s4, s4, s16
	s_addc_u32 s5, s5, s17
	s_load_b64 s[16:17], s[20:21], 0x0
	s_load_b64 s[4:5], s[4:5], 0x0
	v_cmp_gt_i32_e64 s2, s10, v1
	v_cmp_gt_i32_e32 vcc_lo, s10, v4
	ds_store_2addr_stride64_b64 v3, v[5:6], v[5:6] offset1:16
	s_waitcnt lgkmcnt(0)
	s_barrier
	buffer_gl0_inv
	s_and_b32 s2, s2, vcc_lo
	s_delay_alu instid0(SALU_CYCLE_1)
	s_and_saveexec_b32 s3, s2
	s_cbranch_execz .LBB158_3
; %bb.2:
	v_mad_u64_u32 v[5:6], null, v1, s22, 0
	s_lshl_b64 s[20:21], s[24:25], 3
	s_delay_alu instid0(SALU_CYCLE_1) | instskip(SKIP_1) | instid1(VALU_DEP_1)
	s_add_u32 s2, s18, s20
	s_addc_u32 s10, s19, s21
	v_mad_u64_u32 v[7:8], null, v1, s23, v[6:7]
	s_delay_alu instid0(VALU_DEP_1) | instskip(NEXT) | instid1(VALU_DEP_1)
	v_dual_mov_b32 v6, v7 :: v_dual_lshlrev_b32 v7, 5, v4
	v_lshlrev_b64 v[5:6], 3, v[5:6]
	s_delay_alu instid0(VALU_DEP_2) | instskip(NEXT) | instid1(VALU_DEP_2)
	v_add_lshl_u32 v7, v7, v1, 3
	v_add_co_u32 v5, s2, s2, v5
	s_delay_alu instid0(VALU_DEP_1) | instskip(NEXT) | instid1(VALU_DEP_2)
	v_add_co_ci_u32_e64 v6, s2, s10, v6, s2
	v_add_co_u32 v5, s2, v5, v0
	s_delay_alu instid0(VALU_DEP_1)
	v_add_co_ci_u32_e64 v6, s2, 0, v6, s2
	global_load_b64 v[5:6], v[5:6], off
	s_waitcnt vmcnt(0)
	ds_store_b64 v7, v[5:6]
.LBB158_3:
	s_or_b32 exec_lo, exec_lo, s3
	s_add_i32 s2, s11, -1
	s_delay_alu instid0(SALU_CYCLE_1) | instskip(NEXT) | instid1(SALU_CYCLE_1)
	s_ashr_i32 s3, s2, 31
	s_lshr_b32 s3, s3, 27
	s_delay_alu instid0(SALU_CYCLE_1) | instskip(NEXT) | instid1(SALU_CYCLE_1)
	s_add_i32 s2, s2, s3
	s_and_b32 s3, s2, 0xffffffe0
	s_ashr_i32 s2, s2, 5
	s_sub_i32 s3, s11, s3
	s_cmp_ge_i32 s14, s2
	s_cselect_b32 s2, s3, 32
	s_lshl_b32 s3, s14, 5
	v_cmp_gt_i32_e64 s2, s2, v1
	s_ashr_i32 s10, s3, 31
	s_delay_alu instid0(VALU_DEP_1) | instskip(NEXT) | instid1(SALU_CYCLE_1)
	s_and_b32 s2, vcc_lo, s2
	s_and_saveexec_b32 s11, s2
	s_cbranch_execz .LBB158_5
; %bb.4:
	v_mad_u64_u32 v[5:6], null, v1, s28, 0
	s_lshl_b64 s[14:15], s[30:31], 3
	s_mul_i32 s18, s3, s29
	s_mul_hi_u32 s19, s3, s28
	s_add_u32 s16, s16, s14
	s_mul_i32 s20, s10, s28
	s_addc_u32 s17, s17, s15
	s_delay_alu instid0(VALU_DEP_1) | instskip(SKIP_3) | instid1(SALU_CYCLE_1)
	v_mad_u64_u32 v[7:8], null, v1, s29, v[6:7]
	s_add_i32 s15, s19, s18
	s_mul_i32 s14, s3, s28
	s_add_i32 s15, s15, s20
	s_lshl_b64 s[14:15], s[14:15], 3
	s_delay_alu instid0(SALU_CYCLE_1) | instskip(NEXT) | instid1(VALU_DEP_1)
	s_add_u32 s14, s16, s14
	v_dual_mov_b32 v6, v7 :: v_dual_add_nc_u32 v7, 0x2000, v3
	s_addc_u32 s15, s17, s15
	s_delay_alu instid0(VALU_DEP_1) | instskip(NEXT) | instid1(VALU_DEP_1)
	v_lshlrev_b64 v[5:6], 3, v[5:6]
	v_add_co_u32 v5, vcc_lo, s14, v5
	s_delay_alu instid0(VALU_DEP_2) | instskip(NEXT) | instid1(VALU_DEP_2)
	v_add_co_ci_u32_e32 v6, vcc_lo, s15, v6, vcc_lo
	v_add_co_u32 v5, vcc_lo, v5, v0
	s_delay_alu instid0(VALU_DEP_2)
	v_add_co_ci_u32_e32 v6, vcc_lo, 0, v6, vcc_lo
	global_load_b64 v[5:6], v[5:6], off
	s_waitcnt vmcnt(0)
	ds_store_b64 v7, v[5:6]
.LBB158_5:
	s_or_b32 exec_lo, exec_lo, s11
	v_cmp_eq_u32_e32 vcc_lo, v1, v4
	s_cmpk_eq_i32 s9, 0x84
	s_cselect_b32 s9, -1, 0
	s_delay_alu instid0(SALU_CYCLE_1) | instskip(NEXT) | instid1(SALU_CYCLE_1)
	s_and_b32 s11, vcc_lo, s9
	s_and_saveexec_b32 s9, s11
	s_cbranch_execz .LBB158_7
; %bb.6:
	v_dual_mov_b32 v5, 0 :: v_dual_mov_b32 v6, 0x3ff00000
	ds_store_b64 v3, v[5:6]
.LBB158_7:
	s_or_b32 exec_lo, exec_lo, s9
	s_cmpk_lg_i32 s8, 0x7a
	s_waitcnt lgkmcnt(0)
	s_barrier
	buffer_gl0_inv
	s_cbranch_scc0 .LBB158_9
; %bb.8:
	v_cmp_lt_u32_e32 vcc_lo, v4, v1
	s_and_b32 s8, vcc_lo, exec_lo
	s_cbranch_execz .LBB158_10
	s_branch .LBB158_11
.LBB158_9:
	s_mov_b32 s8, 0
.LBB158_10:
	v_cmp_gt_u32_e32 vcc_lo, v4, v1
	s_and_not1_b32 s8, s8, exec_lo
	s_and_b32 s9, vcc_lo, exec_lo
	s_delay_alu instid0(SALU_CYCLE_1)
	s_or_b32 s8, s8, s9
.LBB158_11:
	s_delay_alu instid0(SALU_CYCLE_1)
	s_and_saveexec_b32 s9, s8
	s_cbranch_execz .LBB158_13
; %bb.12:
	v_mov_b32_e32 v4, 0
	s_delay_alu instid0(VALU_DEP_1)
	v_mov_b32_e32 v5, v4
	ds_store_b64 v3, v[4:5]
.LBB158_13:
	s_or_b32 exec_lo, exec_lo, s9
	s_waitcnt lgkmcnt(0)
	s_barrier
	buffer_gl0_inv
	s_and_saveexec_b32 s8, s2
	s_cbranch_execz .LBB158_15
; %bb.14:
	v_lshlrev_b32_e32 v16, 3, v2
	v_add_nc_u32_e32 v17, 0x800, v0
	s_load_b64 s[0:1], s[0:1], 0x60
	s_mul_i32 s10, s10, s6
	ds_load_2addr_b64 v[2:5], v0 offset1:32
	ds_load_b128 v[6:9], v16 offset:8192
	ds_load_b128 v[10:13], v16 offset:8208
	s_waitcnt lgkmcnt(0)
	s_lshl_b64 s[0:1], s[0:1], 3
	v_fma_f64 v[2:3], v[2:3], v[6:7], 0
	s_add_u32 s2, s4, s0
	s_mul_i32 s0, s3, s7
	s_mul_hi_u32 s4, s3, s6
	s_addc_u32 s5, s5, s1
	s_add_i32 s0, s4, s0
	s_delay_alu instid0(SALU_CYCLE_1) | instskip(SKIP_1) | instid1(SALU_CYCLE_1)
	s_add_i32 s1, s0, s10
	s_mul_i32 s0, s3, s6
	s_lshl_b64 s[0:1], s[0:1], 3
	s_delay_alu instid0(SALU_CYCLE_1) | instskip(SKIP_1) | instid1(VALU_DEP_1)
	s_add_u32 s0, s2, s0
	s_addc_u32 s1, s5, s1
	v_fma_f64 v[6:7], v[4:5], v[8:9], v[2:3]
	ds_load_2addr_b64 v[2:5], v0 offset0:64 offset1:96
	s_waitcnt lgkmcnt(0)
	v_fma_f64 v[2:3], v[2:3], v[10:11], v[6:7]
	s_delay_alu instid0(VALU_DEP_1)
	v_fma_f64 v[14:15], v[4:5], v[12:13], v[2:3]
	ds_load_2addr_b64 v[2:5], v0 offset0:128 offset1:160
	ds_load_b128 v[6:9], v16 offset:8224
	ds_load_b128 v[10:13], v16 offset:8240
	s_waitcnt lgkmcnt(1)
	v_fma_f64 v[2:3], v[2:3], v[6:7], v[14:15]
	s_delay_alu instid0(VALU_DEP_1) | instskip(SKIP_3) | instid1(VALU_DEP_1)
	v_fma_f64 v[6:7], v[4:5], v[8:9], v[2:3]
	ds_load_2addr_b64 v[2:5], v0 offset0:192 offset1:224
	s_waitcnt lgkmcnt(0)
	v_fma_f64 v[2:3], v[2:3], v[10:11], v[6:7]
	v_fma_f64 v[14:15], v[4:5], v[12:13], v[2:3]
	ds_load_2addr_b64 v[2:5], v17 offset1:32
	ds_load_b128 v[6:9], v16 offset:8256
	ds_load_b128 v[10:13], v16 offset:8272
	s_waitcnt lgkmcnt(1)
	v_fma_f64 v[2:3], v[2:3], v[6:7], v[14:15]
	s_delay_alu instid0(VALU_DEP_1) | instskip(SKIP_3) | instid1(VALU_DEP_1)
	v_fma_f64 v[6:7], v[4:5], v[8:9], v[2:3]
	ds_load_2addr_b64 v[2:5], v17 offset0:64 offset1:96
	s_waitcnt lgkmcnt(0)
	v_fma_f64 v[2:3], v[2:3], v[10:11], v[6:7]
	v_fma_f64 v[14:15], v[4:5], v[12:13], v[2:3]
	ds_load_2addr_b64 v[2:5], v17 offset0:128 offset1:160
	ds_load_b128 v[6:9], v16 offset:8288
	ds_load_b128 v[10:13], v16 offset:8304
	s_waitcnt lgkmcnt(1)
	v_fma_f64 v[2:3], v[2:3], v[6:7], v[14:15]
	s_delay_alu instid0(VALU_DEP_1) | instskip(SKIP_4) | instid1(VALU_DEP_1)
	v_fma_f64 v[6:7], v[4:5], v[8:9], v[2:3]
	ds_load_2addr_b64 v[2:5], v17 offset0:192 offset1:224
	v_add_nc_u32_e32 v17, 0x1000, v0
	s_waitcnt lgkmcnt(0)
	v_fma_f64 v[2:3], v[2:3], v[10:11], v[6:7]
	v_fma_f64 v[14:15], v[4:5], v[12:13], v[2:3]
	ds_load_2addr_b64 v[2:5], v17 offset1:32
	ds_load_b128 v[6:9], v16 offset:8320
	ds_load_b128 v[10:13], v16 offset:8336
	s_waitcnt lgkmcnt(1)
	v_fma_f64 v[2:3], v[2:3], v[6:7], v[14:15]
	s_delay_alu instid0(VALU_DEP_1) | instskip(SKIP_3) | instid1(VALU_DEP_1)
	v_fma_f64 v[6:7], v[4:5], v[8:9], v[2:3]
	ds_load_2addr_b64 v[2:5], v17 offset0:64 offset1:96
	s_waitcnt lgkmcnt(0)
	v_fma_f64 v[2:3], v[2:3], v[10:11], v[6:7]
	v_fma_f64 v[14:15], v[4:5], v[12:13], v[2:3]
	ds_load_2addr_b64 v[2:5], v17 offset0:128 offset1:160
	ds_load_b128 v[6:9], v16 offset:8352
	ds_load_b128 v[10:13], v16 offset:8368
	s_waitcnt lgkmcnt(1)
	v_fma_f64 v[2:3], v[2:3], v[6:7], v[14:15]
	s_delay_alu instid0(VALU_DEP_1) | instskip(SKIP_4) | instid1(VALU_DEP_1)
	v_fma_f64 v[6:7], v[4:5], v[8:9], v[2:3]
	ds_load_2addr_b64 v[2:5], v17 offset0:192 offset1:224
	v_add_nc_u32_e32 v17, 0x1800, v0
	s_waitcnt lgkmcnt(0)
	v_fma_f64 v[2:3], v[2:3], v[10:11], v[6:7]
	v_fma_f64 v[14:15], v[4:5], v[12:13], v[2:3]
	ds_load_2addr_b64 v[2:5], v17 offset1:32
	ds_load_b128 v[6:9], v16 offset:8384
	ds_load_b128 v[10:13], v16 offset:8400
	s_waitcnt lgkmcnt(1)
	v_fma_f64 v[2:3], v[2:3], v[6:7], v[14:15]
	s_delay_alu instid0(VALU_DEP_1) | instskip(SKIP_3) | instid1(VALU_DEP_1)
	v_fma_f64 v[6:7], v[4:5], v[8:9], v[2:3]
	ds_load_2addr_b64 v[2:5], v17 offset0:64 offset1:96
	s_waitcnt lgkmcnt(0)
	v_fma_f64 v[2:3], v[2:3], v[10:11], v[6:7]
	v_fma_f64 v[14:15], v[4:5], v[12:13], v[2:3]
	ds_load_2addr_b64 v[2:5], v17 offset0:128 offset1:160
	ds_load_b128 v[6:9], v16 offset:8416
	ds_load_b128 v[10:13], v16 offset:8432
	s_waitcnt lgkmcnt(1)
	v_fma_f64 v[2:3], v[2:3], v[6:7], v[14:15]
	s_delay_alu instid0(VALU_DEP_1) | instskip(SKIP_3) | instid1(VALU_DEP_1)
	v_fma_f64 v[6:7], v[4:5], v[8:9], v[2:3]
	ds_load_2addr_b64 v[2:5], v17 offset0:192 offset1:224
	s_waitcnt lgkmcnt(0)
	v_fma_f64 v[2:3], v[2:3], v[10:11], v[6:7]
	v_fma_f64 v[2:3], v[4:5], v[12:13], v[2:3]
	v_mad_u64_u32 v[4:5], null, v1, s6, 0
	s_delay_alu instid0(VALU_DEP_1) | instskip(NEXT) | instid1(VALU_DEP_1)
	v_mad_u64_u32 v[6:7], null, v1, s7, v[5:6]
	v_mov_b32_e32 v5, v6
	s_delay_alu instid0(VALU_DEP_1) | instskip(NEXT) | instid1(VALU_DEP_1)
	v_lshlrev_b64 v[4:5], 3, v[4:5]
	v_add_co_u32 v1, vcc_lo, s0, v4
	s_delay_alu instid0(VALU_DEP_2) | instskip(NEXT) | instid1(VALU_DEP_2)
	v_add_co_ci_u32_e32 v4, vcc_lo, s1, v5, vcc_lo
	v_add_co_u32 v0, vcc_lo, v1, v0
	s_delay_alu instid0(VALU_DEP_2)
	v_add_co_ci_u32_e32 v1, vcc_lo, 0, v4, vcc_lo
	v_mul_f64 v[2:3], s[12:13], v[2:3]
	global_store_b64 v[0:1], v[2:3], off
.LBB158_15:
	s_nop 0
	s_sendmsg sendmsg(MSG_DEALLOC_VGPRS)
	s_endpgm
	.section	.rodata,"a",@progbits
	.p2align	6, 0x0
	.amdhsa_kernel _ZL23rocblas_trmm_lTx_kernelILi32ELb0EdPKdKS1_KPdEv13rocblas_fill_17rocblas_diagonal_iiT2_lPT3_llS9_llPT4_lli
		.amdhsa_group_segment_fixed_size 16384
		.amdhsa_private_segment_fixed_size 0
		.amdhsa_kernarg_size 108
		.amdhsa_user_sgpr_count 14
		.amdhsa_user_sgpr_dispatch_ptr 0
		.amdhsa_user_sgpr_queue_ptr 0
		.amdhsa_user_sgpr_kernarg_segment_ptr 1
		.amdhsa_user_sgpr_dispatch_id 0
		.amdhsa_user_sgpr_private_segment_size 0
		.amdhsa_wavefront_size32 1
		.amdhsa_uses_dynamic_stack 0
		.amdhsa_enable_private_segment 0
		.amdhsa_system_sgpr_workgroup_id_x 1
		.amdhsa_system_sgpr_workgroup_id_y 0
		.amdhsa_system_sgpr_workgroup_id_z 1
		.amdhsa_system_sgpr_workgroup_info 0
		.amdhsa_system_vgpr_workitem_id 1
		.amdhsa_next_free_vgpr 18
		.amdhsa_next_free_sgpr 32
		.amdhsa_reserve_vcc 1
		.amdhsa_float_round_mode_32 0
		.amdhsa_float_round_mode_16_64 0
		.amdhsa_float_denorm_mode_32 3
		.amdhsa_float_denorm_mode_16_64 3
		.amdhsa_dx10_clamp 1
		.amdhsa_ieee_mode 1
		.amdhsa_fp16_overflow 0
		.amdhsa_workgroup_processor_mode 1
		.amdhsa_memory_ordered 1
		.amdhsa_forward_progress 0
		.amdhsa_shared_vgpr_count 0
		.amdhsa_exception_fp_ieee_invalid_op 0
		.amdhsa_exception_fp_denorm_src 0
		.amdhsa_exception_fp_ieee_div_zero 0
		.amdhsa_exception_fp_ieee_overflow 0
		.amdhsa_exception_fp_ieee_underflow 0
		.amdhsa_exception_fp_ieee_inexact 0
		.amdhsa_exception_int_div_zero 0
	.end_amdhsa_kernel
	.section	.text._ZL23rocblas_trmm_lTx_kernelILi32ELb0EdPKdKS1_KPdEv13rocblas_fill_17rocblas_diagonal_iiT2_lPT3_llS9_llPT4_lli,"axG",@progbits,_ZL23rocblas_trmm_lTx_kernelILi32ELb0EdPKdKS1_KPdEv13rocblas_fill_17rocblas_diagonal_iiT2_lPT3_llS9_llPT4_lli,comdat
.Lfunc_end158:
	.size	_ZL23rocblas_trmm_lTx_kernelILi32ELb0EdPKdKS1_KPdEv13rocblas_fill_17rocblas_diagonal_iiT2_lPT3_llS9_llPT4_lli, .Lfunc_end158-_ZL23rocblas_trmm_lTx_kernelILi32ELb0EdPKdKS1_KPdEv13rocblas_fill_17rocblas_diagonal_iiT2_lPT3_llS9_llPT4_lli
                                        ; -- End function
	.section	.AMDGPU.csdata,"",@progbits
; Kernel info:
; codeLenInByte = 1592
; NumSgprs: 34
; NumVgprs: 18
; ScratchSize: 0
; MemoryBound: 0
; FloatMode: 240
; IeeeMode: 1
; LDSByteSize: 16384 bytes/workgroup (compile time only)
; SGPRBlocks: 4
; VGPRBlocks: 2
; NumSGPRsForWavesPerEU: 34
; NumVGPRsForWavesPerEU: 18
; Occupancy: 16
; WaveLimiterHint : 1
; COMPUTE_PGM_RSRC2:SCRATCH_EN: 0
; COMPUTE_PGM_RSRC2:USER_SGPR: 14
; COMPUTE_PGM_RSRC2:TRAP_HANDLER: 0
; COMPUTE_PGM_RSRC2:TGID_X_EN: 1
; COMPUTE_PGM_RSRC2:TGID_Y_EN: 0
; COMPUTE_PGM_RSRC2:TGID_Z_EN: 1
; COMPUTE_PGM_RSRC2:TIDIG_COMP_CNT: 1
	.section	.text._ZL23rocblas_trmm_lTx_kernelILi32ELb0EddKPKdKPdEv13rocblas_fill_17rocblas_diagonal_iiT2_lPT3_llS9_llPT4_lli,"axG",@progbits,_ZL23rocblas_trmm_lTx_kernelILi32ELb0EddKPKdKPdEv13rocblas_fill_17rocblas_diagonal_iiT2_lPT3_llS9_llPT4_lli,comdat
	.globl	_ZL23rocblas_trmm_lTx_kernelILi32ELb0EddKPKdKPdEv13rocblas_fill_17rocblas_diagonal_iiT2_lPT3_llS9_llPT4_lli ; -- Begin function _ZL23rocblas_trmm_lTx_kernelILi32ELb0EddKPKdKPdEv13rocblas_fill_17rocblas_diagonal_iiT2_lPT3_llS9_llPT4_lli
	.p2align	8
	.type	_ZL23rocblas_trmm_lTx_kernelILi32ELb0EddKPKdKPdEv13rocblas_fill_17rocblas_diagonal_iiT2_lPT3_llS9_llPT4_lli,@function
_ZL23rocblas_trmm_lTx_kernelILi32ELb0EddKPKdKPdEv13rocblas_fill_17rocblas_diagonal_iiT2_lPT3_llS9_llPT4_lli: ; @_ZL23rocblas_trmm_lTx_kernelILi32ELb0EddKPKdKPdEv13rocblas_fill_17rocblas_diagonal_iiT2_lPT3_llS9_llPT4_lli
; %bb.0:
	s_load_b64 s[8:9], s[0:1], 0x10
	s_waitcnt lgkmcnt(0)
	v_cmp_eq_f64_e64 s3, s[8:9], 0
	s_delay_alu instid0(VALU_DEP_1)
	s_and_b32 vcc_lo, exec_lo, s3
	s_cbranch_vccnz .LBB159_15
; %bb.1:
	s_load_b512 s[16:31], s[0:1], 0x20
	s_mov_b32 s2, s15
	s_mov_b32 s3, 0
	s_load_b128 s[4:7], s[0:1], 0x0
	s_lshl_b64 s[10:11], s[2:3], 3
	v_bfe_u32 v1, v0, 10, 10
	s_mov_b32 s2, s3
	v_and_b32_e32 v4, 0x3ff, v0
	v_dual_mov_b32 v6, s3 :: v_dual_mov_b32 v5, s2
	s_delay_alu instid0(VALU_DEP_3) | instskip(NEXT) | instid1(VALU_DEP_3)
	v_lshlrev_b32_e32 v2, 5, v1
	v_lshlrev_b32_e32 v0, 3, v4
	s_delay_alu instid0(VALU_DEP_2)
	v_add_lshl_u32 v3, v2, v4, 3
	s_waitcnt lgkmcnt(0)
	s_add_u32 s12, s16, s10
	s_addc_u32 s13, s17, s11
	s_add_u32 s22, s22, s10
	s_addc_u32 s23, s23, s11
	;; [unrolled: 2-line block ×3, first 2 shown]
	s_load_b64 s[16:17], s[12:13], 0x0
	s_load_b64 s[12:13], s[22:23], 0x0
	s_load_b64 s[10:11], s[10:11], 0x0
	v_cmp_gt_i32_e64 s2, s6, v1
	v_cmp_gt_i32_e32 vcc_lo, s6, v4
	ds_store_2addr_stride64_b64 v3, v[5:6], v[5:6] offset1:16
	s_waitcnt lgkmcnt(0)
	s_barrier
	buffer_gl0_inv
	s_and_b32 s2, s2, vcc_lo
	s_delay_alu instid0(SALU_CYCLE_1)
	s_and_saveexec_b32 s3, s2
	s_cbranch_execz .LBB159_3
; %bb.2:
	v_mad_u64_u32 v[5:6], null, v1, s18, 0
	s_delay_alu instid0(VALU_DEP_1) | instskip(SKIP_1) | instid1(SALU_CYCLE_1)
	v_mad_u64_u32 v[7:8], null, v1, s19, v[6:7]
	s_lshl_b64 s[18:19], s[20:21], 3
	s_add_u32 s2, s16, s18
	s_addc_u32 s6, s17, s19
	s_delay_alu instid0(VALU_DEP_1) | instskip(NEXT) | instid1(VALU_DEP_1)
	v_dual_mov_b32 v6, v7 :: v_dual_lshlrev_b32 v7, 5, v4
	v_lshlrev_b64 v[5:6], 3, v[5:6]
	s_delay_alu instid0(VALU_DEP_2) | instskip(NEXT) | instid1(VALU_DEP_2)
	v_add_lshl_u32 v7, v7, v1, 3
	v_add_co_u32 v5, s2, s2, v5
	s_delay_alu instid0(VALU_DEP_1) | instskip(NEXT) | instid1(VALU_DEP_2)
	v_add_co_ci_u32_e64 v6, s2, s6, v6, s2
	v_add_co_u32 v5, s2, v5, v0
	s_delay_alu instid0(VALU_DEP_1)
	v_add_co_ci_u32_e64 v6, s2, 0, v6, s2
	global_load_b64 v[5:6], v[5:6], off
	s_waitcnt vmcnt(0)
	ds_store_b64 v7, v[5:6]
.LBB159_3:
	s_or_b32 exec_lo, exec_lo, s3
	s_add_i32 s2, s7, -1
	s_delay_alu instid0(SALU_CYCLE_1) | instskip(NEXT) | instid1(SALU_CYCLE_1)
	s_ashr_i32 s3, s2, 31
	s_lshr_b32 s3, s3, 27
	s_delay_alu instid0(SALU_CYCLE_1) | instskip(NEXT) | instid1(SALU_CYCLE_1)
	s_add_i32 s2, s2, s3
	s_and_b32 s3, s2, 0xffffffe0
	s_ashr_i32 s2, s2, 5
	s_sub_i32 s3, s7, s3
	s_cmp_ge_i32 s14, s2
	s_cselect_b32 s2, s3, 32
	s_lshl_b32 s3, s14, 5
	v_cmp_gt_i32_e64 s2, s2, v1
	s_ashr_i32 s6, s3, 31
	s_delay_alu instid0(VALU_DEP_1) | instskip(NEXT) | instid1(SALU_CYCLE_1)
	s_and_b32 s2, vcc_lo, s2
	s_and_saveexec_b32 s7, s2
	s_cbranch_execz .LBB159_5
; %bb.4:
	v_mad_u64_u32 v[5:6], null, v1, s24, 0
	s_lshl_b64 s[14:15], s[26:27], 3
	s_mul_i32 s16, s3, s25
	s_mul_hi_u32 s17, s3, s24
	s_add_u32 s14, s12, s14
	s_mul_i32 s18, s6, s24
	s_addc_u32 s15, s13, s15
	s_delay_alu instid0(VALU_DEP_1) | instskip(SKIP_3) | instid1(SALU_CYCLE_1)
	v_mad_u64_u32 v[7:8], null, v1, s25, v[6:7]
	s_add_i32 s13, s17, s16
	s_mul_i32 s12, s3, s24
	s_add_i32 s13, s13, s18
	s_lshl_b64 s[12:13], s[12:13], 3
	s_delay_alu instid0(SALU_CYCLE_1) | instskip(NEXT) | instid1(VALU_DEP_1)
	s_add_u32 s12, s14, s12
	v_dual_mov_b32 v6, v7 :: v_dual_add_nc_u32 v7, 0x2000, v3
	s_addc_u32 s13, s15, s13
	s_delay_alu instid0(VALU_DEP_1) | instskip(NEXT) | instid1(VALU_DEP_1)
	v_lshlrev_b64 v[5:6], 3, v[5:6]
	v_add_co_u32 v5, vcc_lo, s12, v5
	s_delay_alu instid0(VALU_DEP_2) | instskip(NEXT) | instid1(VALU_DEP_2)
	v_add_co_ci_u32_e32 v6, vcc_lo, s13, v6, vcc_lo
	v_add_co_u32 v5, vcc_lo, v5, v0
	s_delay_alu instid0(VALU_DEP_2)
	v_add_co_ci_u32_e32 v6, vcc_lo, 0, v6, vcc_lo
	global_load_b64 v[5:6], v[5:6], off
	s_waitcnt vmcnt(0)
	ds_store_b64 v7, v[5:6]
.LBB159_5:
	s_or_b32 exec_lo, exec_lo, s7
	v_cmp_eq_u32_e32 vcc_lo, v1, v4
	s_cmpk_eq_i32 s5, 0x84
	s_cselect_b32 s5, -1, 0
	s_delay_alu instid0(SALU_CYCLE_1) | instskip(NEXT) | instid1(SALU_CYCLE_1)
	s_and_b32 s7, vcc_lo, s5
	s_and_saveexec_b32 s5, s7
	s_cbranch_execz .LBB159_7
; %bb.6:
	v_dual_mov_b32 v5, 0 :: v_dual_mov_b32 v6, 0x3ff00000
	ds_store_b64 v3, v[5:6]
.LBB159_7:
	s_or_b32 exec_lo, exec_lo, s5
	s_cmpk_lg_i32 s4, 0x7a
	s_waitcnt lgkmcnt(0)
	s_barrier
	buffer_gl0_inv
	s_cbranch_scc0 .LBB159_9
; %bb.8:
	v_cmp_lt_u32_e32 vcc_lo, v4, v1
	s_and_b32 s4, vcc_lo, exec_lo
	s_cbranch_execz .LBB159_10
	s_branch .LBB159_11
.LBB159_9:
	s_mov_b32 s4, 0
.LBB159_10:
	v_cmp_gt_u32_e32 vcc_lo, v4, v1
	s_and_not1_b32 s4, s4, exec_lo
	s_and_b32 s5, vcc_lo, exec_lo
	s_delay_alu instid0(SALU_CYCLE_1)
	s_or_b32 s4, s4, s5
.LBB159_11:
	s_delay_alu instid0(SALU_CYCLE_1)
	s_and_saveexec_b32 s5, s4
	s_cbranch_execz .LBB159_13
; %bb.12:
	v_mov_b32_e32 v4, 0
	s_delay_alu instid0(VALU_DEP_1)
	v_mov_b32_e32 v5, v4
	ds_store_b64 v3, v[4:5]
.LBB159_13:
	s_or_b32 exec_lo, exec_lo, s5
	s_waitcnt lgkmcnt(0)
	s_barrier
	buffer_gl0_inv
	s_and_saveexec_b32 s4, s2
	s_cbranch_execz .LBB159_15
; %bb.14:
	v_lshlrev_b32_e32 v16, 3, v2
	v_add_nc_u32_e32 v17, 0x800, v0
	s_load_b64 s[0:1], s[0:1], 0x60
	s_mul_hi_u32 s4, s3, s30
	ds_load_2addr_b64 v[2:5], v0 offset1:32
	ds_load_b128 v[6:9], v16 offset:8192
	ds_load_b128 v[10:13], v16 offset:8208
	s_mul_i32 s6, s6, s30
	s_waitcnt lgkmcnt(0)
	s_lshl_b64 s[0:1], s[0:1], 3
	v_fma_f64 v[2:3], v[2:3], v[6:7], 0
	s_add_u32 s2, s10, s0
	s_mul_i32 s0, s3, s31
	s_addc_u32 s5, s11, s1
	s_add_i32 s0, s4, s0
	s_delay_alu instid0(SALU_CYCLE_1) | instskip(SKIP_1) | instid1(SALU_CYCLE_1)
	s_add_i32 s1, s0, s6
	s_mul_i32 s0, s3, s30
	s_lshl_b64 s[0:1], s[0:1], 3
	s_delay_alu instid0(SALU_CYCLE_1) | instskip(SKIP_1) | instid1(VALU_DEP_1)
	s_add_u32 s0, s2, s0
	s_addc_u32 s1, s5, s1
	v_fma_f64 v[6:7], v[4:5], v[8:9], v[2:3]
	ds_load_2addr_b64 v[2:5], v0 offset0:64 offset1:96
	s_waitcnt lgkmcnt(0)
	v_fma_f64 v[2:3], v[2:3], v[10:11], v[6:7]
	s_delay_alu instid0(VALU_DEP_1)
	v_fma_f64 v[14:15], v[4:5], v[12:13], v[2:3]
	ds_load_2addr_b64 v[2:5], v0 offset0:128 offset1:160
	ds_load_b128 v[6:9], v16 offset:8224
	ds_load_b128 v[10:13], v16 offset:8240
	s_waitcnt lgkmcnt(1)
	v_fma_f64 v[2:3], v[2:3], v[6:7], v[14:15]
	s_delay_alu instid0(VALU_DEP_1) | instskip(SKIP_3) | instid1(VALU_DEP_1)
	v_fma_f64 v[6:7], v[4:5], v[8:9], v[2:3]
	ds_load_2addr_b64 v[2:5], v0 offset0:192 offset1:224
	s_waitcnt lgkmcnt(0)
	v_fma_f64 v[2:3], v[2:3], v[10:11], v[6:7]
	v_fma_f64 v[14:15], v[4:5], v[12:13], v[2:3]
	ds_load_2addr_b64 v[2:5], v17 offset1:32
	ds_load_b128 v[6:9], v16 offset:8256
	ds_load_b128 v[10:13], v16 offset:8272
	s_waitcnt lgkmcnt(1)
	v_fma_f64 v[2:3], v[2:3], v[6:7], v[14:15]
	s_delay_alu instid0(VALU_DEP_1) | instskip(SKIP_3) | instid1(VALU_DEP_1)
	v_fma_f64 v[6:7], v[4:5], v[8:9], v[2:3]
	ds_load_2addr_b64 v[2:5], v17 offset0:64 offset1:96
	s_waitcnt lgkmcnt(0)
	v_fma_f64 v[2:3], v[2:3], v[10:11], v[6:7]
	v_fma_f64 v[14:15], v[4:5], v[12:13], v[2:3]
	ds_load_2addr_b64 v[2:5], v17 offset0:128 offset1:160
	ds_load_b128 v[6:9], v16 offset:8288
	ds_load_b128 v[10:13], v16 offset:8304
	s_waitcnt lgkmcnt(1)
	v_fma_f64 v[2:3], v[2:3], v[6:7], v[14:15]
	s_delay_alu instid0(VALU_DEP_1) | instskip(SKIP_4) | instid1(VALU_DEP_1)
	v_fma_f64 v[6:7], v[4:5], v[8:9], v[2:3]
	ds_load_2addr_b64 v[2:5], v17 offset0:192 offset1:224
	v_add_nc_u32_e32 v17, 0x1000, v0
	s_waitcnt lgkmcnt(0)
	v_fma_f64 v[2:3], v[2:3], v[10:11], v[6:7]
	v_fma_f64 v[14:15], v[4:5], v[12:13], v[2:3]
	ds_load_2addr_b64 v[2:5], v17 offset1:32
	ds_load_b128 v[6:9], v16 offset:8320
	ds_load_b128 v[10:13], v16 offset:8336
	s_waitcnt lgkmcnt(1)
	v_fma_f64 v[2:3], v[2:3], v[6:7], v[14:15]
	s_delay_alu instid0(VALU_DEP_1) | instskip(SKIP_3) | instid1(VALU_DEP_1)
	v_fma_f64 v[6:7], v[4:5], v[8:9], v[2:3]
	ds_load_2addr_b64 v[2:5], v17 offset0:64 offset1:96
	s_waitcnt lgkmcnt(0)
	v_fma_f64 v[2:3], v[2:3], v[10:11], v[6:7]
	v_fma_f64 v[14:15], v[4:5], v[12:13], v[2:3]
	ds_load_2addr_b64 v[2:5], v17 offset0:128 offset1:160
	ds_load_b128 v[6:9], v16 offset:8352
	ds_load_b128 v[10:13], v16 offset:8368
	s_waitcnt lgkmcnt(1)
	v_fma_f64 v[2:3], v[2:3], v[6:7], v[14:15]
	s_delay_alu instid0(VALU_DEP_1) | instskip(SKIP_4) | instid1(VALU_DEP_1)
	v_fma_f64 v[6:7], v[4:5], v[8:9], v[2:3]
	ds_load_2addr_b64 v[2:5], v17 offset0:192 offset1:224
	v_add_nc_u32_e32 v17, 0x1800, v0
	s_waitcnt lgkmcnt(0)
	v_fma_f64 v[2:3], v[2:3], v[10:11], v[6:7]
	v_fma_f64 v[14:15], v[4:5], v[12:13], v[2:3]
	ds_load_2addr_b64 v[2:5], v17 offset1:32
	ds_load_b128 v[6:9], v16 offset:8384
	ds_load_b128 v[10:13], v16 offset:8400
	s_waitcnt lgkmcnt(1)
	v_fma_f64 v[2:3], v[2:3], v[6:7], v[14:15]
	s_delay_alu instid0(VALU_DEP_1) | instskip(SKIP_3) | instid1(VALU_DEP_1)
	v_fma_f64 v[6:7], v[4:5], v[8:9], v[2:3]
	ds_load_2addr_b64 v[2:5], v17 offset0:64 offset1:96
	s_waitcnt lgkmcnt(0)
	v_fma_f64 v[2:3], v[2:3], v[10:11], v[6:7]
	v_fma_f64 v[14:15], v[4:5], v[12:13], v[2:3]
	ds_load_2addr_b64 v[2:5], v17 offset0:128 offset1:160
	ds_load_b128 v[6:9], v16 offset:8416
	ds_load_b128 v[10:13], v16 offset:8432
	s_waitcnt lgkmcnt(1)
	v_fma_f64 v[2:3], v[2:3], v[6:7], v[14:15]
	s_delay_alu instid0(VALU_DEP_1) | instskip(SKIP_3) | instid1(VALU_DEP_1)
	v_fma_f64 v[6:7], v[4:5], v[8:9], v[2:3]
	ds_load_2addr_b64 v[2:5], v17 offset0:192 offset1:224
	s_waitcnt lgkmcnt(0)
	v_fma_f64 v[2:3], v[2:3], v[10:11], v[6:7]
	v_fma_f64 v[2:3], v[4:5], v[12:13], v[2:3]
	v_mad_u64_u32 v[4:5], null, v1, s30, 0
	s_delay_alu instid0(VALU_DEP_1) | instskip(NEXT) | instid1(VALU_DEP_1)
	v_mad_u64_u32 v[6:7], null, v1, s31, v[5:6]
	v_mov_b32_e32 v5, v6
	s_delay_alu instid0(VALU_DEP_1) | instskip(NEXT) | instid1(VALU_DEP_1)
	v_lshlrev_b64 v[4:5], 3, v[4:5]
	v_add_co_u32 v1, vcc_lo, s0, v4
	s_delay_alu instid0(VALU_DEP_2) | instskip(NEXT) | instid1(VALU_DEP_2)
	v_add_co_ci_u32_e32 v4, vcc_lo, s1, v5, vcc_lo
	v_add_co_u32 v0, vcc_lo, v1, v0
	s_delay_alu instid0(VALU_DEP_2)
	v_add_co_ci_u32_e32 v1, vcc_lo, 0, v4, vcc_lo
	v_mul_f64 v[2:3], v[2:3], s[8:9]
	global_store_b64 v[0:1], v[2:3], off
.LBB159_15:
	s_nop 0
	s_sendmsg sendmsg(MSG_DEALLOC_VGPRS)
	s_endpgm
	.section	.rodata,"a",@progbits
	.p2align	6, 0x0
	.amdhsa_kernel _ZL23rocblas_trmm_lTx_kernelILi32ELb0EddKPKdKPdEv13rocblas_fill_17rocblas_diagonal_iiT2_lPT3_llS9_llPT4_lli
		.amdhsa_group_segment_fixed_size 16384
		.amdhsa_private_segment_fixed_size 0
		.amdhsa_kernarg_size 108
		.amdhsa_user_sgpr_count 14
		.amdhsa_user_sgpr_dispatch_ptr 0
		.amdhsa_user_sgpr_queue_ptr 0
		.amdhsa_user_sgpr_kernarg_segment_ptr 1
		.amdhsa_user_sgpr_dispatch_id 0
		.amdhsa_user_sgpr_private_segment_size 0
		.amdhsa_wavefront_size32 1
		.amdhsa_uses_dynamic_stack 0
		.amdhsa_enable_private_segment 0
		.amdhsa_system_sgpr_workgroup_id_x 1
		.amdhsa_system_sgpr_workgroup_id_y 0
		.amdhsa_system_sgpr_workgroup_id_z 1
		.amdhsa_system_sgpr_workgroup_info 0
		.amdhsa_system_vgpr_workitem_id 1
		.amdhsa_next_free_vgpr 18
		.amdhsa_next_free_sgpr 32
		.amdhsa_reserve_vcc 1
		.amdhsa_float_round_mode_32 0
		.amdhsa_float_round_mode_16_64 0
		.amdhsa_float_denorm_mode_32 3
		.amdhsa_float_denorm_mode_16_64 3
		.amdhsa_dx10_clamp 1
		.amdhsa_ieee_mode 1
		.amdhsa_fp16_overflow 0
		.amdhsa_workgroup_processor_mode 1
		.amdhsa_memory_ordered 1
		.amdhsa_forward_progress 0
		.amdhsa_shared_vgpr_count 0
		.amdhsa_exception_fp_ieee_invalid_op 0
		.amdhsa_exception_fp_denorm_src 0
		.amdhsa_exception_fp_ieee_div_zero 0
		.amdhsa_exception_fp_ieee_overflow 0
		.amdhsa_exception_fp_ieee_underflow 0
		.amdhsa_exception_fp_ieee_inexact 0
		.amdhsa_exception_int_div_zero 0
	.end_amdhsa_kernel
	.section	.text._ZL23rocblas_trmm_lTx_kernelILi32ELb0EddKPKdKPdEv13rocblas_fill_17rocblas_diagonal_iiT2_lPT3_llS9_llPT4_lli,"axG",@progbits,_ZL23rocblas_trmm_lTx_kernelILi32ELb0EddKPKdKPdEv13rocblas_fill_17rocblas_diagonal_iiT2_lPT3_llS9_llPT4_lli,comdat
.Lfunc_end159:
	.size	_ZL23rocblas_trmm_lTx_kernelILi32ELb0EddKPKdKPdEv13rocblas_fill_17rocblas_diagonal_iiT2_lPT3_llS9_llPT4_lli, .Lfunc_end159-_ZL23rocblas_trmm_lTx_kernelILi32ELb0EddKPKdKPdEv13rocblas_fill_17rocblas_diagonal_iiT2_lPT3_llS9_llPT4_lli
                                        ; -- End function
	.section	.AMDGPU.csdata,"",@progbits
; Kernel info:
; codeLenInByte = 1548
; NumSgprs: 34
; NumVgprs: 18
; ScratchSize: 0
; MemoryBound: 0
; FloatMode: 240
; IeeeMode: 1
; LDSByteSize: 16384 bytes/workgroup (compile time only)
; SGPRBlocks: 4
; VGPRBlocks: 2
; NumSGPRsForWavesPerEU: 34
; NumVGPRsForWavesPerEU: 18
; Occupancy: 16
; WaveLimiterHint : 1
; COMPUTE_PGM_RSRC2:SCRATCH_EN: 0
; COMPUTE_PGM_RSRC2:USER_SGPR: 14
; COMPUTE_PGM_RSRC2:TRAP_HANDLER: 0
; COMPUTE_PGM_RSRC2:TGID_X_EN: 1
; COMPUTE_PGM_RSRC2:TGID_Y_EN: 0
; COMPUTE_PGM_RSRC2:TGID_Z_EN: 1
; COMPUTE_PGM_RSRC2:TIDIG_COMP_CNT: 1
	.section	.text._ZL23rocblas_trmm_lTx_kernelILi32ELb1EdPKdKS1_KPdEv13rocblas_fill_17rocblas_diagonal_iiT2_lPT3_llS9_llPT4_lli,"axG",@progbits,_ZL23rocblas_trmm_lTx_kernelILi32ELb1EdPKdKS1_KPdEv13rocblas_fill_17rocblas_diagonal_iiT2_lPT3_llS9_llPT4_lli,comdat
	.globl	_ZL23rocblas_trmm_lTx_kernelILi32ELb1EdPKdKS1_KPdEv13rocblas_fill_17rocblas_diagonal_iiT2_lPT3_llS9_llPT4_lli ; -- Begin function _ZL23rocblas_trmm_lTx_kernelILi32ELb1EdPKdKS1_KPdEv13rocblas_fill_17rocblas_diagonal_iiT2_lPT3_llS9_llPT4_lli
	.p2align	8
	.type	_ZL23rocblas_trmm_lTx_kernelILi32ELb1EdPKdKS1_KPdEv13rocblas_fill_17rocblas_diagonal_iiT2_lPT3_llS9_llPT4_lli,@function
_ZL23rocblas_trmm_lTx_kernelILi32ELb1EdPKdKS1_KPdEv13rocblas_fill_17rocblas_diagonal_iiT2_lPT3_llS9_llPT4_lli: ; @_ZL23rocblas_trmm_lTx_kernelILi32ELb1EdPKdKS1_KPdEv13rocblas_fill_17rocblas_diagonal_iiT2_lPT3_llS9_llPT4_lli
; %bb.0:
	s_load_b512 s[16:31], s[0:1], 0x10
	s_waitcnt lgkmcnt(0)
	s_mul_i32 s3, s15, s19
	s_mul_hi_u32 s4, s15, s18
	s_delay_alu instid0(SALU_CYCLE_1) | instskip(SKIP_1) | instid1(SALU_CYCLE_1)
	s_add_i32 s5, s4, s3
	s_mul_i32 s4, s15, s18
	s_lshl_b64 s[4:5], s[4:5], 3
	s_delay_alu instid0(SALU_CYCLE_1) | instskip(SKIP_4) | instid1(VALU_DEP_1)
	s_add_u32 s4, s16, s4
	s_addc_u32 s5, s17, s5
	s_load_b64 s[12:13], s[4:5], 0x0
	s_waitcnt lgkmcnt(0)
	v_cmp_eq_f64_e64 s3, s[12:13], 0
	s_and_b32 vcc_lo, exec_lo, s3
	s_cbranch_vccnz .LBB160_15
; %bb.1:
	s_clause 0x1
	s_load_b128 s[4:7], s[0:1], 0x50
	s_load_b128 s[8:11], s[0:1], 0x0
	s_mov_b32 s2, s15
	s_mov_b32 s3, 0
	v_bfe_u32 v1, v0, 10, 10
	s_lshl_b64 s[16:17], s[2:3], 3
	s_mov_b32 s2, s3
	s_add_u32 s18, s20, s16
	s_addc_u32 s19, s21, s17
	s_add_u32 s20, s26, s16
	s_addc_u32 s21, s27, s17
	s_load_b64 s[18:19], s[18:19], 0x0
	v_and_b32_e32 v4, 0x3ff, v0
	v_lshlrev_b32_e32 v2, 5, v1
	v_dual_mov_b32 v6, s3 :: v_dual_mov_b32 v5, s2
	s_delay_alu instid0(VALU_DEP_3) | instskip(NEXT) | instid1(VALU_DEP_3)
	v_lshlrev_b32_e32 v0, 3, v4
	v_add_lshl_u32 v3, v2, v4, 3
	s_waitcnt lgkmcnt(0)
	s_add_u32 s4, s4, s16
	s_addc_u32 s5, s5, s17
	s_load_b64 s[16:17], s[20:21], 0x0
	s_load_b64 s[4:5], s[4:5], 0x0
	v_cmp_gt_i32_e64 s2, s10, v1
	v_cmp_gt_i32_e32 vcc_lo, s10, v4
	ds_store_2addr_stride64_b64 v3, v[5:6], v[5:6] offset1:16
	s_waitcnt lgkmcnt(0)
	s_barrier
	buffer_gl0_inv
	s_and_b32 s2, s2, vcc_lo
	s_delay_alu instid0(SALU_CYCLE_1)
	s_and_saveexec_b32 s3, s2
	s_cbranch_execz .LBB160_3
; %bb.2:
	v_mad_u64_u32 v[5:6], null, v1, s22, 0
	s_lshl_b64 s[20:21], s[24:25], 3
	s_delay_alu instid0(SALU_CYCLE_1) | instskip(SKIP_1) | instid1(VALU_DEP_1)
	s_add_u32 s2, s18, s20
	s_addc_u32 s10, s19, s21
	v_mad_u64_u32 v[7:8], null, v1, s23, v[6:7]
	s_delay_alu instid0(VALU_DEP_1) | instskip(NEXT) | instid1(VALU_DEP_1)
	v_dual_mov_b32 v6, v7 :: v_dual_lshlrev_b32 v7, 5, v4
	v_lshlrev_b64 v[5:6], 3, v[5:6]
	s_delay_alu instid0(VALU_DEP_2) | instskip(NEXT) | instid1(VALU_DEP_2)
	v_add_lshl_u32 v7, v7, v1, 3
	v_add_co_u32 v5, s2, s2, v5
	s_delay_alu instid0(VALU_DEP_1) | instskip(NEXT) | instid1(VALU_DEP_2)
	v_add_co_ci_u32_e64 v6, s2, s10, v6, s2
	v_add_co_u32 v5, s2, v5, v0
	s_delay_alu instid0(VALU_DEP_1)
	v_add_co_ci_u32_e64 v6, s2, 0, v6, s2
	global_load_b64 v[5:6], v[5:6], off
	s_waitcnt vmcnt(0)
	ds_store_b64 v7, v[5:6]
.LBB160_3:
	s_or_b32 exec_lo, exec_lo, s3
	s_add_i32 s2, s11, -1
	s_delay_alu instid0(SALU_CYCLE_1) | instskip(NEXT) | instid1(SALU_CYCLE_1)
	s_ashr_i32 s3, s2, 31
	s_lshr_b32 s3, s3, 27
	s_delay_alu instid0(SALU_CYCLE_1) | instskip(NEXT) | instid1(SALU_CYCLE_1)
	s_add_i32 s2, s2, s3
	s_and_b32 s3, s2, 0xffffffe0
	s_ashr_i32 s2, s2, 5
	s_sub_i32 s3, s11, s3
	s_cmp_ge_i32 s14, s2
	s_cselect_b32 s2, s3, 32
	s_lshl_b32 s3, s14, 5
	v_cmp_gt_i32_e64 s2, s2, v1
	s_ashr_i32 s10, s3, 31
	s_delay_alu instid0(VALU_DEP_1) | instskip(NEXT) | instid1(SALU_CYCLE_1)
	s_and_b32 s2, vcc_lo, s2
	s_and_saveexec_b32 s11, s2
	s_cbranch_execz .LBB160_5
; %bb.4:
	v_mad_u64_u32 v[5:6], null, v1, s28, 0
	s_lshl_b64 s[14:15], s[30:31], 3
	s_mul_i32 s18, s3, s29
	s_mul_hi_u32 s19, s3, s28
	s_add_u32 s16, s16, s14
	s_mul_i32 s20, s10, s28
	s_addc_u32 s17, s17, s15
	s_delay_alu instid0(VALU_DEP_1) | instskip(SKIP_3) | instid1(SALU_CYCLE_1)
	v_mad_u64_u32 v[7:8], null, v1, s29, v[6:7]
	s_add_i32 s15, s19, s18
	s_mul_i32 s14, s3, s28
	s_add_i32 s15, s15, s20
	s_lshl_b64 s[14:15], s[14:15], 3
	s_delay_alu instid0(SALU_CYCLE_1) | instskip(NEXT) | instid1(VALU_DEP_1)
	s_add_u32 s14, s16, s14
	v_dual_mov_b32 v6, v7 :: v_dual_add_nc_u32 v7, 0x2000, v3
	s_addc_u32 s15, s17, s15
	s_delay_alu instid0(VALU_DEP_1) | instskip(NEXT) | instid1(VALU_DEP_1)
	v_lshlrev_b64 v[5:6], 3, v[5:6]
	v_add_co_u32 v5, vcc_lo, s14, v5
	s_delay_alu instid0(VALU_DEP_2) | instskip(NEXT) | instid1(VALU_DEP_2)
	v_add_co_ci_u32_e32 v6, vcc_lo, s15, v6, vcc_lo
	v_add_co_u32 v5, vcc_lo, v5, v0
	s_delay_alu instid0(VALU_DEP_2)
	v_add_co_ci_u32_e32 v6, vcc_lo, 0, v6, vcc_lo
	global_load_b64 v[5:6], v[5:6], off
	s_waitcnt vmcnt(0)
	ds_store_b64 v7, v[5:6]
.LBB160_5:
	s_or_b32 exec_lo, exec_lo, s11
	v_cmp_eq_u32_e32 vcc_lo, v1, v4
	s_cmpk_eq_i32 s9, 0x84
	s_cselect_b32 s9, -1, 0
	s_delay_alu instid0(SALU_CYCLE_1) | instskip(NEXT) | instid1(SALU_CYCLE_1)
	s_and_b32 s11, vcc_lo, s9
	s_and_saveexec_b32 s9, s11
	s_cbranch_execz .LBB160_7
; %bb.6:
	v_dual_mov_b32 v5, 0 :: v_dual_mov_b32 v6, 0x3ff00000
	ds_store_b64 v3, v[5:6]
.LBB160_7:
	s_or_b32 exec_lo, exec_lo, s9
	s_cmpk_lg_i32 s8, 0x7a
	s_waitcnt lgkmcnt(0)
	s_barrier
	buffer_gl0_inv
	s_cbranch_scc0 .LBB160_9
; %bb.8:
	v_cmp_lt_u32_e32 vcc_lo, v4, v1
	s_and_b32 s8, vcc_lo, exec_lo
	s_cbranch_execz .LBB160_10
	s_branch .LBB160_11
.LBB160_9:
	s_mov_b32 s8, 0
.LBB160_10:
	v_cmp_gt_u32_e32 vcc_lo, v4, v1
	s_and_not1_b32 s8, s8, exec_lo
	s_and_b32 s9, vcc_lo, exec_lo
	s_delay_alu instid0(SALU_CYCLE_1)
	s_or_b32 s8, s8, s9
.LBB160_11:
	s_delay_alu instid0(SALU_CYCLE_1)
	s_and_saveexec_b32 s9, s8
	s_cbranch_execz .LBB160_13
; %bb.12:
	v_mov_b32_e32 v4, 0
	s_delay_alu instid0(VALU_DEP_1)
	v_mov_b32_e32 v5, v4
	ds_store_b64 v3, v[4:5]
.LBB160_13:
	s_or_b32 exec_lo, exec_lo, s9
	s_waitcnt lgkmcnt(0)
	s_barrier
	buffer_gl0_inv
	s_and_saveexec_b32 s8, s2
	s_cbranch_execz .LBB160_15
; %bb.14:
	v_lshlrev_b32_e32 v16, 3, v2
	v_add_nc_u32_e32 v17, 0x800, v0
	s_load_b64 s[0:1], s[0:1], 0x60
	s_mul_i32 s10, s10, s6
	ds_load_2addr_b64 v[2:5], v0 offset1:32
	ds_load_b128 v[6:9], v16 offset:8192
	ds_load_b128 v[10:13], v16 offset:8208
	s_waitcnt lgkmcnt(0)
	s_lshl_b64 s[0:1], s[0:1], 3
	v_fma_f64 v[2:3], v[2:3], v[6:7], 0
	s_add_u32 s2, s4, s0
	s_mul_i32 s0, s3, s7
	s_mul_hi_u32 s4, s3, s6
	s_addc_u32 s5, s5, s1
	s_add_i32 s0, s4, s0
	s_delay_alu instid0(SALU_CYCLE_1) | instskip(SKIP_1) | instid1(SALU_CYCLE_1)
	s_add_i32 s1, s0, s10
	s_mul_i32 s0, s3, s6
	s_lshl_b64 s[0:1], s[0:1], 3
	s_delay_alu instid0(SALU_CYCLE_1) | instskip(SKIP_1) | instid1(VALU_DEP_1)
	s_add_u32 s0, s2, s0
	s_addc_u32 s1, s5, s1
	v_fma_f64 v[6:7], v[4:5], v[8:9], v[2:3]
	ds_load_2addr_b64 v[2:5], v0 offset0:64 offset1:96
	s_waitcnt lgkmcnt(0)
	v_fma_f64 v[2:3], v[2:3], v[10:11], v[6:7]
	s_delay_alu instid0(VALU_DEP_1)
	v_fma_f64 v[14:15], v[4:5], v[12:13], v[2:3]
	ds_load_2addr_b64 v[2:5], v0 offset0:128 offset1:160
	ds_load_b128 v[6:9], v16 offset:8224
	ds_load_b128 v[10:13], v16 offset:8240
	s_waitcnt lgkmcnt(1)
	v_fma_f64 v[2:3], v[2:3], v[6:7], v[14:15]
	s_delay_alu instid0(VALU_DEP_1) | instskip(SKIP_3) | instid1(VALU_DEP_1)
	v_fma_f64 v[6:7], v[4:5], v[8:9], v[2:3]
	ds_load_2addr_b64 v[2:5], v0 offset0:192 offset1:224
	s_waitcnt lgkmcnt(0)
	v_fma_f64 v[2:3], v[2:3], v[10:11], v[6:7]
	v_fma_f64 v[14:15], v[4:5], v[12:13], v[2:3]
	ds_load_2addr_b64 v[2:5], v17 offset1:32
	ds_load_b128 v[6:9], v16 offset:8256
	ds_load_b128 v[10:13], v16 offset:8272
	s_waitcnt lgkmcnt(1)
	v_fma_f64 v[2:3], v[2:3], v[6:7], v[14:15]
	s_delay_alu instid0(VALU_DEP_1) | instskip(SKIP_3) | instid1(VALU_DEP_1)
	v_fma_f64 v[6:7], v[4:5], v[8:9], v[2:3]
	ds_load_2addr_b64 v[2:5], v17 offset0:64 offset1:96
	s_waitcnt lgkmcnt(0)
	v_fma_f64 v[2:3], v[2:3], v[10:11], v[6:7]
	v_fma_f64 v[14:15], v[4:5], v[12:13], v[2:3]
	ds_load_2addr_b64 v[2:5], v17 offset0:128 offset1:160
	ds_load_b128 v[6:9], v16 offset:8288
	ds_load_b128 v[10:13], v16 offset:8304
	s_waitcnt lgkmcnt(1)
	v_fma_f64 v[2:3], v[2:3], v[6:7], v[14:15]
	s_delay_alu instid0(VALU_DEP_1) | instskip(SKIP_4) | instid1(VALU_DEP_1)
	v_fma_f64 v[6:7], v[4:5], v[8:9], v[2:3]
	ds_load_2addr_b64 v[2:5], v17 offset0:192 offset1:224
	v_add_nc_u32_e32 v17, 0x1000, v0
	s_waitcnt lgkmcnt(0)
	v_fma_f64 v[2:3], v[2:3], v[10:11], v[6:7]
	v_fma_f64 v[14:15], v[4:5], v[12:13], v[2:3]
	ds_load_2addr_b64 v[2:5], v17 offset1:32
	ds_load_b128 v[6:9], v16 offset:8320
	ds_load_b128 v[10:13], v16 offset:8336
	s_waitcnt lgkmcnt(1)
	v_fma_f64 v[2:3], v[2:3], v[6:7], v[14:15]
	s_delay_alu instid0(VALU_DEP_1) | instskip(SKIP_3) | instid1(VALU_DEP_1)
	v_fma_f64 v[6:7], v[4:5], v[8:9], v[2:3]
	ds_load_2addr_b64 v[2:5], v17 offset0:64 offset1:96
	s_waitcnt lgkmcnt(0)
	v_fma_f64 v[2:3], v[2:3], v[10:11], v[6:7]
	v_fma_f64 v[14:15], v[4:5], v[12:13], v[2:3]
	ds_load_2addr_b64 v[2:5], v17 offset0:128 offset1:160
	ds_load_b128 v[6:9], v16 offset:8352
	ds_load_b128 v[10:13], v16 offset:8368
	s_waitcnt lgkmcnt(1)
	v_fma_f64 v[2:3], v[2:3], v[6:7], v[14:15]
	s_delay_alu instid0(VALU_DEP_1) | instskip(SKIP_4) | instid1(VALU_DEP_1)
	v_fma_f64 v[6:7], v[4:5], v[8:9], v[2:3]
	ds_load_2addr_b64 v[2:5], v17 offset0:192 offset1:224
	v_add_nc_u32_e32 v17, 0x1800, v0
	s_waitcnt lgkmcnt(0)
	v_fma_f64 v[2:3], v[2:3], v[10:11], v[6:7]
	v_fma_f64 v[14:15], v[4:5], v[12:13], v[2:3]
	ds_load_2addr_b64 v[2:5], v17 offset1:32
	ds_load_b128 v[6:9], v16 offset:8384
	ds_load_b128 v[10:13], v16 offset:8400
	s_waitcnt lgkmcnt(1)
	v_fma_f64 v[2:3], v[2:3], v[6:7], v[14:15]
	s_delay_alu instid0(VALU_DEP_1) | instskip(SKIP_3) | instid1(VALU_DEP_1)
	v_fma_f64 v[6:7], v[4:5], v[8:9], v[2:3]
	ds_load_2addr_b64 v[2:5], v17 offset0:64 offset1:96
	s_waitcnt lgkmcnt(0)
	v_fma_f64 v[2:3], v[2:3], v[10:11], v[6:7]
	v_fma_f64 v[14:15], v[4:5], v[12:13], v[2:3]
	ds_load_2addr_b64 v[2:5], v17 offset0:128 offset1:160
	ds_load_b128 v[6:9], v16 offset:8416
	ds_load_b128 v[10:13], v16 offset:8432
	s_waitcnt lgkmcnt(1)
	v_fma_f64 v[2:3], v[2:3], v[6:7], v[14:15]
	s_delay_alu instid0(VALU_DEP_1) | instskip(SKIP_3) | instid1(VALU_DEP_1)
	v_fma_f64 v[6:7], v[4:5], v[8:9], v[2:3]
	ds_load_2addr_b64 v[2:5], v17 offset0:192 offset1:224
	s_waitcnt lgkmcnt(0)
	v_fma_f64 v[2:3], v[2:3], v[10:11], v[6:7]
	v_fma_f64 v[2:3], v[4:5], v[12:13], v[2:3]
	v_mad_u64_u32 v[4:5], null, v1, s6, 0
	s_delay_alu instid0(VALU_DEP_1) | instskip(NEXT) | instid1(VALU_DEP_1)
	v_mad_u64_u32 v[6:7], null, v1, s7, v[5:6]
	v_mov_b32_e32 v5, v6
	s_delay_alu instid0(VALU_DEP_1) | instskip(NEXT) | instid1(VALU_DEP_1)
	v_lshlrev_b64 v[4:5], 3, v[4:5]
	v_add_co_u32 v1, vcc_lo, s0, v4
	s_delay_alu instid0(VALU_DEP_2) | instskip(NEXT) | instid1(VALU_DEP_2)
	v_add_co_ci_u32_e32 v4, vcc_lo, s1, v5, vcc_lo
	v_add_co_u32 v0, vcc_lo, v1, v0
	s_delay_alu instid0(VALU_DEP_2)
	v_add_co_ci_u32_e32 v1, vcc_lo, 0, v4, vcc_lo
	v_mul_f64 v[2:3], s[12:13], v[2:3]
	global_store_b64 v[0:1], v[2:3], off
.LBB160_15:
	s_nop 0
	s_sendmsg sendmsg(MSG_DEALLOC_VGPRS)
	s_endpgm
	.section	.rodata,"a",@progbits
	.p2align	6, 0x0
	.amdhsa_kernel _ZL23rocblas_trmm_lTx_kernelILi32ELb1EdPKdKS1_KPdEv13rocblas_fill_17rocblas_diagonal_iiT2_lPT3_llS9_llPT4_lli
		.amdhsa_group_segment_fixed_size 16384
		.amdhsa_private_segment_fixed_size 0
		.amdhsa_kernarg_size 108
		.amdhsa_user_sgpr_count 14
		.amdhsa_user_sgpr_dispatch_ptr 0
		.amdhsa_user_sgpr_queue_ptr 0
		.amdhsa_user_sgpr_kernarg_segment_ptr 1
		.amdhsa_user_sgpr_dispatch_id 0
		.amdhsa_user_sgpr_private_segment_size 0
		.amdhsa_wavefront_size32 1
		.amdhsa_uses_dynamic_stack 0
		.amdhsa_enable_private_segment 0
		.amdhsa_system_sgpr_workgroup_id_x 1
		.amdhsa_system_sgpr_workgroup_id_y 0
		.amdhsa_system_sgpr_workgroup_id_z 1
		.amdhsa_system_sgpr_workgroup_info 0
		.amdhsa_system_vgpr_workitem_id 1
		.amdhsa_next_free_vgpr 18
		.amdhsa_next_free_sgpr 32
		.amdhsa_reserve_vcc 1
		.amdhsa_float_round_mode_32 0
		.amdhsa_float_round_mode_16_64 0
		.amdhsa_float_denorm_mode_32 3
		.amdhsa_float_denorm_mode_16_64 3
		.amdhsa_dx10_clamp 1
		.amdhsa_ieee_mode 1
		.amdhsa_fp16_overflow 0
		.amdhsa_workgroup_processor_mode 1
		.amdhsa_memory_ordered 1
		.amdhsa_forward_progress 0
		.amdhsa_shared_vgpr_count 0
		.amdhsa_exception_fp_ieee_invalid_op 0
		.amdhsa_exception_fp_denorm_src 0
		.amdhsa_exception_fp_ieee_div_zero 0
		.amdhsa_exception_fp_ieee_overflow 0
		.amdhsa_exception_fp_ieee_underflow 0
		.amdhsa_exception_fp_ieee_inexact 0
		.amdhsa_exception_int_div_zero 0
	.end_amdhsa_kernel
	.section	.text._ZL23rocblas_trmm_lTx_kernelILi32ELb1EdPKdKS1_KPdEv13rocblas_fill_17rocblas_diagonal_iiT2_lPT3_llS9_llPT4_lli,"axG",@progbits,_ZL23rocblas_trmm_lTx_kernelILi32ELb1EdPKdKS1_KPdEv13rocblas_fill_17rocblas_diagonal_iiT2_lPT3_llS9_llPT4_lli,comdat
.Lfunc_end160:
	.size	_ZL23rocblas_trmm_lTx_kernelILi32ELb1EdPKdKS1_KPdEv13rocblas_fill_17rocblas_diagonal_iiT2_lPT3_llS9_llPT4_lli, .Lfunc_end160-_ZL23rocblas_trmm_lTx_kernelILi32ELb1EdPKdKS1_KPdEv13rocblas_fill_17rocblas_diagonal_iiT2_lPT3_llS9_llPT4_lli
                                        ; -- End function
	.section	.AMDGPU.csdata,"",@progbits
; Kernel info:
; codeLenInByte = 1592
; NumSgprs: 34
; NumVgprs: 18
; ScratchSize: 0
; MemoryBound: 0
; FloatMode: 240
; IeeeMode: 1
; LDSByteSize: 16384 bytes/workgroup (compile time only)
; SGPRBlocks: 4
; VGPRBlocks: 2
; NumSGPRsForWavesPerEU: 34
; NumVGPRsForWavesPerEU: 18
; Occupancy: 16
; WaveLimiterHint : 1
; COMPUTE_PGM_RSRC2:SCRATCH_EN: 0
; COMPUTE_PGM_RSRC2:USER_SGPR: 14
; COMPUTE_PGM_RSRC2:TRAP_HANDLER: 0
; COMPUTE_PGM_RSRC2:TGID_X_EN: 1
; COMPUTE_PGM_RSRC2:TGID_Y_EN: 0
; COMPUTE_PGM_RSRC2:TGID_Z_EN: 1
; COMPUTE_PGM_RSRC2:TIDIG_COMP_CNT: 1
	.section	.text._ZL23rocblas_trmm_lTx_kernelILi32ELb1EddKPKdKPdEv13rocblas_fill_17rocblas_diagonal_iiT2_lPT3_llS9_llPT4_lli,"axG",@progbits,_ZL23rocblas_trmm_lTx_kernelILi32ELb1EddKPKdKPdEv13rocblas_fill_17rocblas_diagonal_iiT2_lPT3_llS9_llPT4_lli,comdat
	.globl	_ZL23rocblas_trmm_lTx_kernelILi32ELb1EddKPKdKPdEv13rocblas_fill_17rocblas_diagonal_iiT2_lPT3_llS9_llPT4_lli ; -- Begin function _ZL23rocblas_trmm_lTx_kernelILi32ELb1EddKPKdKPdEv13rocblas_fill_17rocblas_diagonal_iiT2_lPT3_llS9_llPT4_lli
	.p2align	8
	.type	_ZL23rocblas_trmm_lTx_kernelILi32ELb1EddKPKdKPdEv13rocblas_fill_17rocblas_diagonal_iiT2_lPT3_llS9_llPT4_lli,@function
_ZL23rocblas_trmm_lTx_kernelILi32ELb1EddKPKdKPdEv13rocblas_fill_17rocblas_diagonal_iiT2_lPT3_llS9_llPT4_lli: ; @_ZL23rocblas_trmm_lTx_kernelILi32ELb1EddKPKdKPdEv13rocblas_fill_17rocblas_diagonal_iiT2_lPT3_llS9_llPT4_lli
; %bb.0:
	s_load_b64 s[8:9], s[0:1], 0x10
	s_waitcnt lgkmcnt(0)
	v_cmp_eq_f64_e64 s3, s[8:9], 0
	s_delay_alu instid0(VALU_DEP_1)
	s_and_b32 vcc_lo, exec_lo, s3
	s_cbranch_vccnz .LBB161_15
; %bb.1:
	s_load_b512 s[16:31], s[0:1], 0x20
	s_mov_b32 s2, s15
	s_mov_b32 s3, 0
	s_load_b128 s[4:7], s[0:1], 0x0
	s_lshl_b64 s[10:11], s[2:3], 3
	v_bfe_u32 v1, v0, 10, 10
	s_mov_b32 s2, s3
	v_and_b32_e32 v4, 0x3ff, v0
	v_dual_mov_b32 v6, s3 :: v_dual_mov_b32 v5, s2
	s_delay_alu instid0(VALU_DEP_3) | instskip(NEXT) | instid1(VALU_DEP_3)
	v_lshlrev_b32_e32 v2, 5, v1
	v_lshlrev_b32_e32 v0, 3, v4
	s_delay_alu instid0(VALU_DEP_2)
	v_add_lshl_u32 v3, v2, v4, 3
	s_waitcnt lgkmcnt(0)
	s_add_u32 s12, s16, s10
	s_addc_u32 s13, s17, s11
	s_add_u32 s22, s22, s10
	s_addc_u32 s23, s23, s11
	;; [unrolled: 2-line block ×3, first 2 shown]
	s_load_b64 s[16:17], s[12:13], 0x0
	s_load_b64 s[12:13], s[22:23], 0x0
	;; [unrolled: 1-line block ×3, first 2 shown]
	v_cmp_gt_i32_e64 s2, s6, v1
	v_cmp_gt_i32_e32 vcc_lo, s6, v4
	ds_store_2addr_stride64_b64 v3, v[5:6], v[5:6] offset1:16
	s_waitcnt lgkmcnt(0)
	s_barrier
	buffer_gl0_inv
	s_and_b32 s2, s2, vcc_lo
	s_delay_alu instid0(SALU_CYCLE_1)
	s_and_saveexec_b32 s3, s2
	s_cbranch_execz .LBB161_3
; %bb.2:
	v_mad_u64_u32 v[5:6], null, v1, s18, 0
	s_delay_alu instid0(VALU_DEP_1) | instskip(SKIP_1) | instid1(SALU_CYCLE_1)
	v_mad_u64_u32 v[7:8], null, v1, s19, v[6:7]
	s_lshl_b64 s[18:19], s[20:21], 3
	s_add_u32 s2, s16, s18
	s_addc_u32 s6, s17, s19
	s_delay_alu instid0(VALU_DEP_1) | instskip(NEXT) | instid1(VALU_DEP_1)
	v_dual_mov_b32 v6, v7 :: v_dual_lshlrev_b32 v7, 5, v4
	v_lshlrev_b64 v[5:6], 3, v[5:6]
	s_delay_alu instid0(VALU_DEP_2) | instskip(NEXT) | instid1(VALU_DEP_2)
	v_add_lshl_u32 v7, v7, v1, 3
	v_add_co_u32 v5, s2, s2, v5
	s_delay_alu instid0(VALU_DEP_1) | instskip(NEXT) | instid1(VALU_DEP_2)
	v_add_co_ci_u32_e64 v6, s2, s6, v6, s2
	v_add_co_u32 v5, s2, v5, v0
	s_delay_alu instid0(VALU_DEP_1)
	v_add_co_ci_u32_e64 v6, s2, 0, v6, s2
	global_load_b64 v[5:6], v[5:6], off
	s_waitcnt vmcnt(0)
	ds_store_b64 v7, v[5:6]
.LBB161_3:
	s_or_b32 exec_lo, exec_lo, s3
	s_add_i32 s2, s7, -1
	s_delay_alu instid0(SALU_CYCLE_1) | instskip(NEXT) | instid1(SALU_CYCLE_1)
	s_ashr_i32 s3, s2, 31
	s_lshr_b32 s3, s3, 27
	s_delay_alu instid0(SALU_CYCLE_1) | instskip(NEXT) | instid1(SALU_CYCLE_1)
	s_add_i32 s2, s2, s3
	s_and_b32 s3, s2, 0xffffffe0
	s_ashr_i32 s2, s2, 5
	s_sub_i32 s3, s7, s3
	s_cmp_ge_i32 s14, s2
	s_cselect_b32 s2, s3, 32
	s_lshl_b32 s3, s14, 5
	v_cmp_gt_i32_e64 s2, s2, v1
	s_ashr_i32 s6, s3, 31
	s_delay_alu instid0(VALU_DEP_1) | instskip(NEXT) | instid1(SALU_CYCLE_1)
	s_and_b32 s2, vcc_lo, s2
	s_and_saveexec_b32 s7, s2
	s_cbranch_execz .LBB161_5
; %bb.4:
	v_mad_u64_u32 v[5:6], null, v1, s24, 0
	s_lshl_b64 s[14:15], s[26:27], 3
	s_mul_i32 s16, s3, s25
	s_mul_hi_u32 s17, s3, s24
	s_add_u32 s14, s12, s14
	s_mul_i32 s18, s6, s24
	s_addc_u32 s15, s13, s15
	s_delay_alu instid0(VALU_DEP_1) | instskip(SKIP_3) | instid1(SALU_CYCLE_1)
	v_mad_u64_u32 v[7:8], null, v1, s25, v[6:7]
	s_add_i32 s13, s17, s16
	s_mul_i32 s12, s3, s24
	s_add_i32 s13, s13, s18
	s_lshl_b64 s[12:13], s[12:13], 3
	s_delay_alu instid0(SALU_CYCLE_1) | instskip(NEXT) | instid1(VALU_DEP_1)
	s_add_u32 s12, s14, s12
	v_dual_mov_b32 v6, v7 :: v_dual_add_nc_u32 v7, 0x2000, v3
	s_addc_u32 s13, s15, s13
	s_delay_alu instid0(VALU_DEP_1) | instskip(NEXT) | instid1(VALU_DEP_1)
	v_lshlrev_b64 v[5:6], 3, v[5:6]
	v_add_co_u32 v5, vcc_lo, s12, v5
	s_delay_alu instid0(VALU_DEP_2) | instskip(NEXT) | instid1(VALU_DEP_2)
	v_add_co_ci_u32_e32 v6, vcc_lo, s13, v6, vcc_lo
	v_add_co_u32 v5, vcc_lo, v5, v0
	s_delay_alu instid0(VALU_DEP_2)
	v_add_co_ci_u32_e32 v6, vcc_lo, 0, v6, vcc_lo
	global_load_b64 v[5:6], v[5:6], off
	s_waitcnt vmcnt(0)
	ds_store_b64 v7, v[5:6]
.LBB161_5:
	s_or_b32 exec_lo, exec_lo, s7
	v_cmp_eq_u32_e32 vcc_lo, v1, v4
	s_cmpk_eq_i32 s5, 0x84
	s_cselect_b32 s5, -1, 0
	s_delay_alu instid0(SALU_CYCLE_1) | instskip(NEXT) | instid1(SALU_CYCLE_1)
	s_and_b32 s7, vcc_lo, s5
	s_and_saveexec_b32 s5, s7
	s_cbranch_execz .LBB161_7
; %bb.6:
	v_dual_mov_b32 v5, 0 :: v_dual_mov_b32 v6, 0x3ff00000
	ds_store_b64 v3, v[5:6]
.LBB161_7:
	s_or_b32 exec_lo, exec_lo, s5
	s_cmpk_lg_i32 s4, 0x7a
	s_waitcnt lgkmcnt(0)
	s_barrier
	buffer_gl0_inv
	s_cbranch_scc0 .LBB161_9
; %bb.8:
	v_cmp_lt_u32_e32 vcc_lo, v4, v1
	s_and_b32 s4, vcc_lo, exec_lo
	s_cbranch_execz .LBB161_10
	s_branch .LBB161_11
.LBB161_9:
	s_mov_b32 s4, 0
.LBB161_10:
	v_cmp_gt_u32_e32 vcc_lo, v4, v1
	s_and_not1_b32 s4, s4, exec_lo
	s_and_b32 s5, vcc_lo, exec_lo
	s_delay_alu instid0(SALU_CYCLE_1)
	s_or_b32 s4, s4, s5
.LBB161_11:
	s_delay_alu instid0(SALU_CYCLE_1)
	s_and_saveexec_b32 s5, s4
	s_cbranch_execz .LBB161_13
; %bb.12:
	v_mov_b32_e32 v4, 0
	s_delay_alu instid0(VALU_DEP_1)
	v_mov_b32_e32 v5, v4
	ds_store_b64 v3, v[4:5]
.LBB161_13:
	s_or_b32 exec_lo, exec_lo, s5
	s_waitcnt lgkmcnt(0)
	s_barrier
	buffer_gl0_inv
	s_and_saveexec_b32 s4, s2
	s_cbranch_execz .LBB161_15
; %bb.14:
	v_lshlrev_b32_e32 v16, 3, v2
	v_add_nc_u32_e32 v17, 0x800, v0
	s_load_b64 s[0:1], s[0:1], 0x60
	s_mul_hi_u32 s4, s3, s30
	ds_load_2addr_b64 v[2:5], v0 offset1:32
	ds_load_b128 v[6:9], v16 offset:8192
	ds_load_b128 v[10:13], v16 offset:8208
	s_mul_i32 s6, s6, s30
	s_waitcnt lgkmcnt(0)
	s_lshl_b64 s[0:1], s[0:1], 3
	v_fma_f64 v[2:3], v[2:3], v[6:7], 0
	s_add_u32 s2, s10, s0
	s_mul_i32 s0, s3, s31
	s_addc_u32 s5, s11, s1
	s_add_i32 s0, s4, s0
	s_delay_alu instid0(SALU_CYCLE_1) | instskip(SKIP_1) | instid1(SALU_CYCLE_1)
	s_add_i32 s1, s0, s6
	s_mul_i32 s0, s3, s30
	s_lshl_b64 s[0:1], s[0:1], 3
	s_delay_alu instid0(SALU_CYCLE_1) | instskip(SKIP_1) | instid1(VALU_DEP_1)
	s_add_u32 s0, s2, s0
	s_addc_u32 s1, s5, s1
	v_fma_f64 v[6:7], v[4:5], v[8:9], v[2:3]
	ds_load_2addr_b64 v[2:5], v0 offset0:64 offset1:96
	s_waitcnt lgkmcnt(0)
	v_fma_f64 v[2:3], v[2:3], v[10:11], v[6:7]
	s_delay_alu instid0(VALU_DEP_1)
	v_fma_f64 v[14:15], v[4:5], v[12:13], v[2:3]
	ds_load_2addr_b64 v[2:5], v0 offset0:128 offset1:160
	ds_load_b128 v[6:9], v16 offset:8224
	ds_load_b128 v[10:13], v16 offset:8240
	s_waitcnt lgkmcnt(1)
	v_fma_f64 v[2:3], v[2:3], v[6:7], v[14:15]
	s_delay_alu instid0(VALU_DEP_1) | instskip(SKIP_3) | instid1(VALU_DEP_1)
	v_fma_f64 v[6:7], v[4:5], v[8:9], v[2:3]
	ds_load_2addr_b64 v[2:5], v0 offset0:192 offset1:224
	s_waitcnt lgkmcnt(0)
	v_fma_f64 v[2:3], v[2:3], v[10:11], v[6:7]
	v_fma_f64 v[14:15], v[4:5], v[12:13], v[2:3]
	ds_load_2addr_b64 v[2:5], v17 offset1:32
	ds_load_b128 v[6:9], v16 offset:8256
	ds_load_b128 v[10:13], v16 offset:8272
	s_waitcnt lgkmcnt(1)
	v_fma_f64 v[2:3], v[2:3], v[6:7], v[14:15]
	s_delay_alu instid0(VALU_DEP_1) | instskip(SKIP_3) | instid1(VALU_DEP_1)
	v_fma_f64 v[6:7], v[4:5], v[8:9], v[2:3]
	ds_load_2addr_b64 v[2:5], v17 offset0:64 offset1:96
	s_waitcnt lgkmcnt(0)
	v_fma_f64 v[2:3], v[2:3], v[10:11], v[6:7]
	v_fma_f64 v[14:15], v[4:5], v[12:13], v[2:3]
	ds_load_2addr_b64 v[2:5], v17 offset0:128 offset1:160
	ds_load_b128 v[6:9], v16 offset:8288
	ds_load_b128 v[10:13], v16 offset:8304
	s_waitcnt lgkmcnt(1)
	v_fma_f64 v[2:3], v[2:3], v[6:7], v[14:15]
	s_delay_alu instid0(VALU_DEP_1) | instskip(SKIP_4) | instid1(VALU_DEP_1)
	v_fma_f64 v[6:7], v[4:5], v[8:9], v[2:3]
	ds_load_2addr_b64 v[2:5], v17 offset0:192 offset1:224
	v_add_nc_u32_e32 v17, 0x1000, v0
	s_waitcnt lgkmcnt(0)
	v_fma_f64 v[2:3], v[2:3], v[10:11], v[6:7]
	v_fma_f64 v[14:15], v[4:5], v[12:13], v[2:3]
	ds_load_2addr_b64 v[2:5], v17 offset1:32
	ds_load_b128 v[6:9], v16 offset:8320
	ds_load_b128 v[10:13], v16 offset:8336
	s_waitcnt lgkmcnt(1)
	v_fma_f64 v[2:3], v[2:3], v[6:7], v[14:15]
	s_delay_alu instid0(VALU_DEP_1) | instskip(SKIP_3) | instid1(VALU_DEP_1)
	v_fma_f64 v[6:7], v[4:5], v[8:9], v[2:3]
	ds_load_2addr_b64 v[2:5], v17 offset0:64 offset1:96
	s_waitcnt lgkmcnt(0)
	v_fma_f64 v[2:3], v[2:3], v[10:11], v[6:7]
	v_fma_f64 v[14:15], v[4:5], v[12:13], v[2:3]
	ds_load_2addr_b64 v[2:5], v17 offset0:128 offset1:160
	ds_load_b128 v[6:9], v16 offset:8352
	ds_load_b128 v[10:13], v16 offset:8368
	s_waitcnt lgkmcnt(1)
	v_fma_f64 v[2:3], v[2:3], v[6:7], v[14:15]
	s_delay_alu instid0(VALU_DEP_1) | instskip(SKIP_4) | instid1(VALU_DEP_1)
	v_fma_f64 v[6:7], v[4:5], v[8:9], v[2:3]
	ds_load_2addr_b64 v[2:5], v17 offset0:192 offset1:224
	v_add_nc_u32_e32 v17, 0x1800, v0
	s_waitcnt lgkmcnt(0)
	v_fma_f64 v[2:3], v[2:3], v[10:11], v[6:7]
	v_fma_f64 v[14:15], v[4:5], v[12:13], v[2:3]
	ds_load_2addr_b64 v[2:5], v17 offset1:32
	ds_load_b128 v[6:9], v16 offset:8384
	ds_load_b128 v[10:13], v16 offset:8400
	s_waitcnt lgkmcnt(1)
	v_fma_f64 v[2:3], v[2:3], v[6:7], v[14:15]
	s_delay_alu instid0(VALU_DEP_1) | instskip(SKIP_3) | instid1(VALU_DEP_1)
	v_fma_f64 v[6:7], v[4:5], v[8:9], v[2:3]
	ds_load_2addr_b64 v[2:5], v17 offset0:64 offset1:96
	s_waitcnt lgkmcnt(0)
	v_fma_f64 v[2:3], v[2:3], v[10:11], v[6:7]
	v_fma_f64 v[14:15], v[4:5], v[12:13], v[2:3]
	ds_load_2addr_b64 v[2:5], v17 offset0:128 offset1:160
	ds_load_b128 v[6:9], v16 offset:8416
	ds_load_b128 v[10:13], v16 offset:8432
	s_waitcnt lgkmcnt(1)
	v_fma_f64 v[2:3], v[2:3], v[6:7], v[14:15]
	s_delay_alu instid0(VALU_DEP_1) | instskip(SKIP_3) | instid1(VALU_DEP_1)
	v_fma_f64 v[6:7], v[4:5], v[8:9], v[2:3]
	ds_load_2addr_b64 v[2:5], v17 offset0:192 offset1:224
	s_waitcnt lgkmcnt(0)
	v_fma_f64 v[2:3], v[2:3], v[10:11], v[6:7]
	v_fma_f64 v[2:3], v[4:5], v[12:13], v[2:3]
	v_mad_u64_u32 v[4:5], null, v1, s30, 0
	s_delay_alu instid0(VALU_DEP_1) | instskip(NEXT) | instid1(VALU_DEP_1)
	v_mad_u64_u32 v[6:7], null, v1, s31, v[5:6]
	v_mov_b32_e32 v5, v6
	s_delay_alu instid0(VALU_DEP_1) | instskip(NEXT) | instid1(VALU_DEP_1)
	v_lshlrev_b64 v[4:5], 3, v[4:5]
	v_add_co_u32 v1, vcc_lo, s0, v4
	s_delay_alu instid0(VALU_DEP_2) | instskip(NEXT) | instid1(VALU_DEP_2)
	v_add_co_ci_u32_e32 v4, vcc_lo, s1, v5, vcc_lo
	v_add_co_u32 v0, vcc_lo, v1, v0
	s_delay_alu instid0(VALU_DEP_2)
	v_add_co_ci_u32_e32 v1, vcc_lo, 0, v4, vcc_lo
	v_mul_f64 v[2:3], v[2:3], s[8:9]
	global_store_b64 v[0:1], v[2:3], off
.LBB161_15:
	s_nop 0
	s_sendmsg sendmsg(MSG_DEALLOC_VGPRS)
	s_endpgm
	.section	.rodata,"a",@progbits
	.p2align	6, 0x0
	.amdhsa_kernel _ZL23rocblas_trmm_lTx_kernelILi32ELb1EddKPKdKPdEv13rocblas_fill_17rocblas_diagonal_iiT2_lPT3_llS9_llPT4_lli
		.amdhsa_group_segment_fixed_size 16384
		.amdhsa_private_segment_fixed_size 0
		.amdhsa_kernarg_size 108
		.amdhsa_user_sgpr_count 14
		.amdhsa_user_sgpr_dispatch_ptr 0
		.amdhsa_user_sgpr_queue_ptr 0
		.amdhsa_user_sgpr_kernarg_segment_ptr 1
		.amdhsa_user_sgpr_dispatch_id 0
		.amdhsa_user_sgpr_private_segment_size 0
		.amdhsa_wavefront_size32 1
		.amdhsa_uses_dynamic_stack 0
		.amdhsa_enable_private_segment 0
		.amdhsa_system_sgpr_workgroup_id_x 1
		.amdhsa_system_sgpr_workgroup_id_y 0
		.amdhsa_system_sgpr_workgroup_id_z 1
		.amdhsa_system_sgpr_workgroup_info 0
		.amdhsa_system_vgpr_workitem_id 1
		.amdhsa_next_free_vgpr 18
		.amdhsa_next_free_sgpr 32
		.amdhsa_reserve_vcc 1
		.amdhsa_float_round_mode_32 0
		.amdhsa_float_round_mode_16_64 0
		.amdhsa_float_denorm_mode_32 3
		.amdhsa_float_denorm_mode_16_64 3
		.amdhsa_dx10_clamp 1
		.amdhsa_ieee_mode 1
		.amdhsa_fp16_overflow 0
		.amdhsa_workgroup_processor_mode 1
		.amdhsa_memory_ordered 1
		.amdhsa_forward_progress 0
		.amdhsa_shared_vgpr_count 0
		.amdhsa_exception_fp_ieee_invalid_op 0
		.amdhsa_exception_fp_denorm_src 0
		.amdhsa_exception_fp_ieee_div_zero 0
		.amdhsa_exception_fp_ieee_overflow 0
		.amdhsa_exception_fp_ieee_underflow 0
		.amdhsa_exception_fp_ieee_inexact 0
		.amdhsa_exception_int_div_zero 0
	.end_amdhsa_kernel
	.section	.text._ZL23rocblas_trmm_lTx_kernelILi32ELb1EddKPKdKPdEv13rocblas_fill_17rocblas_diagonal_iiT2_lPT3_llS9_llPT4_lli,"axG",@progbits,_ZL23rocblas_trmm_lTx_kernelILi32ELb1EddKPKdKPdEv13rocblas_fill_17rocblas_diagonal_iiT2_lPT3_llS9_llPT4_lli,comdat
.Lfunc_end161:
	.size	_ZL23rocblas_trmm_lTx_kernelILi32ELb1EddKPKdKPdEv13rocblas_fill_17rocblas_diagonal_iiT2_lPT3_llS9_llPT4_lli, .Lfunc_end161-_ZL23rocblas_trmm_lTx_kernelILi32ELb1EddKPKdKPdEv13rocblas_fill_17rocblas_diagonal_iiT2_lPT3_llS9_llPT4_lli
                                        ; -- End function
	.section	.AMDGPU.csdata,"",@progbits
; Kernel info:
; codeLenInByte = 1548
; NumSgprs: 34
; NumVgprs: 18
; ScratchSize: 0
; MemoryBound: 0
; FloatMode: 240
; IeeeMode: 1
; LDSByteSize: 16384 bytes/workgroup (compile time only)
; SGPRBlocks: 4
; VGPRBlocks: 2
; NumSGPRsForWavesPerEU: 34
; NumVGPRsForWavesPerEU: 18
; Occupancy: 16
; WaveLimiterHint : 1
; COMPUTE_PGM_RSRC2:SCRATCH_EN: 0
; COMPUTE_PGM_RSRC2:USER_SGPR: 14
; COMPUTE_PGM_RSRC2:TRAP_HANDLER: 0
; COMPUTE_PGM_RSRC2:TGID_X_EN: 1
; COMPUTE_PGM_RSRC2:TGID_Y_EN: 0
; COMPUTE_PGM_RSRC2:TGID_Z_EN: 1
; COMPUTE_PGM_RSRC2:TIDIG_COMP_CNT: 1
	.section	.text._ZL23rocblas_trmm_rNx_kernelILi32EdPKdKS1_KPdEv13rocblas_fill_17rocblas_diagonal_iiT1_lPT2_llS9_llPT3_lli,"axG",@progbits,_ZL23rocblas_trmm_rNx_kernelILi32EdPKdKS1_KPdEv13rocblas_fill_17rocblas_diagonal_iiT1_lPT2_llS9_llPT3_lli,comdat
	.globl	_ZL23rocblas_trmm_rNx_kernelILi32EdPKdKS1_KPdEv13rocblas_fill_17rocblas_diagonal_iiT1_lPT2_llS9_llPT3_lli ; -- Begin function _ZL23rocblas_trmm_rNx_kernelILi32EdPKdKS1_KPdEv13rocblas_fill_17rocblas_diagonal_iiT1_lPT2_llS9_llPT3_lli
	.p2align	8
	.type	_ZL23rocblas_trmm_rNx_kernelILi32EdPKdKS1_KPdEv13rocblas_fill_17rocblas_diagonal_iiT1_lPT2_llS9_llPT3_lli,@function
_ZL23rocblas_trmm_rNx_kernelILi32EdPKdKS1_KPdEv13rocblas_fill_17rocblas_diagonal_iiT1_lPT2_llS9_llPT3_lli: ; @_ZL23rocblas_trmm_rNx_kernelILi32EdPKdKS1_KPdEv13rocblas_fill_17rocblas_diagonal_iiT1_lPT2_llS9_llPT3_lli
; %bb.0:
	s_load_b512 s[16:31], s[0:1], 0x10
	s_waitcnt lgkmcnt(0)
	s_mul_i32 s2, s15, s19
	s_mul_hi_u32 s3, s15, s18
	s_delay_alu instid0(SALU_CYCLE_1) | instskip(SKIP_1) | instid1(SALU_CYCLE_1)
	s_add_i32 s3, s3, s2
	s_mul_i32 s2, s15, s18
	s_lshl_b64 s[2:3], s[2:3], 3
	s_delay_alu instid0(SALU_CYCLE_1) | instskip(SKIP_4) | instid1(VALU_DEP_1)
	s_add_u32 s2, s16, s2
	s_addc_u32 s3, s17, s3
	s_load_b64 s[12:13], s[2:3], 0x0
	s_waitcnt lgkmcnt(0)
	v_cmp_eq_f64_e64 s2, s[12:13], 0
	s_and_b32 vcc_lo, exec_lo, s2
	s_cbranch_vccnz .LBB162_15
; %bb.1:
	s_clause 0x1
	s_load_b128 s[4:7], s[0:1], 0x50
	s_load_b128 s[8:11], s[0:1], 0x0
	s_mov_b32 s34, s15
	s_mov_b32 s35, 0
	v_bfe_u32 v1, v0, 10, 10
	s_lshl_b64 s[18:19], s[34:35], 3
	s_mov_b32 s34, s35
	s_add_u32 s2, s26, s18
	s_addc_u32 s3, s27, s19
	v_dual_mov_b32 v5, s34 :: v_dual_and_b32 v4, 0x3ff, v0
	v_lshlrev_b32_e32 v2, 5, v1
	v_mov_b32_e32 v6, s35
	s_delay_alu instid0(VALU_DEP_3) | instskip(NEXT) | instid1(VALU_DEP_3)
	v_lshlrev_b32_e32 v0, 3, v4
	v_add_lshl_u32 v3, v2, v4, 3
	s_waitcnt lgkmcnt(0)
	s_add_u32 s4, s4, s18
	s_addc_u32 s5, s5, s19
	s_load_b64 s[16:17], s[2:3], 0x0
	s_load_b64 s[4:5], s[4:5], 0x0
	v_cmp_gt_i32_e32 vcc_lo, s11, v1
	v_cmp_gt_i32_e64 s2, s11, v4
	ds_store_2addr_stride64_b64 v3, v[5:6], v[5:6] offset1:16
	s_and_b32 s2, vcc_lo, s2
	s_delay_alu instid0(SALU_CYCLE_1)
	s_and_saveexec_b32 s3, s2
	s_cbranch_execz .LBB162_3
; %bb.2:
	v_mad_u64_u32 v[5:6], null, v1, s22, 0
	s_add_u32 s18, s20, s18
	s_addc_u32 s19, s21, s19
	s_lshl_b64 s[20:21], s[24:25], 3
	s_load_b64 s[18:19], s[18:19], 0x0
	s_delay_alu instid0(VALU_DEP_1) | instskip(NEXT) | instid1(VALU_DEP_1)
	v_mad_u64_u32 v[7:8], null, v1, s23, v[6:7]
	v_mov_b32_e32 v6, v7
	s_delay_alu instid0(VALU_DEP_1) | instskip(SKIP_3) | instid1(VALU_DEP_1)
	v_lshlrev_b64 v[5:6], 3, v[5:6]
	s_waitcnt lgkmcnt(0)
	s_add_u32 s2, s18, s20
	s_addc_u32 s11, s19, s21
	v_add_co_u32 v5, s2, s2, v5
	s_delay_alu instid0(VALU_DEP_1) | instskip(NEXT) | instid1(VALU_DEP_2)
	v_add_co_ci_u32_e64 v6, s2, s11, v6, s2
	v_add_co_u32 v5, s2, v5, v0
	s_delay_alu instid0(VALU_DEP_1)
	v_add_co_ci_u32_e64 v6, s2, 0, v6, s2
	global_load_b64 v[5:6], v[5:6], off
	s_waitcnt vmcnt(0)
	ds_store_b64 v3, v[5:6]
.LBB162_3:
	s_or_b32 exec_lo, exec_lo, s3
	s_add_i32 s2, s10, -1
	s_delay_alu instid0(SALU_CYCLE_1) | instskip(NEXT) | instid1(SALU_CYCLE_1)
	s_ashr_i32 s3, s2, 31
	s_lshr_b32 s3, s3, 27
	s_delay_alu instid0(SALU_CYCLE_1) | instskip(NEXT) | instid1(SALU_CYCLE_1)
	s_add_i32 s2, s2, s3
	s_and_b32 s3, s2, 0xffffffe0
	s_ashr_i32 s2, s2, 5
	s_sub_i32 s3, s10, s3
	s_cmp_ge_i32 s14, s2
	s_cselect_b32 s2, s3, 32
	s_lshl_b32 s10, s14, 5
	v_cmp_gt_i32_e64 s2, s2, v4
	s_ashr_i32 s11, s10, 31
	s_delay_alu instid0(VALU_DEP_1) | instskip(NEXT) | instid1(SALU_CYCLE_1)
	s_and_b32 s2, vcc_lo, s2
	s_and_saveexec_b32 s3, s2
	s_cbranch_execz .LBB162_5
; %bb.4:
	v_mad_u64_u32 v[5:6], null, v1, s28, 0
	s_lshl_b64 s[14:15], s[30:31], 3
	s_waitcnt lgkmcnt(0)
	s_add_u32 s16, s16, s14
	s_addc_u32 s17, s17, s15
	s_lshl_b64 s[14:15], s[10:11], 3
	s_delay_alu instid0(SALU_CYCLE_1) | instskip(NEXT) | instid1(VALU_DEP_1)
	s_add_u32 s14, s16, s14
	v_mad_u64_u32 v[7:8], null, v1, s29, v[6:7]
	s_addc_u32 s15, s17, s15
	s_delay_alu instid0(VALU_DEP_1) | instskip(NEXT) | instid1(VALU_DEP_1)
	v_dual_mov_b32 v6, v7 :: v_dual_add_nc_u32 v7, 0x2000, v3
	v_lshlrev_b64 v[5:6], 3, v[5:6]
	s_delay_alu instid0(VALU_DEP_1) | instskip(NEXT) | instid1(VALU_DEP_2)
	v_add_co_u32 v5, vcc_lo, s14, v5
	v_add_co_ci_u32_e32 v6, vcc_lo, s15, v6, vcc_lo
	s_delay_alu instid0(VALU_DEP_2) | instskip(NEXT) | instid1(VALU_DEP_2)
	v_add_co_u32 v5, vcc_lo, v5, v0
	v_add_co_ci_u32_e32 v6, vcc_lo, 0, v6, vcc_lo
	global_load_b64 v[5:6], v[5:6], off
	s_waitcnt vmcnt(0)
	ds_store_b64 v7, v[5:6]
.LBB162_5:
	s_or_b32 exec_lo, exec_lo, s3
	v_cmp_eq_u32_e32 vcc_lo, v1, v4
	s_cmpk_eq_i32 s9, 0x84
	s_cselect_b32 s3, -1, 0
	s_delay_alu instid0(SALU_CYCLE_1) | instskip(NEXT) | instid1(SALU_CYCLE_1)
	s_and_b32 s9, vcc_lo, s3
	s_and_saveexec_b32 s3, s9
	s_cbranch_execz .LBB162_7
; %bb.6:
	v_dual_mov_b32 v5, 0 :: v_dual_mov_b32 v6, 0x3ff00000
	ds_store_b64 v3, v[5:6]
.LBB162_7:
	s_or_b32 exec_lo, exec_lo, s3
	s_cmpk_lg_i32 s8, 0x79
	s_cbranch_scc0 .LBB162_9
; %bb.8:
	v_cmp_lt_u32_e32 vcc_lo, v4, v1
	s_and_b32 s3, vcc_lo, exec_lo
	s_cbranch_execz .LBB162_10
	s_branch .LBB162_11
.LBB162_9:
	s_mov_b32 s3, 0
.LBB162_10:
	v_cmp_gt_u32_e32 vcc_lo, v4, v1
	s_and_not1_b32 s3, s3, exec_lo
	s_and_b32 s8, vcc_lo, exec_lo
	s_delay_alu instid0(SALU_CYCLE_1)
	s_or_b32 s3, s3, s8
.LBB162_11:
	s_delay_alu instid0(SALU_CYCLE_1)
	s_and_saveexec_b32 s8, s3
	s_cbranch_execz .LBB162_13
; %bb.12:
	v_mov_b32_e32 v4, 0
	s_delay_alu instid0(VALU_DEP_1)
	v_mov_b32_e32 v5, v4
	ds_store_b64 v3, v[4:5]
.LBB162_13:
	s_or_b32 exec_lo, exec_lo, s8
	s_waitcnt lgkmcnt(0)
	s_barrier
	buffer_gl0_inv
	s_and_saveexec_b32 s3, s2
	s_cbranch_execz .LBB162_15
; %bb.14:
	v_add_nc_u32_e32 v16, 0x2000, v0
	v_lshlrev_b32_e32 v17, 3, v2
	s_load_b64 s[0:1], s[0:1], 0x60
	ds_load_2addr_b64 v[2:5], v16 offset1:32
	ds_load_b128 v[6:9], v17
	ds_load_b128 v[10:13], v17 offset:16
	s_waitcnt lgkmcnt(0)
	s_lshl_b64 s[0:1], s[0:1], 3
	s_delay_alu instid0(SALU_CYCLE_1) | instskip(SKIP_3) | instid1(SALU_CYCLE_1)
	s_add_u32 s2, s4, s0
	v_fma_f64 v[2:3], v[2:3], v[6:7], 0
	s_addc_u32 s3, s5, s1
	s_lshl_b64 s[0:1], s[10:11], 3
	s_add_u32 s0, s2, s0
	s_addc_u32 s1, s3, s1
	s_delay_alu instid0(VALU_DEP_1) | instskip(SKIP_3) | instid1(VALU_DEP_1)
	v_fma_f64 v[6:7], v[4:5], v[8:9], v[2:3]
	ds_load_2addr_b64 v[2:5], v16 offset0:64 offset1:96
	s_waitcnt lgkmcnt(0)
	v_fma_f64 v[2:3], v[2:3], v[10:11], v[6:7]
	v_fma_f64 v[14:15], v[4:5], v[12:13], v[2:3]
	ds_load_2addr_b64 v[2:5], v16 offset0:128 offset1:160
	ds_load_b128 v[6:9], v17 offset:32
	ds_load_b128 v[10:13], v17 offset:48
	s_waitcnt lgkmcnt(1)
	v_fma_f64 v[2:3], v[2:3], v[6:7], v[14:15]
	s_delay_alu instid0(VALU_DEP_1) | instskip(SKIP_4) | instid1(VALU_DEP_1)
	v_fma_f64 v[6:7], v[4:5], v[8:9], v[2:3]
	ds_load_2addr_b64 v[2:5], v16 offset0:192 offset1:224
	v_add_nc_u32_e32 v16, 0x2800, v0
	s_waitcnt lgkmcnt(0)
	v_fma_f64 v[2:3], v[2:3], v[10:11], v[6:7]
	v_fma_f64 v[14:15], v[4:5], v[12:13], v[2:3]
	ds_load_2addr_b64 v[2:5], v16 offset1:32
	ds_load_b128 v[6:9], v17 offset:64
	ds_load_b128 v[10:13], v17 offset:80
	s_waitcnt lgkmcnt(1)
	v_fma_f64 v[2:3], v[2:3], v[6:7], v[14:15]
	s_delay_alu instid0(VALU_DEP_1) | instskip(SKIP_3) | instid1(VALU_DEP_1)
	v_fma_f64 v[6:7], v[4:5], v[8:9], v[2:3]
	ds_load_2addr_b64 v[2:5], v16 offset0:64 offset1:96
	s_waitcnt lgkmcnt(0)
	v_fma_f64 v[2:3], v[2:3], v[10:11], v[6:7]
	v_fma_f64 v[14:15], v[4:5], v[12:13], v[2:3]
	ds_load_2addr_b64 v[2:5], v16 offset0:128 offset1:160
	ds_load_b128 v[6:9], v17 offset:96
	ds_load_b128 v[10:13], v17 offset:112
	s_waitcnt lgkmcnt(1)
	v_fma_f64 v[2:3], v[2:3], v[6:7], v[14:15]
	s_delay_alu instid0(VALU_DEP_1) | instskip(SKIP_4) | instid1(VALU_DEP_1)
	v_fma_f64 v[6:7], v[4:5], v[8:9], v[2:3]
	ds_load_2addr_b64 v[2:5], v16 offset0:192 offset1:224
	v_add_nc_u32_e32 v16, 0x3000, v0
	s_waitcnt lgkmcnt(0)
	v_fma_f64 v[2:3], v[2:3], v[10:11], v[6:7]
	v_fma_f64 v[14:15], v[4:5], v[12:13], v[2:3]
	ds_load_2addr_b64 v[2:5], v16 offset1:32
	ds_load_b128 v[6:9], v17 offset:128
	ds_load_b128 v[10:13], v17 offset:144
	s_waitcnt lgkmcnt(1)
	v_fma_f64 v[2:3], v[2:3], v[6:7], v[14:15]
	;; [unrolled: 23-line block ×3, first 2 shown]
	s_delay_alu instid0(VALU_DEP_1) | instskip(SKIP_3) | instid1(VALU_DEP_1)
	v_fma_f64 v[6:7], v[4:5], v[8:9], v[2:3]
	ds_load_2addr_b64 v[2:5], v16 offset0:64 offset1:96
	s_waitcnt lgkmcnt(0)
	v_fma_f64 v[2:3], v[2:3], v[10:11], v[6:7]
	v_fma_f64 v[14:15], v[4:5], v[12:13], v[2:3]
	ds_load_2addr_b64 v[2:5], v16 offset0:128 offset1:160
	ds_load_b128 v[6:9], v17 offset:224
	ds_load_b128 v[10:13], v17 offset:240
	s_waitcnt lgkmcnt(1)
	v_fma_f64 v[2:3], v[2:3], v[6:7], v[14:15]
	s_delay_alu instid0(VALU_DEP_1) | instskip(SKIP_3) | instid1(VALU_DEP_1)
	v_fma_f64 v[6:7], v[4:5], v[8:9], v[2:3]
	ds_load_2addr_b64 v[2:5], v16 offset0:192 offset1:224
	s_waitcnt lgkmcnt(0)
	v_fma_f64 v[2:3], v[2:3], v[10:11], v[6:7]
	v_fma_f64 v[2:3], v[4:5], v[12:13], v[2:3]
	v_mad_u64_u32 v[4:5], null, v1, s6, 0
	s_delay_alu instid0(VALU_DEP_1) | instskip(NEXT) | instid1(VALU_DEP_1)
	v_mad_u64_u32 v[6:7], null, v1, s7, v[5:6]
	v_mov_b32_e32 v5, v6
	s_delay_alu instid0(VALU_DEP_1) | instskip(NEXT) | instid1(VALU_DEP_1)
	v_lshlrev_b64 v[4:5], 3, v[4:5]
	v_add_co_u32 v1, vcc_lo, s0, v4
	s_delay_alu instid0(VALU_DEP_2) | instskip(NEXT) | instid1(VALU_DEP_2)
	v_add_co_ci_u32_e32 v4, vcc_lo, s1, v5, vcc_lo
	v_add_co_u32 v0, vcc_lo, v1, v0
	s_delay_alu instid0(VALU_DEP_2)
	v_add_co_ci_u32_e32 v1, vcc_lo, 0, v4, vcc_lo
	v_mul_f64 v[2:3], s[12:13], v[2:3]
	global_store_b64 v[0:1], v[2:3], off
.LBB162_15:
	s_nop 0
	s_sendmsg sendmsg(MSG_DEALLOC_VGPRS)
	s_endpgm
	.section	.rodata,"a",@progbits
	.p2align	6, 0x0
	.amdhsa_kernel _ZL23rocblas_trmm_rNx_kernelILi32EdPKdKS1_KPdEv13rocblas_fill_17rocblas_diagonal_iiT1_lPT2_llS9_llPT3_lli
		.amdhsa_group_segment_fixed_size 16384
		.amdhsa_private_segment_fixed_size 0
		.amdhsa_kernarg_size 108
		.amdhsa_user_sgpr_count 14
		.amdhsa_user_sgpr_dispatch_ptr 0
		.amdhsa_user_sgpr_queue_ptr 0
		.amdhsa_user_sgpr_kernarg_segment_ptr 1
		.amdhsa_user_sgpr_dispatch_id 0
		.amdhsa_user_sgpr_private_segment_size 0
		.amdhsa_wavefront_size32 1
		.amdhsa_uses_dynamic_stack 0
		.amdhsa_enable_private_segment 0
		.amdhsa_system_sgpr_workgroup_id_x 1
		.amdhsa_system_sgpr_workgroup_id_y 0
		.amdhsa_system_sgpr_workgroup_id_z 1
		.amdhsa_system_sgpr_workgroup_info 0
		.amdhsa_system_vgpr_workitem_id 1
		.amdhsa_next_free_vgpr 18
		.amdhsa_next_free_sgpr 36
		.amdhsa_reserve_vcc 1
		.amdhsa_float_round_mode_32 0
		.amdhsa_float_round_mode_16_64 0
		.amdhsa_float_denorm_mode_32 3
		.amdhsa_float_denorm_mode_16_64 3
		.amdhsa_dx10_clamp 1
		.amdhsa_ieee_mode 1
		.amdhsa_fp16_overflow 0
		.amdhsa_workgroup_processor_mode 1
		.amdhsa_memory_ordered 1
		.amdhsa_forward_progress 0
		.amdhsa_shared_vgpr_count 0
		.amdhsa_exception_fp_ieee_invalid_op 0
		.amdhsa_exception_fp_denorm_src 0
		.amdhsa_exception_fp_ieee_div_zero 0
		.amdhsa_exception_fp_ieee_overflow 0
		.amdhsa_exception_fp_ieee_underflow 0
		.amdhsa_exception_fp_ieee_inexact 0
		.amdhsa_exception_int_div_zero 0
	.end_amdhsa_kernel
	.section	.text._ZL23rocblas_trmm_rNx_kernelILi32EdPKdKS1_KPdEv13rocblas_fill_17rocblas_diagonal_iiT1_lPT2_llS9_llPT3_lli,"axG",@progbits,_ZL23rocblas_trmm_rNx_kernelILi32EdPKdKS1_KPdEv13rocblas_fill_17rocblas_diagonal_iiT1_lPT2_llS9_llPT3_lli,comdat
.Lfunc_end162:
	.size	_ZL23rocblas_trmm_rNx_kernelILi32EdPKdKS1_KPdEv13rocblas_fill_17rocblas_diagonal_iiT1_lPT2_llS9_llPT3_lli, .Lfunc_end162-_ZL23rocblas_trmm_rNx_kernelILi32EdPKdKS1_KPdEv13rocblas_fill_17rocblas_diagonal_iiT1_lPT2_llS9_llPT3_lli
                                        ; -- End function
	.section	.AMDGPU.csdata,"",@progbits
; Kernel info:
; codeLenInByte = 1504
; NumSgprs: 38
; NumVgprs: 18
; ScratchSize: 0
; MemoryBound: 0
; FloatMode: 240
; IeeeMode: 1
; LDSByteSize: 16384 bytes/workgroup (compile time only)
; SGPRBlocks: 4
; VGPRBlocks: 2
; NumSGPRsForWavesPerEU: 38
; NumVGPRsForWavesPerEU: 18
; Occupancy: 16
; WaveLimiterHint : 1
; COMPUTE_PGM_RSRC2:SCRATCH_EN: 0
; COMPUTE_PGM_RSRC2:USER_SGPR: 14
; COMPUTE_PGM_RSRC2:TRAP_HANDLER: 0
; COMPUTE_PGM_RSRC2:TGID_X_EN: 1
; COMPUTE_PGM_RSRC2:TGID_Y_EN: 0
; COMPUTE_PGM_RSRC2:TGID_Z_EN: 1
; COMPUTE_PGM_RSRC2:TIDIG_COMP_CNT: 1
	.section	.text._ZL23rocblas_trmm_rNx_kernelILi32EddKPKdKPdEv13rocblas_fill_17rocblas_diagonal_iiT1_lPT2_llS9_llPT3_lli,"axG",@progbits,_ZL23rocblas_trmm_rNx_kernelILi32EddKPKdKPdEv13rocblas_fill_17rocblas_diagonal_iiT1_lPT2_llS9_llPT3_lli,comdat
	.globl	_ZL23rocblas_trmm_rNx_kernelILi32EddKPKdKPdEv13rocblas_fill_17rocblas_diagonal_iiT1_lPT2_llS9_llPT3_lli ; -- Begin function _ZL23rocblas_trmm_rNx_kernelILi32EddKPKdKPdEv13rocblas_fill_17rocblas_diagonal_iiT1_lPT2_llS9_llPT3_lli
	.p2align	8
	.type	_ZL23rocblas_trmm_rNx_kernelILi32EddKPKdKPdEv13rocblas_fill_17rocblas_diagonal_iiT1_lPT2_llS9_llPT3_lli,@function
_ZL23rocblas_trmm_rNx_kernelILi32EddKPKdKPdEv13rocblas_fill_17rocblas_diagonal_iiT1_lPT2_llS9_llPT3_lli: ; @_ZL23rocblas_trmm_rNx_kernelILi32EddKPKdKPdEv13rocblas_fill_17rocblas_diagonal_iiT1_lPT2_llS9_llPT3_lli
; %bb.0:
	s_load_b64 s[8:9], s[0:1], 0x10
	s_waitcnt lgkmcnt(0)
	v_cmp_eq_f64_e64 s2, s[8:9], 0
	s_delay_alu instid0(VALU_DEP_1)
	s_and_b32 vcc_lo, exec_lo, s2
	s_cbranch_vccnz .LBB163_15
; %bb.1:
	s_load_b512 s[16:31], s[0:1], 0x20
	s_mov_b32 s36, s15
	s_mov_b32 s37, 0
	s_load_b128 s[4:7], s[0:1], 0x0
	s_lshl_b64 s[34:35], s[36:37], 3
	v_bfe_u32 v1, v0, 10, 10
	s_mov_b32 s36, s37
	s_delay_alu instid0(SALU_CYCLE_1) | instskip(SKIP_1) | instid1(VALU_DEP_3)
	v_dual_mov_b32 v5, s36 :: v_dual_and_b32 v4, 0x3ff, v0
	v_mov_b32_e32 v6, s37
	v_lshlrev_b32_e32 v2, 5, v1
	s_delay_alu instid0(VALU_DEP_3) | instskip(NEXT) | instid1(VALU_DEP_2)
	v_lshlrev_b32_e32 v0, 3, v4
	v_add_lshl_u32 v3, v2, v4, 3
	s_waitcnt lgkmcnt(0)
	s_add_u32 s2, s22, s34
	s_addc_u32 s3, s23, s35
	s_add_u32 s10, s28, s34
	s_addc_u32 s11, s29, s35
	s_load_b64 s[12:13], s[2:3], 0x0
	s_load_b64 s[10:11], s[10:11], 0x0
	v_cmp_gt_i32_e32 vcc_lo, s7, v1
	v_cmp_gt_i32_e64 s2, s7, v4
	ds_store_2addr_stride64_b64 v3, v[5:6], v[5:6] offset1:16
	s_and_b32 s2, vcc_lo, s2
	s_delay_alu instid0(SALU_CYCLE_1)
	s_and_saveexec_b32 s3, s2
	s_cbranch_execz .LBB163_3
; %bb.2:
	v_mad_u64_u32 v[5:6], null, v1, s18, 0
	s_add_u32 s16, s16, s34
	s_addc_u32 s17, s17, s35
	s_load_b64 s[16:17], s[16:17], 0x0
	s_delay_alu instid0(VALU_DEP_1) | instskip(SKIP_1) | instid1(VALU_DEP_1)
	v_mad_u64_u32 v[7:8], null, v1, s19, v[6:7]
	s_lshl_b64 s[18:19], s[20:21], 3
	v_mov_b32_e32 v6, v7
	s_delay_alu instid0(VALU_DEP_1) | instskip(SKIP_3) | instid1(VALU_DEP_1)
	v_lshlrev_b64 v[5:6], 3, v[5:6]
	s_waitcnt lgkmcnt(0)
	s_add_u32 s2, s16, s18
	s_addc_u32 s7, s17, s19
	v_add_co_u32 v5, s2, s2, v5
	s_delay_alu instid0(VALU_DEP_1) | instskip(NEXT) | instid1(VALU_DEP_2)
	v_add_co_ci_u32_e64 v6, s2, s7, v6, s2
	v_add_co_u32 v5, s2, v5, v0
	s_delay_alu instid0(VALU_DEP_1)
	v_add_co_ci_u32_e64 v6, s2, 0, v6, s2
	global_load_b64 v[5:6], v[5:6], off
	s_waitcnt vmcnt(0)
	ds_store_b64 v3, v[5:6]
.LBB163_3:
	s_or_b32 exec_lo, exec_lo, s3
	s_add_i32 s2, s6, -1
	s_delay_alu instid0(SALU_CYCLE_1) | instskip(NEXT) | instid1(SALU_CYCLE_1)
	s_ashr_i32 s3, s2, 31
	s_lshr_b32 s3, s3, 27
	s_delay_alu instid0(SALU_CYCLE_1) | instskip(NEXT) | instid1(SALU_CYCLE_1)
	s_add_i32 s2, s2, s3
	s_and_b32 s3, s2, 0xffffffe0
	s_ashr_i32 s2, s2, 5
	s_sub_i32 s3, s6, s3
	s_cmp_ge_i32 s14, s2
	s_cselect_b32 s2, s3, 32
	s_lshl_b32 s6, s14, 5
	v_cmp_gt_i32_e64 s2, s2, v4
	s_ashr_i32 s7, s6, 31
	s_delay_alu instid0(VALU_DEP_1) | instskip(NEXT) | instid1(SALU_CYCLE_1)
	s_and_b32 s2, vcc_lo, s2
	s_and_saveexec_b32 s3, s2
	s_cbranch_execz .LBB163_5
; %bb.4:
	v_mad_u64_u32 v[5:6], null, v1, s24, 0
	s_lshl_b64 s[14:15], s[26:27], 3
	s_waitcnt lgkmcnt(0)
	s_add_u32 s14, s12, s14
	s_addc_u32 s15, s13, s15
	s_lshl_b64 s[12:13], s[6:7], 3
	s_delay_alu instid0(SALU_CYCLE_1) | instskip(NEXT) | instid1(VALU_DEP_1)
	s_add_u32 s12, s14, s12
	v_mad_u64_u32 v[7:8], null, v1, s25, v[6:7]
	s_addc_u32 s13, s15, s13
	s_delay_alu instid0(VALU_DEP_1) | instskip(NEXT) | instid1(VALU_DEP_1)
	v_dual_mov_b32 v6, v7 :: v_dual_add_nc_u32 v7, 0x2000, v3
	v_lshlrev_b64 v[5:6], 3, v[5:6]
	s_delay_alu instid0(VALU_DEP_1) | instskip(NEXT) | instid1(VALU_DEP_2)
	v_add_co_u32 v5, vcc_lo, s12, v5
	v_add_co_ci_u32_e32 v6, vcc_lo, s13, v6, vcc_lo
	s_delay_alu instid0(VALU_DEP_2) | instskip(NEXT) | instid1(VALU_DEP_2)
	v_add_co_u32 v5, vcc_lo, v5, v0
	v_add_co_ci_u32_e32 v6, vcc_lo, 0, v6, vcc_lo
	global_load_b64 v[5:6], v[5:6], off
	s_waitcnt vmcnt(0)
	ds_store_b64 v7, v[5:6]
.LBB163_5:
	s_or_b32 exec_lo, exec_lo, s3
	v_cmp_eq_u32_e32 vcc_lo, v1, v4
	s_cmpk_eq_i32 s5, 0x84
	s_cselect_b32 s3, -1, 0
	s_delay_alu instid0(SALU_CYCLE_1) | instskip(NEXT) | instid1(SALU_CYCLE_1)
	s_and_b32 s5, vcc_lo, s3
	s_and_saveexec_b32 s3, s5
	s_cbranch_execz .LBB163_7
; %bb.6:
	v_dual_mov_b32 v5, 0 :: v_dual_mov_b32 v6, 0x3ff00000
	ds_store_b64 v3, v[5:6]
.LBB163_7:
	s_or_b32 exec_lo, exec_lo, s3
	s_cmpk_lg_i32 s4, 0x79
	s_cbranch_scc0 .LBB163_9
; %bb.8:
	v_cmp_lt_u32_e32 vcc_lo, v4, v1
	s_and_b32 s3, vcc_lo, exec_lo
	s_cbranch_execz .LBB163_10
	s_branch .LBB163_11
.LBB163_9:
	s_mov_b32 s3, 0
.LBB163_10:
	v_cmp_gt_u32_e32 vcc_lo, v4, v1
	s_and_not1_b32 s3, s3, exec_lo
	s_and_b32 s4, vcc_lo, exec_lo
	s_delay_alu instid0(SALU_CYCLE_1)
	s_or_b32 s3, s3, s4
.LBB163_11:
	s_delay_alu instid0(SALU_CYCLE_1)
	s_and_saveexec_b32 s4, s3
	s_cbranch_execz .LBB163_13
; %bb.12:
	v_mov_b32_e32 v4, 0
	s_delay_alu instid0(VALU_DEP_1)
	v_mov_b32_e32 v5, v4
	ds_store_b64 v3, v[4:5]
.LBB163_13:
	s_or_b32 exec_lo, exec_lo, s4
	s_waitcnt lgkmcnt(0)
	s_barrier
	buffer_gl0_inv
	s_and_saveexec_b32 s3, s2
	s_cbranch_execz .LBB163_15
; %bb.14:
	v_add_nc_u32_e32 v16, 0x2000, v0
	v_lshlrev_b32_e32 v17, 3, v2
	s_load_b64 s[0:1], s[0:1], 0x60
	ds_load_2addr_b64 v[2:5], v16 offset1:32
	ds_load_b128 v[6:9], v17
	ds_load_b128 v[10:13], v17 offset:16
	s_waitcnt lgkmcnt(0)
	s_lshl_b64 s[0:1], s[0:1], 3
	s_delay_alu instid0(SALU_CYCLE_1) | instskip(SKIP_3) | instid1(SALU_CYCLE_1)
	s_add_u32 s2, s10, s0
	v_fma_f64 v[2:3], v[2:3], v[6:7], 0
	s_addc_u32 s3, s11, s1
	s_lshl_b64 s[0:1], s[6:7], 3
	s_add_u32 s0, s2, s0
	s_addc_u32 s1, s3, s1
	s_delay_alu instid0(VALU_DEP_1) | instskip(SKIP_3) | instid1(VALU_DEP_1)
	v_fma_f64 v[6:7], v[4:5], v[8:9], v[2:3]
	ds_load_2addr_b64 v[2:5], v16 offset0:64 offset1:96
	s_waitcnt lgkmcnt(0)
	v_fma_f64 v[2:3], v[2:3], v[10:11], v[6:7]
	v_fma_f64 v[14:15], v[4:5], v[12:13], v[2:3]
	ds_load_2addr_b64 v[2:5], v16 offset0:128 offset1:160
	ds_load_b128 v[6:9], v17 offset:32
	ds_load_b128 v[10:13], v17 offset:48
	s_waitcnt lgkmcnt(1)
	v_fma_f64 v[2:3], v[2:3], v[6:7], v[14:15]
	s_delay_alu instid0(VALU_DEP_1) | instskip(SKIP_4) | instid1(VALU_DEP_1)
	v_fma_f64 v[6:7], v[4:5], v[8:9], v[2:3]
	ds_load_2addr_b64 v[2:5], v16 offset0:192 offset1:224
	v_add_nc_u32_e32 v16, 0x2800, v0
	s_waitcnt lgkmcnt(0)
	v_fma_f64 v[2:3], v[2:3], v[10:11], v[6:7]
	v_fma_f64 v[14:15], v[4:5], v[12:13], v[2:3]
	ds_load_2addr_b64 v[2:5], v16 offset1:32
	ds_load_b128 v[6:9], v17 offset:64
	ds_load_b128 v[10:13], v17 offset:80
	s_waitcnt lgkmcnt(1)
	v_fma_f64 v[2:3], v[2:3], v[6:7], v[14:15]
	s_delay_alu instid0(VALU_DEP_1) | instskip(SKIP_3) | instid1(VALU_DEP_1)
	v_fma_f64 v[6:7], v[4:5], v[8:9], v[2:3]
	ds_load_2addr_b64 v[2:5], v16 offset0:64 offset1:96
	s_waitcnt lgkmcnt(0)
	v_fma_f64 v[2:3], v[2:3], v[10:11], v[6:7]
	v_fma_f64 v[14:15], v[4:5], v[12:13], v[2:3]
	ds_load_2addr_b64 v[2:5], v16 offset0:128 offset1:160
	ds_load_b128 v[6:9], v17 offset:96
	ds_load_b128 v[10:13], v17 offset:112
	s_waitcnt lgkmcnt(1)
	v_fma_f64 v[2:3], v[2:3], v[6:7], v[14:15]
	s_delay_alu instid0(VALU_DEP_1) | instskip(SKIP_4) | instid1(VALU_DEP_1)
	v_fma_f64 v[6:7], v[4:5], v[8:9], v[2:3]
	ds_load_2addr_b64 v[2:5], v16 offset0:192 offset1:224
	v_add_nc_u32_e32 v16, 0x3000, v0
	s_waitcnt lgkmcnt(0)
	v_fma_f64 v[2:3], v[2:3], v[10:11], v[6:7]
	v_fma_f64 v[14:15], v[4:5], v[12:13], v[2:3]
	ds_load_2addr_b64 v[2:5], v16 offset1:32
	ds_load_b128 v[6:9], v17 offset:128
	ds_load_b128 v[10:13], v17 offset:144
	s_waitcnt lgkmcnt(1)
	v_fma_f64 v[2:3], v[2:3], v[6:7], v[14:15]
	;; [unrolled: 23-line block ×3, first 2 shown]
	s_delay_alu instid0(VALU_DEP_1) | instskip(SKIP_3) | instid1(VALU_DEP_1)
	v_fma_f64 v[6:7], v[4:5], v[8:9], v[2:3]
	ds_load_2addr_b64 v[2:5], v16 offset0:64 offset1:96
	s_waitcnt lgkmcnt(0)
	v_fma_f64 v[2:3], v[2:3], v[10:11], v[6:7]
	v_fma_f64 v[14:15], v[4:5], v[12:13], v[2:3]
	ds_load_2addr_b64 v[2:5], v16 offset0:128 offset1:160
	ds_load_b128 v[6:9], v17 offset:224
	ds_load_b128 v[10:13], v17 offset:240
	s_waitcnt lgkmcnt(1)
	v_fma_f64 v[2:3], v[2:3], v[6:7], v[14:15]
	s_delay_alu instid0(VALU_DEP_1) | instskip(SKIP_3) | instid1(VALU_DEP_1)
	v_fma_f64 v[6:7], v[4:5], v[8:9], v[2:3]
	ds_load_2addr_b64 v[2:5], v16 offset0:192 offset1:224
	s_waitcnt lgkmcnt(0)
	v_fma_f64 v[2:3], v[2:3], v[10:11], v[6:7]
	v_fma_f64 v[2:3], v[4:5], v[12:13], v[2:3]
	v_mad_u64_u32 v[4:5], null, v1, s30, 0
	s_delay_alu instid0(VALU_DEP_1) | instskip(NEXT) | instid1(VALU_DEP_1)
	v_mad_u64_u32 v[6:7], null, v1, s31, v[5:6]
	v_mov_b32_e32 v5, v6
	s_delay_alu instid0(VALU_DEP_1) | instskip(NEXT) | instid1(VALU_DEP_1)
	v_lshlrev_b64 v[4:5], 3, v[4:5]
	v_add_co_u32 v1, vcc_lo, s0, v4
	s_delay_alu instid0(VALU_DEP_2) | instskip(NEXT) | instid1(VALU_DEP_2)
	v_add_co_ci_u32_e32 v4, vcc_lo, s1, v5, vcc_lo
	v_add_co_u32 v0, vcc_lo, v1, v0
	s_delay_alu instid0(VALU_DEP_2)
	v_add_co_ci_u32_e32 v1, vcc_lo, 0, v4, vcc_lo
	v_mul_f64 v[2:3], v[2:3], s[8:9]
	global_store_b64 v[0:1], v[2:3], off
.LBB163_15:
	s_nop 0
	s_sendmsg sendmsg(MSG_DEALLOC_VGPRS)
	s_endpgm
	.section	.rodata,"a",@progbits
	.p2align	6, 0x0
	.amdhsa_kernel _ZL23rocblas_trmm_rNx_kernelILi32EddKPKdKPdEv13rocblas_fill_17rocblas_diagonal_iiT1_lPT2_llS9_llPT3_lli
		.amdhsa_group_segment_fixed_size 16384
		.amdhsa_private_segment_fixed_size 0
		.amdhsa_kernarg_size 108
		.amdhsa_user_sgpr_count 14
		.amdhsa_user_sgpr_dispatch_ptr 0
		.amdhsa_user_sgpr_queue_ptr 0
		.amdhsa_user_sgpr_kernarg_segment_ptr 1
		.amdhsa_user_sgpr_dispatch_id 0
		.amdhsa_user_sgpr_private_segment_size 0
		.amdhsa_wavefront_size32 1
		.amdhsa_uses_dynamic_stack 0
		.amdhsa_enable_private_segment 0
		.amdhsa_system_sgpr_workgroup_id_x 1
		.amdhsa_system_sgpr_workgroup_id_y 0
		.amdhsa_system_sgpr_workgroup_id_z 1
		.amdhsa_system_sgpr_workgroup_info 0
		.amdhsa_system_vgpr_workitem_id 1
		.amdhsa_next_free_vgpr 18
		.amdhsa_next_free_sgpr 38
		.amdhsa_reserve_vcc 1
		.amdhsa_float_round_mode_32 0
		.amdhsa_float_round_mode_16_64 0
		.amdhsa_float_denorm_mode_32 3
		.amdhsa_float_denorm_mode_16_64 3
		.amdhsa_dx10_clamp 1
		.amdhsa_ieee_mode 1
		.amdhsa_fp16_overflow 0
		.amdhsa_workgroup_processor_mode 1
		.amdhsa_memory_ordered 1
		.amdhsa_forward_progress 0
		.amdhsa_shared_vgpr_count 0
		.amdhsa_exception_fp_ieee_invalid_op 0
		.amdhsa_exception_fp_denorm_src 0
		.amdhsa_exception_fp_ieee_div_zero 0
		.amdhsa_exception_fp_ieee_overflow 0
		.amdhsa_exception_fp_ieee_underflow 0
		.amdhsa_exception_fp_ieee_inexact 0
		.amdhsa_exception_int_div_zero 0
	.end_amdhsa_kernel
	.section	.text._ZL23rocblas_trmm_rNx_kernelILi32EddKPKdKPdEv13rocblas_fill_17rocblas_diagonal_iiT1_lPT2_llS9_llPT3_lli,"axG",@progbits,_ZL23rocblas_trmm_rNx_kernelILi32EddKPKdKPdEv13rocblas_fill_17rocblas_diagonal_iiT1_lPT2_llS9_llPT3_lli,comdat
.Lfunc_end163:
	.size	_ZL23rocblas_trmm_rNx_kernelILi32EddKPKdKPdEv13rocblas_fill_17rocblas_diagonal_iiT1_lPT2_llS9_llPT3_lli, .Lfunc_end163-_ZL23rocblas_trmm_rNx_kernelILi32EddKPKdKPdEv13rocblas_fill_17rocblas_diagonal_iiT1_lPT2_llS9_llPT3_lli
                                        ; -- End function
	.section	.AMDGPU.csdata,"",@progbits
; Kernel info:
; codeLenInByte = 1460
; NumSgprs: 40
; NumVgprs: 18
; ScratchSize: 0
; MemoryBound: 0
; FloatMode: 240
; IeeeMode: 1
; LDSByteSize: 16384 bytes/workgroup (compile time only)
; SGPRBlocks: 4
; VGPRBlocks: 2
; NumSGPRsForWavesPerEU: 40
; NumVGPRsForWavesPerEU: 18
; Occupancy: 16
; WaveLimiterHint : 1
; COMPUTE_PGM_RSRC2:SCRATCH_EN: 0
; COMPUTE_PGM_RSRC2:USER_SGPR: 14
; COMPUTE_PGM_RSRC2:TRAP_HANDLER: 0
; COMPUTE_PGM_RSRC2:TGID_X_EN: 1
; COMPUTE_PGM_RSRC2:TGID_Y_EN: 0
; COMPUTE_PGM_RSRC2:TGID_Z_EN: 1
; COMPUTE_PGM_RSRC2:TIDIG_COMP_CNT: 1
	.section	.text._ZL23rocblas_trmm_rTx_kernelILi32ELb0EdPKdKS1_KPdEv13rocblas_fill_17rocblas_diagonal_iiT2_lPT3_llS9_llPT4_lli,"axG",@progbits,_ZL23rocblas_trmm_rTx_kernelILi32ELb0EdPKdKS1_KPdEv13rocblas_fill_17rocblas_diagonal_iiT2_lPT3_llS9_llPT4_lli,comdat
	.globl	_ZL23rocblas_trmm_rTx_kernelILi32ELb0EdPKdKS1_KPdEv13rocblas_fill_17rocblas_diagonal_iiT2_lPT3_llS9_llPT4_lli ; -- Begin function _ZL23rocblas_trmm_rTx_kernelILi32ELb0EdPKdKS1_KPdEv13rocblas_fill_17rocblas_diagonal_iiT2_lPT3_llS9_llPT4_lli
	.p2align	8
	.type	_ZL23rocblas_trmm_rTx_kernelILi32ELb0EdPKdKS1_KPdEv13rocblas_fill_17rocblas_diagonal_iiT2_lPT3_llS9_llPT4_lli,@function
_ZL23rocblas_trmm_rTx_kernelILi32ELb0EdPKdKS1_KPdEv13rocblas_fill_17rocblas_diagonal_iiT2_lPT3_llS9_llPT4_lli: ; @_ZL23rocblas_trmm_rTx_kernelILi32ELb0EdPKdKS1_KPdEv13rocblas_fill_17rocblas_diagonal_iiT2_lPT3_llS9_llPT4_lli
; %bb.0:
	s_load_b512 s[16:31], s[0:1], 0x10
	s_waitcnt lgkmcnt(0)
	s_mul_i32 s2, s15, s19
	s_mul_hi_u32 s3, s15, s18
	s_delay_alu instid0(SALU_CYCLE_1) | instskip(SKIP_1) | instid1(SALU_CYCLE_1)
	s_add_i32 s3, s3, s2
	s_mul_i32 s2, s15, s18
	s_lshl_b64 s[2:3], s[2:3], 3
	s_delay_alu instid0(SALU_CYCLE_1) | instskip(SKIP_4) | instid1(VALU_DEP_1)
	s_add_u32 s2, s16, s2
	s_addc_u32 s3, s17, s3
	s_load_b64 s[12:13], s[2:3], 0x0
	s_waitcnt lgkmcnt(0)
	v_cmp_eq_f64_e64 s2, s[12:13], 0
	s_and_b32 vcc_lo, exec_lo, s2
	s_cbranch_vccnz .LBB164_15
; %bb.1:
	s_clause 0x1
	s_load_b128 s[4:7], s[0:1], 0x50
	s_load_b128 s[8:11], s[0:1], 0x0
	s_mov_b32 s34, s15
	s_mov_b32 s35, 0
	v_bfe_u32 v1, v0, 10, 10
	s_lshl_b64 s[18:19], s[34:35], 3
	s_mov_b32 s34, s35
	s_add_u32 s2, s26, s18
	s_addc_u32 s3, s27, s19
	v_dual_mov_b32 v4, s34 :: v_dual_and_b32 v3, 0x3ff, v0
	v_dual_mov_b32 v5, s35 :: v_dual_lshlrev_b32 v0, 5, v1
	s_delay_alu instid0(VALU_DEP_1)
	v_add_lshl_u32 v2, v0, v3, 3
	v_lshlrev_b32_e32 v0, 3, v3
	s_waitcnt lgkmcnt(0)
	s_add_u32 s4, s4, s18
	s_addc_u32 s5, s5, s19
	s_load_b64 s[16:17], s[2:3], 0x0
	s_load_b64 s[4:5], s[4:5], 0x0
	v_cmp_gt_i32_e32 vcc_lo, s11, v1
	v_cmp_gt_i32_e64 s2, s11, v3
	ds_store_2addr_stride64_b64 v2, v[4:5], v[4:5] offset1:16
	s_and_b32 s2, vcc_lo, s2
	s_delay_alu instid0(SALU_CYCLE_1)
	s_and_saveexec_b32 s3, s2
	s_cbranch_execz .LBB164_3
; %bb.2:
	v_mad_u64_u32 v[4:5], null, v1, s22, 0
	s_add_u32 s18, s20, s18
	s_addc_u32 s19, s21, s19
	s_lshl_b64 s[20:21], s[24:25], 3
	s_load_b64 s[18:19], s[18:19], 0x0
	s_delay_alu instid0(VALU_DEP_1) | instskip(NEXT) | instid1(VALU_DEP_1)
	v_mad_u64_u32 v[6:7], null, v1, s23, v[5:6]
	v_mov_b32_e32 v5, v6
	s_delay_alu instid0(VALU_DEP_1) | instskip(SKIP_3) | instid1(VALU_DEP_1)
	v_lshlrev_b64 v[4:5], 3, v[4:5]
	s_waitcnt lgkmcnt(0)
	s_add_u32 s2, s18, s20
	s_addc_u32 s11, s19, s21
	v_add_co_u32 v4, s2, s2, v4
	s_delay_alu instid0(VALU_DEP_1) | instskip(NEXT) | instid1(VALU_DEP_2)
	v_add_co_ci_u32_e64 v5, s2, s11, v5, s2
	v_add_co_u32 v4, s2, v4, v0
	s_delay_alu instid0(VALU_DEP_1)
	v_add_co_ci_u32_e64 v5, s2, 0, v5, s2
	global_load_b64 v[4:5], v[4:5], off
	s_waitcnt vmcnt(0)
	ds_store_b64 v2, v[4:5]
.LBB164_3:
	s_or_b32 exec_lo, exec_lo, s3
	s_add_i32 s2, s10, -1
	s_delay_alu instid0(SALU_CYCLE_1) | instskip(NEXT) | instid1(SALU_CYCLE_1)
	s_ashr_i32 s3, s2, 31
	s_lshr_b32 s3, s3, 27
	s_delay_alu instid0(SALU_CYCLE_1) | instskip(NEXT) | instid1(SALU_CYCLE_1)
	s_add_i32 s2, s2, s3
	s_and_b32 s3, s2, 0xffffffe0
	s_ashr_i32 s2, s2, 5
	s_sub_i32 s3, s10, s3
	s_cmp_ge_i32 s14, s2
	s_cselect_b32 s2, s3, 32
	s_lshl_b32 s10, s14, 5
	v_cmp_gt_i32_e64 s2, s2, v3
	s_ashr_i32 s11, s10, 31
	s_delay_alu instid0(VALU_DEP_1) | instskip(NEXT) | instid1(SALU_CYCLE_1)
	s_and_b32 s2, vcc_lo, s2
	s_and_saveexec_b32 s3, s2
	s_cbranch_execz .LBB164_5
; %bb.4:
	v_mad_u64_u32 v[4:5], null, v1, s28, 0
	s_lshl_b64 s[14:15], s[30:31], 3
	s_waitcnt lgkmcnt(0)
	s_add_u32 s16, s16, s14
	s_addc_u32 s17, s17, s15
	s_lshl_b64 s[14:15], s[10:11], 3
	s_delay_alu instid0(SALU_CYCLE_1) | instskip(NEXT) | instid1(VALU_DEP_1)
	s_add_u32 s14, s16, s14
	v_mad_u64_u32 v[6:7], null, v1, s29, v[5:6]
	s_addc_u32 s15, s17, s15
	s_delay_alu instid0(VALU_DEP_1) | instskip(NEXT) | instid1(VALU_DEP_1)
	v_dual_mov_b32 v5, v6 :: v_dual_add_nc_u32 v6, 0x2000, v2
	v_lshlrev_b64 v[4:5], 3, v[4:5]
	s_delay_alu instid0(VALU_DEP_1) | instskip(NEXT) | instid1(VALU_DEP_2)
	v_add_co_u32 v4, vcc_lo, s14, v4
	v_add_co_ci_u32_e32 v5, vcc_lo, s15, v5, vcc_lo
	s_delay_alu instid0(VALU_DEP_2) | instskip(NEXT) | instid1(VALU_DEP_2)
	v_add_co_u32 v4, vcc_lo, v4, v0
	v_add_co_ci_u32_e32 v5, vcc_lo, 0, v5, vcc_lo
	global_load_b64 v[4:5], v[4:5], off
	s_waitcnt vmcnt(0)
	ds_store_b64 v6, v[4:5]
.LBB164_5:
	s_or_b32 exec_lo, exec_lo, s3
	v_cmp_eq_u32_e32 vcc_lo, v1, v3
	s_cmpk_eq_i32 s9, 0x84
	s_cselect_b32 s3, -1, 0
	s_delay_alu instid0(SALU_CYCLE_1) | instskip(NEXT) | instid1(SALU_CYCLE_1)
	s_and_b32 s9, vcc_lo, s3
	s_and_saveexec_b32 s3, s9
	s_cbranch_execz .LBB164_7
; %bb.6:
	v_dual_mov_b32 v4, 0 :: v_dual_mov_b32 v5, 0x3ff00000
	ds_store_b64 v2, v[4:5]
.LBB164_7:
	s_or_b32 exec_lo, exec_lo, s3
	s_cmpk_lg_i32 s8, 0x79
	s_cbranch_scc0 .LBB164_9
; %bb.8:
	v_cmp_lt_u32_e32 vcc_lo, v3, v1
	s_and_b32 s3, vcc_lo, exec_lo
	s_cbranch_execz .LBB164_10
	s_branch .LBB164_11
.LBB164_9:
	s_mov_b32 s3, 0
.LBB164_10:
	v_cmp_gt_u32_e32 vcc_lo, v3, v1
	s_and_not1_b32 s3, s3, exec_lo
	s_and_b32 s8, vcc_lo, exec_lo
	s_delay_alu instid0(SALU_CYCLE_1)
	s_or_b32 s3, s3, s8
.LBB164_11:
	s_delay_alu instid0(SALU_CYCLE_1)
	s_and_saveexec_b32 s8, s3
	s_cbranch_execz .LBB164_13
; %bb.12:
	v_mov_b32_e32 v3, 0
	s_delay_alu instid0(VALU_DEP_1)
	v_mov_b32_e32 v4, v3
	ds_store_b64 v2, v[3:4]
.LBB164_13:
	s_or_b32 exec_lo, exec_lo, s8
	s_waitcnt lgkmcnt(0)
	s_barrier
	buffer_gl0_inv
	s_and_saveexec_b32 s3, s2
	s_cbranch_execz .LBB164_15
; %bb.14:
	v_add_nc_u32_e32 v12, 0x2000, v0
	v_lshlrev_b32_e32 v13, 3, v1
	s_load_b64 s[0:1], s[0:1], 0x60
	ds_load_2addr_b64 v[2:5], v12 offset1:32
	ds_load_2addr_b64 v[6:9], v13 offset1:32
	v_add_nc_u32_e32 v14, 0x800, v13
	s_waitcnt lgkmcnt(0)
	s_lshl_b64 s[0:1], s[0:1], 3
	s_delay_alu instid0(SALU_CYCLE_1) | instskip(SKIP_3) | instid1(SALU_CYCLE_1)
	s_add_u32 s2, s4, s0
	v_fma_f64 v[2:3], v[2:3], v[6:7], 0
	s_addc_u32 s3, s5, s1
	s_lshl_b64 s[0:1], s[10:11], 3
	s_add_u32 s0, s2, s0
	s_addc_u32 s1, s3, s1
	s_delay_alu instid0(VALU_DEP_1) | instskip(SKIP_4) | instid1(VALU_DEP_1)
	v_fma_f64 v[10:11], v[4:5], v[8:9], v[2:3]
	ds_load_2addr_b64 v[2:5], v12 offset0:64 offset1:96
	ds_load_2addr_b64 v[6:9], v13 offset0:64 offset1:96
	s_waitcnt lgkmcnt(0)
	v_fma_f64 v[2:3], v[2:3], v[6:7], v[10:11]
	v_fma_f64 v[10:11], v[4:5], v[8:9], v[2:3]
	ds_load_2addr_b64 v[2:5], v12 offset0:128 offset1:160
	ds_load_2addr_b64 v[6:9], v13 offset0:128 offset1:160
	s_waitcnt lgkmcnt(0)
	v_fma_f64 v[2:3], v[2:3], v[6:7], v[10:11]
	s_delay_alu instid0(VALU_DEP_1)
	v_fma_f64 v[10:11], v[4:5], v[8:9], v[2:3]
	ds_load_2addr_b64 v[2:5], v12 offset0:192 offset1:224
	ds_load_2addr_b64 v[6:9], v13 offset0:192 offset1:224
	v_add_nc_u32_e32 v12, 0x2800, v0
	s_waitcnt lgkmcnt(0)
	v_fma_f64 v[2:3], v[2:3], v[6:7], v[10:11]
	s_delay_alu instid0(VALU_DEP_1) | instskip(SKIP_4) | instid1(VALU_DEP_1)
	v_fma_f64 v[10:11], v[4:5], v[8:9], v[2:3]
	ds_load_2addr_b64 v[2:5], v12 offset1:32
	ds_load_2addr_b64 v[6:9], v14 offset1:32
	s_waitcnt lgkmcnt(0)
	v_fma_f64 v[2:3], v[2:3], v[6:7], v[10:11]
	v_fma_f64 v[10:11], v[4:5], v[8:9], v[2:3]
	ds_load_2addr_b64 v[2:5], v12 offset0:64 offset1:96
	ds_load_2addr_b64 v[6:9], v14 offset0:64 offset1:96
	s_waitcnt lgkmcnt(0)
	v_fma_f64 v[2:3], v[2:3], v[6:7], v[10:11]
	s_delay_alu instid0(VALU_DEP_1) | instskip(SKIP_4) | instid1(VALU_DEP_1)
	v_fma_f64 v[10:11], v[4:5], v[8:9], v[2:3]
	ds_load_2addr_b64 v[2:5], v12 offset0:128 offset1:160
	ds_load_2addr_b64 v[6:9], v14 offset0:128 offset1:160
	s_waitcnt lgkmcnt(0)
	v_fma_f64 v[2:3], v[2:3], v[6:7], v[10:11]
	v_fma_f64 v[10:11], v[4:5], v[8:9], v[2:3]
	ds_load_2addr_b64 v[2:5], v12 offset0:192 offset1:224
	ds_load_2addr_b64 v[6:9], v14 offset0:192 offset1:224
	v_add_nc_u32_e32 v12, 0x3000, v0
	v_add_nc_u32_e32 v14, 0x1000, v13
	;; [unrolled: 1-line block ×3, first 2 shown]
	s_waitcnt lgkmcnt(0)
	v_fma_f64 v[2:3], v[2:3], v[6:7], v[10:11]
	s_delay_alu instid0(VALU_DEP_1) | instskip(SKIP_4) | instid1(VALU_DEP_1)
	v_fma_f64 v[10:11], v[4:5], v[8:9], v[2:3]
	ds_load_2addr_b64 v[2:5], v12 offset1:32
	ds_load_2addr_b64 v[6:9], v14 offset1:32
	s_waitcnt lgkmcnt(0)
	v_fma_f64 v[2:3], v[2:3], v[6:7], v[10:11]
	v_fma_f64 v[10:11], v[4:5], v[8:9], v[2:3]
	ds_load_2addr_b64 v[2:5], v12 offset0:64 offset1:96
	ds_load_2addr_b64 v[6:9], v14 offset0:64 offset1:96
	s_waitcnt lgkmcnt(0)
	v_fma_f64 v[2:3], v[2:3], v[6:7], v[10:11]
	s_delay_alu instid0(VALU_DEP_1) | instskip(SKIP_4) | instid1(VALU_DEP_1)
	v_fma_f64 v[10:11], v[4:5], v[8:9], v[2:3]
	ds_load_2addr_b64 v[2:5], v12 offset0:128 offset1:160
	ds_load_2addr_b64 v[6:9], v14 offset0:128 offset1:160
	s_waitcnt lgkmcnt(0)
	v_fma_f64 v[2:3], v[2:3], v[6:7], v[10:11]
	v_fma_f64 v[10:11], v[4:5], v[8:9], v[2:3]
	ds_load_2addr_b64 v[2:5], v12 offset0:192 offset1:224
	ds_load_2addr_b64 v[6:9], v14 offset0:192 offset1:224
	v_add_nc_u32_e32 v12, 0x3800, v0
	s_waitcnt lgkmcnt(0)
	v_fma_f64 v[2:3], v[2:3], v[6:7], v[10:11]
	s_delay_alu instid0(VALU_DEP_1) | instskip(SKIP_4) | instid1(VALU_DEP_1)
	v_fma_f64 v[10:11], v[4:5], v[8:9], v[2:3]
	ds_load_2addr_b64 v[2:5], v12 offset1:32
	ds_load_2addr_b64 v[6:9], v13 offset1:32
	s_waitcnt lgkmcnt(0)
	v_fma_f64 v[2:3], v[2:3], v[6:7], v[10:11]
	v_fma_f64 v[10:11], v[4:5], v[8:9], v[2:3]
	ds_load_2addr_b64 v[2:5], v12 offset0:64 offset1:96
	ds_load_2addr_b64 v[6:9], v13 offset0:64 offset1:96
	s_waitcnt lgkmcnt(0)
	v_fma_f64 v[2:3], v[2:3], v[6:7], v[10:11]
	s_delay_alu instid0(VALU_DEP_1) | instskip(SKIP_4) | instid1(VALU_DEP_1)
	v_fma_f64 v[10:11], v[4:5], v[8:9], v[2:3]
	ds_load_2addr_b64 v[2:5], v12 offset0:128 offset1:160
	ds_load_2addr_b64 v[6:9], v13 offset0:128 offset1:160
	s_waitcnt lgkmcnt(0)
	v_fma_f64 v[2:3], v[2:3], v[6:7], v[10:11]
	v_fma_f64 v[10:11], v[4:5], v[8:9], v[2:3]
	ds_load_2addr_b64 v[2:5], v12 offset0:192 offset1:224
	ds_load_2addr_b64 v[6:9], v13 offset0:192 offset1:224
	s_waitcnt lgkmcnt(0)
	v_fma_f64 v[2:3], v[2:3], v[6:7], v[10:11]
	s_delay_alu instid0(VALU_DEP_1) | instskip(SKIP_1) | instid1(VALU_DEP_1)
	v_fma_f64 v[2:3], v[4:5], v[8:9], v[2:3]
	v_mad_u64_u32 v[4:5], null, v1, s6, 0
	v_mad_u64_u32 v[6:7], null, v1, s7, v[5:6]
	s_delay_alu instid0(VALU_DEP_1) | instskip(NEXT) | instid1(VALU_DEP_1)
	v_mov_b32_e32 v5, v6
	v_lshlrev_b64 v[4:5], 3, v[4:5]
	s_delay_alu instid0(VALU_DEP_1) | instskip(NEXT) | instid1(VALU_DEP_2)
	v_add_co_u32 v1, vcc_lo, s0, v4
	v_add_co_ci_u32_e32 v4, vcc_lo, s1, v5, vcc_lo
	s_delay_alu instid0(VALU_DEP_2) | instskip(NEXT) | instid1(VALU_DEP_2)
	v_add_co_u32 v0, vcc_lo, v1, v0
	v_add_co_ci_u32_e32 v1, vcc_lo, 0, v4, vcc_lo
	v_mul_f64 v[2:3], s[12:13], v[2:3]
	global_store_b64 v[0:1], v[2:3], off
.LBB164_15:
	s_nop 0
	s_sendmsg sendmsg(MSG_DEALLOC_VGPRS)
	s_endpgm
	.section	.rodata,"a",@progbits
	.p2align	6, 0x0
	.amdhsa_kernel _ZL23rocblas_trmm_rTx_kernelILi32ELb0EdPKdKS1_KPdEv13rocblas_fill_17rocblas_diagonal_iiT2_lPT3_llS9_llPT4_lli
		.amdhsa_group_segment_fixed_size 16384
		.amdhsa_private_segment_fixed_size 0
		.amdhsa_kernarg_size 108
		.amdhsa_user_sgpr_count 14
		.amdhsa_user_sgpr_dispatch_ptr 0
		.amdhsa_user_sgpr_queue_ptr 0
		.amdhsa_user_sgpr_kernarg_segment_ptr 1
		.amdhsa_user_sgpr_dispatch_id 0
		.amdhsa_user_sgpr_private_segment_size 0
		.amdhsa_wavefront_size32 1
		.amdhsa_uses_dynamic_stack 0
		.amdhsa_enable_private_segment 0
		.amdhsa_system_sgpr_workgroup_id_x 1
		.amdhsa_system_sgpr_workgroup_id_y 0
		.amdhsa_system_sgpr_workgroup_id_z 1
		.amdhsa_system_sgpr_workgroup_info 0
		.amdhsa_system_vgpr_workitem_id 1
		.amdhsa_next_free_vgpr 15
		.amdhsa_next_free_sgpr 36
		.amdhsa_reserve_vcc 1
		.amdhsa_float_round_mode_32 0
		.amdhsa_float_round_mode_16_64 0
		.amdhsa_float_denorm_mode_32 3
		.amdhsa_float_denorm_mode_16_64 3
		.amdhsa_dx10_clamp 1
		.amdhsa_ieee_mode 1
		.amdhsa_fp16_overflow 0
		.amdhsa_workgroup_processor_mode 1
		.amdhsa_memory_ordered 1
		.amdhsa_forward_progress 0
		.amdhsa_shared_vgpr_count 0
		.amdhsa_exception_fp_ieee_invalid_op 0
		.amdhsa_exception_fp_denorm_src 0
		.amdhsa_exception_fp_ieee_div_zero 0
		.amdhsa_exception_fp_ieee_overflow 0
		.amdhsa_exception_fp_ieee_underflow 0
		.amdhsa_exception_fp_ieee_inexact 0
		.amdhsa_exception_int_div_zero 0
	.end_amdhsa_kernel
	.section	.text._ZL23rocblas_trmm_rTx_kernelILi32ELb0EdPKdKS1_KPdEv13rocblas_fill_17rocblas_diagonal_iiT2_lPT3_llS9_llPT4_lli,"axG",@progbits,_ZL23rocblas_trmm_rTx_kernelILi32ELb0EdPKdKS1_KPdEv13rocblas_fill_17rocblas_diagonal_iiT2_lPT3_llS9_llPT4_lli,comdat
.Lfunc_end164:
	.size	_ZL23rocblas_trmm_rTx_kernelILi32ELb0EdPKdKS1_KPdEv13rocblas_fill_17rocblas_diagonal_iiT2_lPT3_llS9_llPT4_lli, .Lfunc_end164-_ZL23rocblas_trmm_rTx_kernelILi32ELb0EdPKdKS1_KPdEv13rocblas_fill_17rocblas_diagonal_iiT2_lPT3_llS9_llPT4_lli
                                        ; -- End function
	.section	.AMDGPU.csdata,"",@progbits
; Kernel info:
; codeLenInByte = 1528
; NumSgprs: 38
; NumVgprs: 15
; ScratchSize: 0
; MemoryBound: 0
; FloatMode: 240
; IeeeMode: 1
; LDSByteSize: 16384 bytes/workgroup (compile time only)
; SGPRBlocks: 4
; VGPRBlocks: 1
; NumSGPRsForWavesPerEU: 38
; NumVGPRsForWavesPerEU: 15
; Occupancy: 16
; WaveLimiterHint : 1
; COMPUTE_PGM_RSRC2:SCRATCH_EN: 0
; COMPUTE_PGM_RSRC2:USER_SGPR: 14
; COMPUTE_PGM_RSRC2:TRAP_HANDLER: 0
; COMPUTE_PGM_RSRC2:TGID_X_EN: 1
; COMPUTE_PGM_RSRC2:TGID_Y_EN: 0
; COMPUTE_PGM_RSRC2:TGID_Z_EN: 1
; COMPUTE_PGM_RSRC2:TIDIG_COMP_CNT: 1
	.section	.text._ZL23rocblas_trmm_rTx_kernelILi32ELb0EddKPKdKPdEv13rocblas_fill_17rocblas_diagonal_iiT2_lPT3_llS9_llPT4_lli,"axG",@progbits,_ZL23rocblas_trmm_rTx_kernelILi32ELb0EddKPKdKPdEv13rocblas_fill_17rocblas_diagonal_iiT2_lPT3_llS9_llPT4_lli,comdat
	.globl	_ZL23rocblas_trmm_rTx_kernelILi32ELb0EddKPKdKPdEv13rocblas_fill_17rocblas_diagonal_iiT2_lPT3_llS9_llPT4_lli ; -- Begin function _ZL23rocblas_trmm_rTx_kernelILi32ELb0EddKPKdKPdEv13rocblas_fill_17rocblas_diagonal_iiT2_lPT3_llS9_llPT4_lli
	.p2align	8
	.type	_ZL23rocblas_trmm_rTx_kernelILi32ELb0EddKPKdKPdEv13rocblas_fill_17rocblas_diagonal_iiT2_lPT3_llS9_llPT4_lli,@function
_ZL23rocblas_trmm_rTx_kernelILi32ELb0EddKPKdKPdEv13rocblas_fill_17rocblas_diagonal_iiT2_lPT3_llS9_llPT4_lli: ; @_ZL23rocblas_trmm_rTx_kernelILi32ELb0EddKPKdKPdEv13rocblas_fill_17rocblas_diagonal_iiT2_lPT3_llS9_llPT4_lli
; %bb.0:
	s_load_b64 s[8:9], s[0:1], 0x10
	s_waitcnt lgkmcnt(0)
	v_cmp_eq_f64_e64 s2, s[8:9], 0
	s_delay_alu instid0(VALU_DEP_1)
	s_and_b32 vcc_lo, exec_lo, s2
	s_cbranch_vccnz .LBB165_15
; %bb.1:
	s_load_b512 s[16:31], s[0:1], 0x20
	s_mov_b32 s36, s15
	s_mov_b32 s37, 0
	s_load_b128 s[4:7], s[0:1], 0x0
	s_lshl_b64 s[34:35], s[36:37], 3
	v_bfe_u32 v1, v0, 10, 10
	s_mov_b32 s36, s37
	s_delay_alu instid0(SALU_CYCLE_1) | instskip(NEXT) | instid1(VALU_DEP_2)
	v_dual_mov_b32 v4, s36 :: v_dual_and_b32 v3, 0x3ff, v0
	v_dual_mov_b32 v5, s37 :: v_dual_lshlrev_b32 v0, 5, v1
	s_delay_alu instid0(VALU_DEP_1)
	v_add_lshl_u32 v2, v0, v3, 3
	v_lshlrev_b32_e32 v0, 3, v3
	s_waitcnt lgkmcnt(0)
	s_add_u32 s2, s22, s34
	s_addc_u32 s3, s23, s35
	s_add_u32 s10, s28, s34
	s_addc_u32 s11, s29, s35
	s_load_b64 s[12:13], s[2:3], 0x0
	s_load_b64 s[10:11], s[10:11], 0x0
	v_cmp_gt_i32_e32 vcc_lo, s7, v1
	v_cmp_gt_i32_e64 s2, s7, v3
	ds_store_2addr_stride64_b64 v2, v[4:5], v[4:5] offset1:16
	s_and_b32 s2, vcc_lo, s2
	s_delay_alu instid0(SALU_CYCLE_1)
	s_and_saveexec_b32 s3, s2
	s_cbranch_execz .LBB165_3
; %bb.2:
	v_mad_u64_u32 v[4:5], null, v1, s18, 0
	s_add_u32 s16, s16, s34
	s_addc_u32 s17, s17, s35
	s_load_b64 s[16:17], s[16:17], 0x0
	s_delay_alu instid0(VALU_DEP_1) | instskip(SKIP_1) | instid1(VALU_DEP_1)
	v_mad_u64_u32 v[6:7], null, v1, s19, v[5:6]
	s_lshl_b64 s[18:19], s[20:21], 3
	v_mov_b32_e32 v5, v6
	s_delay_alu instid0(VALU_DEP_1) | instskip(SKIP_3) | instid1(VALU_DEP_1)
	v_lshlrev_b64 v[4:5], 3, v[4:5]
	s_waitcnt lgkmcnt(0)
	s_add_u32 s2, s16, s18
	s_addc_u32 s7, s17, s19
	v_add_co_u32 v4, s2, s2, v4
	s_delay_alu instid0(VALU_DEP_1) | instskip(NEXT) | instid1(VALU_DEP_2)
	v_add_co_ci_u32_e64 v5, s2, s7, v5, s2
	v_add_co_u32 v4, s2, v4, v0
	s_delay_alu instid0(VALU_DEP_1)
	v_add_co_ci_u32_e64 v5, s2, 0, v5, s2
	global_load_b64 v[4:5], v[4:5], off
	s_waitcnt vmcnt(0)
	ds_store_b64 v2, v[4:5]
.LBB165_3:
	s_or_b32 exec_lo, exec_lo, s3
	s_add_i32 s2, s6, -1
	s_delay_alu instid0(SALU_CYCLE_1) | instskip(NEXT) | instid1(SALU_CYCLE_1)
	s_ashr_i32 s3, s2, 31
	s_lshr_b32 s3, s3, 27
	s_delay_alu instid0(SALU_CYCLE_1) | instskip(NEXT) | instid1(SALU_CYCLE_1)
	s_add_i32 s2, s2, s3
	s_and_b32 s3, s2, 0xffffffe0
	s_ashr_i32 s2, s2, 5
	s_sub_i32 s3, s6, s3
	s_cmp_ge_i32 s14, s2
	s_cselect_b32 s2, s3, 32
	s_lshl_b32 s6, s14, 5
	v_cmp_gt_i32_e64 s2, s2, v3
	s_ashr_i32 s7, s6, 31
	s_delay_alu instid0(VALU_DEP_1) | instskip(NEXT) | instid1(SALU_CYCLE_1)
	s_and_b32 s2, vcc_lo, s2
	s_and_saveexec_b32 s3, s2
	s_cbranch_execz .LBB165_5
; %bb.4:
	v_mad_u64_u32 v[4:5], null, v1, s24, 0
	s_lshl_b64 s[14:15], s[26:27], 3
	s_waitcnt lgkmcnt(0)
	s_add_u32 s14, s12, s14
	s_addc_u32 s15, s13, s15
	s_lshl_b64 s[12:13], s[6:7], 3
	s_delay_alu instid0(SALU_CYCLE_1) | instskip(NEXT) | instid1(VALU_DEP_1)
	s_add_u32 s12, s14, s12
	v_mad_u64_u32 v[6:7], null, v1, s25, v[5:6]
	s_addc_u32 s13, s15, s13
	s_delay_alu instid0(VALU_DEP_1) | instskip(NEXT) | instid1(VALU_DEP_1)
	v_dual_mov_b32 v5, v6 :: v_dual_add_nc_u32 v6, 0x2000, v2
	v_lshlrev_b64 v[4:5], 3, v[4:5]
	s_delay_alu instid0(VALU_DEP_1) | instskip(NEXT) | instid1(VALU_DEP_2)
	v_add_co_u32 v4, vcc_lo, s12, v4
	v_add_co_ci_u32_e32 v5, vcc_lo, s13, v5, vcc_lo
	s_delay_alu instid0(VALU_DEP_2) | instskip(NEXT) | instid1(VALU_DEP_2)
	v_add_co_u32 v4, vcc_lo, v4, v0
	v_add_co_ci_u32_e32 v5, vcc_lo, 0, v5, vcc_lo
	global_load_b64 v[4:5], v[4:5], off
	s_waitcnt vmcnt(0)
	ds_store_b64 v6, v[4:5]
.LBB165_5:
	s_or_b32 exec_lo, exec_lo, s3
	v_cmp_eq_u32_e32 vcc_lo, v1, v3
	s_cmpk_eq_i32 s5, 0x84
	s_cselect_b32 s3, -1, 0
	s_delay_alu instid0(SALU_CYCLE_1) | instskip(NEXT) | instid1(SALU_CYCLE_1)
	s_and_b32 s5, vcc_lo, s3
	s_and_saveexec_b32 s3, s5
	s_cbranch_execz .LBB165_7
; %bb.6:
	v_dual_mov_b32 v4, 0 :: v_dual_mov_b32 v5, 0x3ff00000
	ds_store_b64 v2, v[4:5]
.LBB165_7:
	s_or_b32 exec_lo, exec_lo, s3
	s_cmpk_lg_i32 s4, 0x79
	s_cbranch_scc0 .LBB165_9
; %bb.8:
	v_cmp_lt_u32_e32 vcc_lo, v3, v1
	s_and_b32 s3, vcc_lo, exec_lo
	s_cbranch_execz .LBB165_10
	s_branch .LBB165_11
.LBB165_9:
	s_mov_b32 s3, 0
.LBB165_10:
	v_cmp_gt_u32_e32 vcc_lo, v3, v1
	s_and_not1_b32 s3, s3, exec_lo
	s_and_b32 s4, vcc_lo, exec_lo
	s_delay_alu instid0(SALU_CYCLE_1)
	s_or_b32 s3, s3, s4
.LBB165_11:
	s_delay_alu instid0(SALU_CYCLE_1)
	s_and_saveexec_b32 s4, s3
	s_cbranch_execz .LBB165_13
; %bb.12:
	v_mov_b32_e32 v3, 0
	s_delay_alu instid0(VALU_DEP_1)
	v_mov_b32_e32 v4, v3
	ds_store_b64 v2, v[3:4]
.LBB165_13:
	s_or_b32 exec_lo, exec_lo, s4
	s_waitcnt lgkmcnt(0)
	s_barrier
	buffer_gl0_inv
	s_and_saveexec_b32 s3, s2
	s_cbranch_execz .LBB165_15
; %bb.14:
	v_add_nc_u32_e32 v12, 0x2000, v0
	v_lshlrev_b32_e32 v13, 3, v1
	s_load_b64 s[0:1], s[0:1], 0x60
	ds_load_2addr_b64 v[2:5], v12 offset1:32
	ds_load_2addr_b64 v[6:9], v13 offset1:32
	v_add_nc_u32_e32 v14, 0x800, v13
	s_waitcnt lgkmcnt(0)
	s_lshl_b64 s[0:1], s[0:1], 3
	s_delay_alu instid0(SALU_CYCLE_1) | instskip(SKIP_3) | instid1(SALU_CYCLE_1)
	s_add_u32 s2, s10, s0
	v_fma_f64 v[2:3], v[2:3], v[6:7], 0
	s_addc_u32 s3, s11, s1
	s_lshl_b64 s[0:1], s[6:7], 3
	s_add_u32 s0, s2, s0
	s_addc_u32 s1, s3, s1
	s_delay_alu instid0(VALU_DEP_1) | instskip(SKIP_4) | instid1(VALU_DEP_1)
	v_fma_f64 v[10:11], v[4:5], v[8:9], v[2:3]
	ds_load_2addr_b64 v[2:5], v12 offset0:64 offset1:96
	ds_load_2addr_b64 v[6:9], v13 offset0:64 offset1:96
	s_waitcnt lgkmcnt(0)
	v_fma_f64 v[2:3], v[2:3], v[6:7], v[10:11]
	v_fma_f64 v[10:11], v[4:5], v[8:9], v[2:3]
	ds_load_2addr_b64 v[2:5], v12 offset0:128 offset1:160
	ds_load_2addr_b64 v[6:9], v13 offset0:128 offset1:160
	s_waitcnt lgkmcnt(0)
	v_fma_f64 v[2:3], v[2:3], v[6:7], v[10:11]
	s_delay_alu instid0(VALU_DEP_1)
	v_fma_f64 v[10:11], v[4:5], v[8:9], v[2:3]
	ds_load_2addr_b64 v[2:5], v12 offset0:192 offset1:224
	ds_load_2addr_b64 v[6:9], v13 offset0:192 offset1:224
	v_add_nc_u32_e32 v12, 0x2800, v0
	s_waitcnt lgkmcnt(0)
	v_fma_f64 v[2:3], v[2:3], v[6:7], v[10:11]
	s_delay_alu instid0(VALU_DEP_1) | instskip(SKIP_4) | instid1(VALU_DEP_1)
	v_fma_f64 v[10:11], v[4:5], v[8:9], v[2:3]
	ds_load_2addr_b64 v[2:5], v12 offset1:32
	ds_load_2addr_b64 v[6:9], v14 offset1:32
	s_waitcnt lgkmcnt(0)
	v_fma_f64 v[2:3], v[2:3], v[6:7], v[10:11]
	v_fma_f64 v[10:11], v[4:5], v[8:9], v[2:3]
	ds_load_2addr_b64 v[2:5], v12 offset0:64 offset1:96
	ds_load_2addr_b64 v[6:9], v14 offset0:64 offset1:96
	s_waitcnt lgkmcnt(0)
	v_fma_f64 v[2:3], v[2:3], v[6:7], v[10:11]
	s_delay_alu instid0(VALU_DEP_1) | instskip(SKIP_4) | instid1(VALU_DEP_1)
	v_fma_f64 v[10:11], v[4:5], v[8:9], v[2:3]
	ds_load_2addr_b64 v[2:5], v12 offset0:128 offset1:160
	ds_load_2addr_b64 v[6:9], v14 offset0:128 offset1:160
	s_waitcnt lgkmcnt(0)
	v_fma_f64 v[2:3], v[2:3], v[6:7], v[10:11]
	v_fma_f64 v[10:11], v[4:5], v[8:9], v[2:3]
	ds_load_2addr_b64 v[2:5], v12 offset0:192 offset1:224
	ds_load_2addr_b64 v[6:9], v14 offset0:192 offset1:224
	v_add_nc_u32_e32 v12, 0x3000, v0
	v_add_nc_u32_e32 v14, 0x1000, v13
	;; [unrolled: 1-line block ×3, first 2 shown]
	s_waitcnt lgkmcnt(0)
	v_fma_f64 v[2:3], v[2:3], v[6:7], v[10:11]
	s_delay_alu instid0(VALU_DEP_1) | instskip(SKIP_4) | instid1(VALU_DEP_1)
	v_fma_f64 v[10:11], v[4:5], v[8:9], v[2:3]
	ds_load_2addr_b64 v[2:5], v12 offset1:32
	ds_load_2addr_b64 v[6:9], v14 offset1:32
	s_waitcnt lgkmcnt(0)
	v_fma_f64 v[2:3], v[2:3], v[6:7], v[10:11]
	v_fma_f64 v[10:11], v[4:5], v[8:9], v[2:3]
	ds_load_2addr_b64 v[2:5], v12 offset0:64 offset1:96
	ds_load_2addr_b64 v[6:9], v14 offset0:64 offset1:96
	s_waitcnt lgkmcnt(0)
	v_fma_f64 v[2:3], v[2:3], v[6:7], v[10:11]
	s_delay_alu instid0(VALU_DEP_1) | instskip(SKIP_4) | instid1(VALU_DEP_1)
	v_fma_f64 v[10:11], v[4:5], v[8:9], v[2:3]
	ds_load_2addr_b64 v[2:5], v12 offset0:128 offset1:160
	ds_load_2addr_b64 v[6:9], v14 offset0:128 offset1:160
	s_waitcnt lgkmcnt(0)
	v_fma_f64 v[2:3], v[2:3], v[6:7], v[10:11]
	v_fma_f64 v[10:11], v[4:5], v[8:9], v[2:3]
	ds_load_2addr_b64 v[2:5], v12 offset0:192 offset1:224
	ds_load_2addr_b64 v[6:9], v14 offset0:192 offset1:224
	v_add_nc_u32_e32 v12, 0x3800, v0
	s_waitcnt lgkmcnt(0)
	v_fma_f64 v[2:3], v[2:3], v[6:7], v[10:11]
	s_delay_alu instid0(VALU_DEP_1) | instskip(SKIP_4) | instid1(VALU_DEP_1)
	v_fma_f64 v[10:11], v[4:5], v[8:9], v[2:3]
	ds_load_2addr_b64 v[2:5], v12 offset1:32
	ds_load_2addr_b64 v[6:9], v13 offset1:32
	s_waitcnt lgkmcnt(0)
	v_fma_f64 v[2:3], v[2:3], v[6:7], v[10:11]
	v_fma_f64 v[10:11], v[4:5], v[8:9], v[2:3]
	ds_load_2addr_b64 v[2:5], v12 offset0:64 offset1:96
	ds_load_2addr_b64 v[6:9], v13 offset0:64 offset1:96
	s_waitcnt lgkmcnt(0)
	v_fma_f64 v[2:3], v[2:3], v[6:7], v[10:11]
	s_delay_alu instid0(VALU_DEP_1) | instskip(SKIP_4) | instid1(VALU_DEP_1)
	v_fma_f64 v[10:11], v[4:5], v[8:9], v[2:3]
	ds_load_2addr_b64 v[2:5], v12 offset0:128 offset1:160
	ds_load_2addr_b64 v[6:9], v13 offset0:128 offset1:160
	s_waitcnt lgkmcnt(0)
	v_fma_f64 v[2:3], v[2:3], v[6:7], v[10:11]
	v_fma_f64 v[10:11], v[4:5], v[8:9], v[2:3]
	ds_load_2addr_b64 v[2:5], v12 offset0:192 offset1:224
	ds_load_2addr_b64 v[6:9], v13 offset0:192 offset1:224
	s_waitcnt lgkmcnt(0)
	v_fma_f64 v[2:3], v[2:3], v[6:7], v[10:11]
	s_delay_alu instid0(VALU_DEP_1) | instskip(SKIP_1) | instid1(VALU_DEP_1)
	v_fma_f64 v[2:3], v[4:5], v[8:9], v[2:3]
	v_mad_u64_u32 v[4:5], null, v1, s30, 0
	v_mad_u64_u32 v[6:7], null, v1, s31, v[5:6]
	s_delay_alu instid0(VALU_DEP_1) | instskip(NEXT) | instid1(VALU_DEP_1)
	v_mov_b32_e32 v5, v6
	v_lshlrev_b64 v[4:5], 3, v[4:5]
	s_delay_alu instid0(VALU_DEP_1) | instskip(NEXT) | instid1(VALU_DEP_2)
	v_add_co_u32 v1, vcc_lo, s0, v4
	v_add_co_ci_u32_e32 v4, vcc_lo, s1, v5, vcc_lo
	s_delay_alu instid0(VALU_DEP_2) | instskip(NEXT) | instid1(VALU_DEP_2)
	v_add_co_u32 v0, vcc_lo, v1, v0
	v_add_co_ci_u32_e32 v1, vcc_lo, 0, v4, vcc_lo
	v_mul_f64 v[2:3], v[2:3], s[8:9]
	global_store_b64 v[0:1], v[2:3], off
.LBB165_15:
	s_nop 0
	s_sendmsg sendmsg(MSG_DEALLOC_VGPRS)
	s_endpgm
	.section	.rodata,"a",@progbits
	.p2align	6, 0x0
	.amdhsa_kernel _ZL23rocblas_trmm_rTx_kernelILi32ELb0EddKPKdKPdEv13rocblas_fill_17rocblas_diagonal_iiT2_lPT3_llS9_llPT4_lli
		.amdhsa_group_segment_fixed_size 16384
		.amdhsa_private_segment_fixed_size 0
		.amdhsa_kernarg_size 108
		.amdhsa_user_sgpr_count 14
		.amdhsa_user_sgpr_dispatch_ptr 0
		.amdhsa_user_sgpr_queue_ptr 0
		.amdhsa_user_sgpr_kernarg_segment_ptr 1
		.amdhsa_user_sgpr_dispatch_id 0
		.amdhsa_user_sgpr_private_segment_size 0
		.amdhsa_wavefront_size32 1
		.amdhsa_uses_dynamic_stack 0
		.amdhsa_enable_private_segment 0
		.amdhsa_system_sgpr_workgroup_id_x 1
		.amdhsa_system_sgpr_workgroup_id_y 0
		.amdhsa_system_sgpr_workgroup_id_z 1
		.amdhsa_system_sgpr_workgroup_info 0
		.amdhsa_system_vgpr_workitem_id 1
		.amdhsa_next_free_vgpr 15
		.amdhsa_next_free_sgpr 38
		.amdhsa_reserve_vcc 1
		.amdhsa_float_round_mode_32 0
		.amdhsa_float_round_mode_16_64 0
		.amdhsa_float_denorm_mode_32 3
		.amdhsa_float_denorm_mode_16_64 3
		.amdhsa_dx10_clamp 1
		.amdhsa_ieee_mode 1
		.amdhsa_fp16_overflow 0
		.amdhsa_workgroup_processor_mode 1
		.amdhsa_memory_ordered 1
		.amdhsa_forward_progress 0
		.amdhsa_shared_vgpr_count 0
		.amdhsa_exception_fp_ieee_invalid_op 0
		.amdhsa_exception_fp_denorm_src 0
		.amdhsa_exception_fp_ieee_div_zero 0
		.amdhsa_exception_fp_ieee_overflow 0
		.amdhsa_exception_fp_ieee_underflow 0
		.amdhsa_exception_fp_ieee_inexact 0
		.amdhsa_exception_int_div_zero 0
	.end_amdhsa_kernel
	.section	.text._ZL23rocblas_trmm_rTx_kernelILi32ELb0EddKPKdKPdEv13rocblas_fill_17rocblas_diagonal_iiT2_lPT3_llS9_llPT4_lli,"axG",@progbits,_ZL23rocblas_trmm_rTx_kernelILi32ELb0EddKPKdKPdEv13rocblas_fill_17rocblas_diagonal_iiT2_lPT3_llS9_llPT4_lli,comdat
.Lfunc_end165:
	.size	_ZL23rocblas_trmm_rTx_kernelILi32ELb0EddKPKdKPdEv13rocblas_fill_17rocblas_diagonal_iiT2_lPT3_llS9_llPT4_lli, .Lfunc_end165-_ZL23rocblas_trmm_rTx_kernelILi32ELb0EddKPKdKPdEv13rocblas_fill_17rocblas_diagonal_iiT2_lPT3_llS9_llPT4_lli
                                        ; -- End function
	.section	.AMDGPU.csdata,"",@progbits
; Kernel info:
; codeLenInByte = 1484
; NumSgprs: 40
; NumVgprs: 15
; ScratchSize: 0
; MemoryBound: 0
; FloatMode: 240
; IeeeMode: 1
; LDSByteSize: 16384 bytes/workgroup (compile time only)
; SGPRBlocks: 4
; VGPRBlocks: 1
; NumSGPRsForWavesPerEU: 40
; NumVGPRsForWavesPerEU: 15
; Occupancy: 16
; WaveLimiterHint : 1
; COMPUTE_PGM_RSRC2:SCRATCH_EN: 0
; COMPUTE_PGM_RSRC2:USER_SGPR: 14
; COMPUTE_PGM_RSRC2:TRAP_HANDLER: 0
; COMPUTE_PGM_RSRC2:TGID_X_EN: 1
; COMPUTE_PGM_RSRC2:TGID_Y_EN: 0
; COMPUTE_PGM_RSRC2:TGID_Z_EN: 1
; COMPUTE_PGM_RSRC2:TIDIG_COMP_CNT: 1
	.section	.text._ZL23rocblas_trmm_rTx_kernelILi32ELb1EdPKdKS1_KPdEv13rocblas_fill_17rocblas_diagonal_iiT2_lPT3_llS9_llPT4_lli,"axG",@progbits,_ZL23rocblas_trmm_rTx_kernelILi32ELb1EdPKdKS1_KPdEv13rocblas_fill_17rocblas_diagonal_iiT2_lPT3_llS9_llPT4_lli,comdat
	.globl	_ZL23rocblas_trmm_rTx_kernelILi32ELb1EdPKdKS1_KPdEv13rocblas_fill_17rocblas_diagonal_iiT2_lPT3_llS9_llPT4_lli ; -- Begin function _ZL23rocblas_trmm_rTx_kernelILi32ELb1EdPKdKS1_KPdEv13rocblas_fill_17rocblas_diagonal_iiT2_lPT3_llS9_llPT4_lli
	.p2align	8
	.type	_ZL23rocblas_trmm_rTx_kernelILi32ELb1EdPKdKS1_KPdEv13rocblas_fill_17rocblas_diagonal_iiT2_lPT3_llS9_llPT4_lli,@function
_ZL23rocblas_trmm_rTx_kernelILi32ELb1EdPKdKS1_KPdEv13rocblas_fill_17rocblas_diagonal_iiT2_lPT3_llS9_llPT4_lli: ; @_ZL23rocblas_trmm_rTx_kernelILi32ELb1EdPKdKS1_KPdEv13rocblas_fill_17rocblas_diagonal_iiT2_lPT3_llS9_llPT4_lli
; %bb.0:
	s_load_b512 s[16:31], s[0:1], 0x10
	s_waitcnt lgkmcnt(0)
	s_mul_i32 s2, s15, s19
	s_mul_hi_u32 s3, s15, s18
	s_delay_alu instid0(SALU_CYCLE_1) | instskip(SKIP_1) | instid1(SALU_CYCLE_1)
	s_add_i32 s3, s3, s2
	s_mul_i32 s2, s15, s18
	s_lshl_b64 s[2:3], s[2:3], 3
	s_delay_alu instid0(SALU_CYCLE_1) | instskip(SKIP_4) | instid1(VALU_DEP_1)
	s_add_u32 s2, s16, s2
	s_addc_u32 s3, s17, s3
	s_load_b64 s[12:13], s[2:3], 0x0
	s_waitcnt lgkmcnt(0)
	v_cmp_eq_f64_e64 s2, s[12:13], 0
	s_and_b32 vcc_lo, exec_lo, s2
	s_cbranch_vccnz .LBB166_15
; %bb.1:
	s_clause 0x1
	s_load_b128 s[4:7], s[0:1], 0x50
	s_load_b128 s[8:11], s[0:1], 0x0
	s_mov_b32 s34, s15
	s_mov_b32 s35, 0
	v_bfe_u32 v1, v0, 10, 10
	s_lshl_b64 s[18:19], s[34:35], 3
	s_mov_b32 s34, s35
	s_add_u32 s2, s26, s18
	s_addc_u32 s3, s27, s19
	v_dual_mov_b32 v4, s34 :: v_dual_and_b32 v3, 0x3ff, v0
	v_dual_mov_b32 v5, s35 :: v_dual_lshlrev_b32 v0, 5, v1
	s_delay_alu instid0(VALU_DEP_1)
	v_add_lshl_u32 v2, v0, v3, 3
	v_lshlrev_b32_e32 v0, 3, v3
	s_waitcnt lgkmcnt(0)
	s_add_u32 s4, s4, s18
	s_addc_u32 s5, s5, s19
	s_load_b64 s[16:17], s[2:3], 0x0
	s_load_b64 s[4:5], s[4:5], 0x0
	v_cmp_gt_i32_e32 vcc_lo, s11, v1
	v_cmp_gt_i32_e64 s2, s11, v3
	ds_store_2addr_stride64_b64 v2, v[4:5], v[4:5] offset1:16
	s_and_b32 s2, vcc_lo, s2
	s_delay_alu instid0(SALU_CYCLE_1)
	s_and_saveexec_b32 s3, s2
	s_cbranch_execz .LBB166_3
; %bb.2:
	v_mad_u64_u32 v[4:5], null, v1, s22, 0
	s_add_u32 s18, s20, s18
	s_addc_u32 s19, s21, s19
	s_lshl_b64 s[20:21], s[24:25], 3
	s_load_b64 s[18:19], s[18:19], 0x0
	s_delay_alu instid0(VALU_DEP_1) | instskip(NEXT) | instid1(VALU_DEP_1)
	v_mad_u64_u32 v[6:7], null, v1, s23, v[5:6]
	v_mov_b32_e32 v5, v6
	s_delay_alu instid0(VALU_DEP_1) | instskip(SKIP_3) | instid1(VALU_DEP_1)
	v_lshlrev_b64 v[4:5], 3, v[4:5]
	s_waitcnt lgkmcnt(0)
	s_add_u32 s2, s18, s20
	s_addc_u32 s11, s19, s21
	v_add_co_u32 v4, s2, s2, v4
	s_delay_alu instid0(VALU_DEP_1) | instskip(NEXT) | instid1(VALU_DEP_2)
	v_add_co_ci_u32_e64 v5, s2, s11, v5, s2
	v_add_co_u32 v4, s2, v4, v0
	s_delay_alu instid0(VALU_DEP_1)
	v_add_co_ci_u32_e64 v5, s2, 0, v5, s2
	global_load_b64 v[4:5], v[4:5], off
	s_waitcnt vmcnt(0)
	ds_store_b64 v2, v[4:5]
.LBB166_3:
	s_or_b32 exec_lo, exec_lo, s3
	s_add_i32 s2, s10, -1
	s_delay_alu instid0(SALU_CYCLE_1) | instskip(NEXT) | instid1(SALU_CYCLE_1)
	s_ashr_i32 s3, s2, 31
	s_lshr_b32 s3, s3, 27
	s_delay_alu instid0(SALU_CYCLE_1) | instskip(NEXT) | instid1(SALU_CYCLE_1)
	s_add_i32 s2, s2, s3
	s_and_b32 s3, s2, 0xffffffe0
	s_ashr_i32 s2, s2, 5
	s_sub_i32 s3, s10, s3
	s_cmp_ge_i32 s14, s2
	s_cselect_b32 s2, s3, 32
	s_lshl_b32 s10, s14, 5
	v_cmp_gt_i32_e64 s2, s2, v3
	s_ashr_i32 s11, s10, 31
	s_delay_alu instid0(VALU_DEP_1) | instskip(NEXT) | instid1(SALU_CYCLE_1)
	s_and_b32 s2, vcc_lo, s2
	s_and_saveexec_b32 s3, s2
	s_cbranch_execz .LBB166_5
; %bb.4:
	v_mad_u64_u32 v[4:5], null, v1, s28, 0
	s_lshl_b64 s[14:15], s[30:31], 3
	s_waitcnt lgkmcnt(0)
	s_add_u32 s16, s16, s14
	s_addc_u32 s17, s17, s15
	s_lshl_b64 s[14:15], s[10:11], 3
	s_delay_alu instid0(SALU_CYCLE_1) | instskip(NEXT) | instid1(VALU_DEP_1)
	s_add_u32 s14, s16, s14
	v_mad_u64_u32 v[6:7], null, v1, s29, v[5:6]
	s_addc_u32 s15, s17, s15
	s_delay_alu instid0(VALU_DEP_1) | instskip(NEXT) | instid1(VALU_DEP_1)
	v_dual_mov_b32 v5, v6 :: v_dual_add_nc_u32 v6, 0x2000, v2
	v_lshlrev_b64 v[4:5], 3, v[4:5]
	s_delay_alu instid0(VALU_DEP_1) | instskip(NEXT) | instid1(VALU_DEP_2)
	v_add_co_u32 v4, vcc_lo, s14, v4
	v_add_co_ci_u32_e32 v5, vcc_lo, s15, v5, vcc_lo
	s_delay_alu instid0(VALU_DEP_2) | instskip(NEXT) | instid1(VALU_DEP_2)
	v_add_co_u32 v4, vcc_lo, v4, v0
	v_add_co_ci_u32_e32 v5, vcc_lo, 0, v5, vcc_lo
	global_load_b64 v[4:5], v[4:5], off
	s_waitcnt vmcnt(0)
	ds_store_b64 v6, v[4:5]
.LBB166_5:
	s_or_b32 exec_lo, exec_lo, s3
	v_cmp_eq_u32_e32 vcc_lo, v1, v3
	s_cmpk_eq_i32 s9, 0x84
	s_cselect_b32 s3, -1, 0
	s_delay_alu instid0(SALU_CYCLE_1) | instskip(NEXT) | instid1(SALU_CYCLE_1)
	s_and_b32 s9, vcc_lo, s3
	s_and_saveexec_b32 s3, s9
	s_cbranch_execz .LBB166_7
; %bb.6:
	v_dual_mov_b32 v4, 0 :: v_dual_mov_b32 v5, 0x3ff00000
	ds_store_b64 v2, v[4:5]
.LBB166_7:
	s_or_b32 exec_lo, exec_lo, s3
	s_cmpk_lg_i32 s8, 0x79
	s_cbranch_scc0 .LBB166_9
; %bb.8:
	v_cmp_lt_u32_e32 vcc_lo, v3, v1
	s_and_b32 s3, vcc_lo, exec_lo
	s_cbranch_execz .LBB166_10
	s_branch .LBB166_11
.LBB166_9:
	s_mov_b32 s3, 0
.LBB166_10:
	v_cmp_gt_u32_e32 vcc_lo, v3, v1
	s_and_not1_b32 s3, s3, exec_lo
	s_and_b32 s8, vcc_lo, exec_lo
	s_delay_alu instid0(SALU_CYCLE_1)
	s_or_b32 s3, s3, s8
.LBB166_11:
	s_delay_alu instid0(SALU_CYCLE_1)
	s_and_saveexec_b32 s8, s3
	s_cbranch_execz .LBB166_13
; %bb.12:
	v_mov_b32_e32 v3, 0
	s_delay_alu instid0(VALU_DEP_1)
	v_mov_b32_e32 v4, v3
	ds_store_b64 v2, v[3:4]
.LBB166_13:
	s_or_b32 exec_lo, exec_lo, s8
	s_waitcnt lgkmcnt(0)
	s_barrier
	buffer_gl0_inv
	s_and_saveexec_b32 s3, s2
	s_cbranch_execz .LBB166_15
; %bb.14:
	v_add_nc_u32_e32 v12, 0x2000, v0
	v_lshlrev_b32_e32 v13, 3, v1
	s_load_b64 s[0:1], s[0:1], 0x60
	ds_load_2addr_b64 v[2:5], v12 offset1:32
	ds_load_2addr_b64 v[6:9], v13 offset1:32
	v_add_nc_u32_e32 v14, 0x800, v13
	s_waitcnt lgkmcnt(0)
	s_lshl_b64 s[0:1], s[0:1], 3
	s_delay_alu instid0(SALU_CYCLE_1) | instskip(SKIP_3) | instid1(SALU_CYCLE_1)
	s_add_u32 s2, s4, s0
	v_fma_f64 v[2:3], v[2:3], v[6:7], 0
	s_addc_u32 s3, s5, s1
	s_lshl_b64 s[0:1], s[10:11], 3
	s_add_u32 s0, s2, s0
	s_addc_u32 s1, s3, s1
	s_delay_alu instid0(VALU_DEP_1) | instskip(SKIP_4) | instid1(VALU_DEP_1)
	v_fma_f64 v[10:11], v[4:5], v[8:9], v[2:3]
	ds_load_2addr_b64 v[2:5], v12 offset0:64 offset1:96
	ds_load_2addr_b64 v[6:9], v13 offset0:64 offset1:96
	s_waitcnt lgkmcnt(0)
	v_fma_f64 v[2:3], v[2:3], v[6:7], v[10:11]
	v_fma_f64 v[10:11], v[4:5], v[8:9], v[2:3]
	ds_load_2addr_b64 v[2:5], v12 offset0:128 offset1:160
	ds_load_2addr_b64 v[6:9], v13 offset0:128 offset1:160
	s_waitcnt lgkmcnt(0)
	v_fma_f64 v[2:3], v[2:3], v[6:7], v[10:11]
	s_delay_alu instid0(VALU_DEP_1)
	v_fma_f64 v[10:11], v[4:5], v[8:9], v[2:3]
	ds_load_2addr_b64 v[2:5], v12 offset0:192 offset1:224
	ds_load_2addr_b64 v[6:9], v13 offset0:192 offset1:224
	v_add_nc_u32_e32 v12, 0x2800, v0
	s_waitcnt lgkmcnt(0)
	v_fma_f64 v[2:3], v[2:3], v[6:7], v[10:11]
	s_delay_alu instid0(VALU_DEP_1) | instskip(SKIP_4) | instid1(VALU_DEP_1)
	v_fma_f64 v[10:11], v[4:5], v[8:9], v[2:3]
	ds_load_2addr_b64 v[2:5], v12 offset1:32
	ds_load_2addr_b64 v[6:9], v14 offset1:32
	s_waitcnt lgkmcnt(0)
	v_fma_f64 v[2:3], v[2:3], v[6:7], v[10:11]
	v_fma_f64 v[10:11], v[4:5], v[8:9], v[2:3]
	ds_load_2addr_b64 v[2:5], v12 offset0:64 offset1:96
	ds_load_2addr_b64 v[6:9], v14 offset0:64 offset1:96
	s_waitcnt lgkmcnt(0)
	v_fma_f64 v[2:3], v[2:3], v[6:7], v[10:11]
	s_delay_alu instid0(VALU_DEP_1) | instskip(SKIP_4) | instid1(VALU_DEP_1)
	v_fma_f64 v[10:11], v[4:5], v[8:9], v[2:3]
	ds_load_2addr_b64 v[2:5], v12 offset0:128 offset1:160
	ds_load_2addr_b64 v[6:9], v14 offset0:128 offset1:160
	s_waitcnt lgkmcnt(0)
	v_fma_f64 v[2:3], v[2:3], v[6:7], v[10:11]
	v_fma_f64 v[10:11], v[4:5], v[8:9], v[2:3]
	ds_load_2addr_b64 v[2:5], v12 offset0:192 offset1:224
	ds_load_2addr_b64 v[6:9], v14 offset0:192 offset1:224
	v_add_nc_u32_e32 v12, 0x3000, v0
	v_add_nc_u32_e32 v14, 0x1000, v13
	v_add_nc_u32_e32 v13, 0x1800, v13
	s_waitcnt lgkmcnt(0)
	v_fma_f64 v[2:3], v[2:3], v[6:7], v[10:11]
	s_delay_alu instid0(VALU_DEP_1) | instskip(SKIP_4) | instid1(VALU_DEP_1)
	v_fma_f64 v[10:11], v[4:5], v[8:9], v[2:3]
	ds_load_2addr_b64 v[2:5], v12 offset1:32
	ds_load_2addr_b64 v[6:9], v14 offset1:32
	s_waitcnt lgkmcnt(0)
	v_fma_f64 v[2:3], v[2:3], v[6:7], v[10:11]
	v_fma_f64 v[10:11], v[4:5], v[8:9], v[2:3]
	ds_load_2addr_b64 v[2:5], v12 offset0:64 offset1:96
	ds_load_2addr_b64 v[6:9], v14 offset0:64 offset1:96
	s_waitcnt lgkmcnt(0)
	v_fma_f64 v[2:3], v[2:3], v[6:7], v[10:11]
	s_delay_alu instid0(VALU_DEP_1) | instskip(SKIP_4) | instid1(VALU_DEP_1)
	v_fma_f64 v[10:11], v[4:5], v[8:9], v[2:3]
	ds_load_2addr_b64 v[2:5], v12 offset0:128 offset1:160
	ds_load_2addr_b64 v[6:9], v14 offset0:128 offset1:160
	s_waitcnt lgkmcnt(0)
	v_fma_f64 v[2:3], v[2:3], v[6:7], v[10:11]
	v_fma_f64 v[10:11], v[4:5], v[8:9], v[2:3]
	ds_load_2addr_b64 v[2:5], v12 offset0:192 offset1:224
	ds_load_2addr_b64 v[6:9], v14 offset0:192 offset1:224
	v_add_nc_u32_e32 v12, 0x3800, v0
	s_waitcnt lgkmcnt(0)
	v_fma_f64 v[2:3], v[2:3], v[6:7], v[10:11]
	s_delay_alu instid0(VALU_DEP_1) | instskip(SKIP_4) | instid1(VALU_DEP_1)
	v_fma_f64 v[10:11], v[4:5], v[8:9], v[2:3]
	ds_load_2addr_b64 v[2:5], v12 offset1:32
	ds_load_2addr_b64 v[6:9], v13 offset1:32
	s_waitcnt lgkmcnt(0)
	v_fma_f64 v[2:3], v[2:3], v[6:7], v[10:11]
	v_fma_f64 v[10:11], v[4:5], v[8:9], v[2:3]
	ds_load_2addr_b64 v[2:5], v12 offset0:64 offset1:96
	ds_load_2addr_b64 v[6:9], v13 offset0:64 offset1:96
	s_waitcnt lgkmcnt(0)
	v_fma_f64 v[2:3], v[2:3], v[6:7], v[10:11]
	s_delay_alu instid0(VALU_DEP_1) | instskip(SKIP_4) | instid1(VALU_DEP_1)
	v_fma_f64 v[10:11], v[4:5], v[8:9], v[2:3]
	ds_load_2addr_b64 v[2:5], v12 offset0:128 offset1:160
	ds_load_2addr_b64 v[6:9], v13 offset0:128 offset1:160
	s_waitcnt lgkmcnt(0)
	v_fma_f64 v[2:3], v[2:3], v[6:7], v[10:11]
	v_fma_f64 v[10:11], v[4:5], v[8:9], v[2:3]
	ds_load_2addr_b64 v[2:5], v12 offset0:192 offset1:224
	ds_load_2addr_b64 v[6:9], v13 offset0:192 offset1:224
	s_waitcnt lgkmcnt(0)
	v_fma_f64 v[2:3], v[2:3], v[6:7], v[10:11]
	s_delay_alu instid0(VALU_DEP_1) | instskip(SKIP_1) | instid1(VALU_DEP_1)
	v_fma_f64 v[2:3], v[4:5], v[8:9], v[2:3]
	v_mad_u64_u32 v[4:5], null, v1, s6, 0
	v_mad_u64_u32 v[6:7], null, v1, s7, v[5:6]
	s_delay_alu instid0(VALU_DEP_1) | instskip(NEXT) | instid1(VALU_DEP_1)
	v_mov_b32_e32 v5, v6
	v_lshlrev_b64 v[4:5], 3, v[4:5]
	s_delay_alu instid0(VALU_DEP_1) | instskip(NEXT) | instid1(VALU_DEP_2)
	v_add_co_u32 v1, vcc_lo, s0, v4
	v_add_co_ci_u32_e32 v4, vcc_lo, s1, v5, vcc_lo
	s_delay_alu instid0(VALU_DEP_2) | instskip(NEXT) | instid1(VALU_DEP_2)
	v_add_co_u32 v0, vcc_lo, v1, v0
	v_add_co_ci_u32_e32 v1, vcc_lo, 0, v4, vcc_lo
	v_mul_f64 v[2:3], s[12:13], v[2:3]
	global_store_b64 v[0:1], v[2:3], off
.LBB166_15:
	s_nop 0
	s_sendmsg sendmsg(MSG_DEALLOC_VGPRS)
	s_endpgm
	.section	.rodata,"a",@progbits
	.p2align	6, 0x0
	.amdhsa_kernel _ZL23rocblas_trmm_rTx_kernelILi32ELb1EdPKdKS1_KPdEv13rocblas_fill_17rocblas_diagonal_iiT2_lPT3_llS9_llPT4_lli
		.amdhsa_group_segment_fixed_size 16384
		.amdhsa_private_segment_fixed_size 0
		.amdhsa_kernarg_size 108
		.amdhsa_user_sgpr_count 14
		.amdhsa_user_sgpr_dispatch_ptr 0
		.amdhsa_user_sgpr_queue_ptr 0
		.amdhsa_user_sgpr_kernarg_segment_ptr 1
		.amdhsa_user_sgpr_dispatch_id 0
		.amdhsa_user_sgpr_private_segment_size 0
		.amdhsa_wavefront_size32 1
		.amdhsa_uses_dynamic_stack 0
		.amdhsa_enable_private_segment 0
		.amdhsa_system_sgpr_workgroup_id_x 1
		.amdhsa_system_sgpr_workgroup_id_y 0
		.amdhsa_system_sgpr_workgroup_id_z 1
		.amdhsa_system_sgpr_workgroup_info 0
		.amdhsa_system_vgpr_workitem_id 1
		.amdhsa_next_free_vgpr 15
		.amdhsa_next_free_sgpr 36
		.amdhsa_reserve_vcc 1
		.amdhsa_float_round_mode_32 0
		.amdhsa_float_round_mode_16_64 0
		.amdhsa_float_denorm_mode_32 3
		.amdhsa_float_denorm_mode_16_64 3
		.amdhsa_dx10_clamp 1
		.amdhsa_ieee_mode 1
		.amdhsa_fp16_overflow 0
		.amdhsa_workgroup_processor_mode 1
		.amdhsa_memory_ordered 1
		.amdhsa_forward_progress 0
		.amdhsa_shared_vgpr_count 0
		.amdhsa_exception_fp_ieee_invalid_op 0
		.amdhsa_exception_fp_denorm_src 0
		.amdhsa_exception_fp_ieee_div_zero 0
		.amdhsa_exception_fp_ieee_overflow 0
		.amdhsa_exception_fp_ieee_underflow 0
		.amdhsa_exception_fp_ieee_inexact 0
		.amdhsa_exception_int_div_zero 0
	.end_amdhsa_kernel
	.section	.text._ZL23rocblas_trmm_rTx_kernelILi32ELb1EdPKdKS1_KPdEv13rocblas_fill_17rocblas_diagonal_iiT2_lPT3_llS9_llPT4_lli,"axG",@progbits,_ZL23rocblas_trmm_rTx_kernelILi32ELb1EdPKdKS1_KPdEv13rocblas_fill_17rocblas_diagonal_iiT2_lPT3_llS9_llPT4_lli,comdat
.Lfunc_end166:
	.size	_ZL23rocblas_trmm_rTx_kernelILi32ELb1EdPKdKS1_KPdEv13rocblas_fill_17rocblas_diagonal_iiT2_lPT3_llS9_llPT4_lli, .Lfunc_end166-_ZL23rocblas_trmm_rTx_kernelILi32ELb1EdPKdKS1_KPdEv13rocblas_fill_17rocblas_diagonal_iiT2_lPT3_llS9_llPT4_lli
                                        ; -- End function
	.section	.AMDGPU.csdata,"",@progbits
; Kernel info:
; codeLenInByte = 1528
; NumSgprs: 38
; NumVgprs: 15
; ScratchSize: 0
; MemoryBound: 0
; FloatMode: 240
; IeeeMode: 1
; LDSByteSize: 16384 bytes/workgroup (compile time only)
; SGPRBlocks: 4
; VGPRBlocks: 1
; NumSGPRsForWavesPerEU: 38
; NumVGPRsForWavesPerEU: 15
; Occupancy: 16
; WaveLimiterHint : 1
; COMPUTE_PGM_RSRC2:SCRATCH_EN: 0
; COMPUTE_PGM_RSRC2:USER_SGPR: 14
; COMPUTE_PGM_RSRC2:TRAP_HANDLER: 0
; COMPUTE_PGM_RSRC2:TGID_X_EN: 1
; COMPUTE_PGM_RSRC2:TGID_Y_EN: 0
; COMPUTE_PGM_RSRC2:TGID_Z_EN: 1
; COMPUTE_PGM_RSRC2:TIDIG_COMP_CNT: 1
	.section	.text._ZL23rocblas_trmm_rTx_kernelILi32ELb1EddKPKdKPdEv13rocblas_fill_17rocblas_diagonal_iiT2_lPT3_llS9_llPT4_lli,"axG",@progbits,_ZL23rocblas_trmm_rTx_kernelILi32ELb1EddKPKdKPdEv13rocblas_fill_17rocblas_diagonal_iiT2_lPT3_llS9_llPT4_lli,comdat
	.globl	_ZL23rocblas_trmm_rTx_kernelILi32ELb1EddKPKdKPdEv13rocblas_fill_17rocblas_diagonal_iiT2_lPT3_llS9_llPT4_lli ; -- Begin function _ZL23rocblas_trmm_rTx_kernelILi32ELb1EddKPKdKPdEv13rocblas_fill_17rocblas_diagonal_iiT2_lPT3_llS9_llPT4_lli
	.p2align	8
	.type	_ZL23rocblas_trmm_rTx_kernelILi32ELb1EddKPKdKPdEv13rocblas_fill_17rocblas_diagonal_iiT2_lPT3_llS9_llPT4_lli,@function
_ZL23rocblas_trmm_rTx_kernelILi32ELb1EddKPKdKPdEv13rocblas_fill_17rocblas_diagonal_iiT2_lPT3_llS9_llPT4_lli: ; @_ZL23rocblas_trmm_rTx_kernelILi32ELb1EddKPKdKPdEv13rocblas_fill_17rocblas_diagonal_iiT2_lPT3_llS9_llPT4_lli
; %bb.0:
	s_load_b64 s[8:9], s[0:1], 0x10
	s_waitcnt lgkmcnt(0)
	v_cmp_eq_f64_e64 s2, s[8:9], 0
	s_delay_alu instid0(VALU_DEP_1)
	s_and_b32 vcc_lo, exec_lo, s2
	s_cbranch_vccnz .LBB167_15
; %bb.1:
	s_load_b512 s[16:31], s[0:1], 0x20
	s_mov_b32 s36, s15
	s_mov_b32 s37, 0
	s_load_b128 s[4:7], s[0:1], 0x0
	s_lshl_b64 s[34:35], s[36:37], 3
	v_bfe_u32 v1, v0, 10, 10
	s_mov_b32 s36, s37
	s_delay_alu instid0(SALU_CYCLE_1) | instskip(NEXT) | instid1(VALU_DEP_2)
	v_dual_mov_b32 v4, s36 :: v_dual_and_b32 v3, 0x3ff, v0
	v_dual_mov_b32 v5, s37 :: v_dual_lshlrev_b32 v0, 5, v1
	s_delay_alu instid0(VALU_DEP_1)
	v_add_lshl_u32 v2, v0, v3, 3
	v_lshlrev_b32_e32 v0, 3, v3
	s_waitcnt lgkmcnt(0)
	s_add_u32 s2, s22, s34
	s_addc_u32 s3, s23, s35
	s_add_u32 s10, s28, s34
	s_addc_u32 s11, s29, s35
	s_load_b64 s[12:13], s[2:3], 0x0
	s_load_b64 s[10:11], s[10:11], 0x0
	v_cmp_gt_i32_e32 vcc_lo, s7, v1
	v_cmp_gt_i32_e64 s2, s7, v3
	ds_store_2addr_stride64_b64 v2, v[4:5], v[4:5] offset1:16
	s_and_b32 s2, vcc_lo, s2
	s_delay_alu instid0(SALU_CYCLE_1)
	s_and_saveexec_b32 s3, s2
	s_cbranch_execz .LBB167_3
; %bb.2:
	v_mad_u64_u32 v[4:5], null, v1, s18, 0
	s_add_u32 s16, s16, s34
	s_addc_u32 s17, s17, s35
	s_load_b64 s[16:17], s[16:17], 0x0
	s_delay_alu instid0(VALU_DEP_1) | instskip(SKIP_1) | instid1(VALU_DEP_1)
	v_mad_u64_u32 v[6:7], null, v1, s19, v[5:6]
	s_lshl_b64 s[18:19], s[20:21], 3
	v_mov_b32_e32 v5, v6
	s_delay_alu instid0(VALU_DEP_1) | instskip(SKIP_3) | instid1(VALU_DEP_1)
	v_lshlrev_b64 v[4:5], 3, v[4:5]
	s_waitcnt lgkmcnt(0)
	s_add_u32 s2, s16, s18
	s_addc_u32 s7, s17, s19
	v_add_co_u32 v4, s2, s2, v4
	s_delay_alu instid0(VALU_DEP_1) | instskip(NEXT) | instid1(VALU_DEP_2)
	v_add_co_ci_u32_e64 v5, s2, s7, v5, s2
	v_add_co_u32 v4, s2, v4, v0
	s_delay_alu instid0(VALU_DEP_1)
	v_add_co_ci_u32_e64 v5, s2, 0, v5, s2
	global_load_b64 v[4:5], v[4:5], off
	s_waitcnt vmcnt(0)
	ds_store_b64 v2, v[4:5]
.LBB167_3:
	s_or_b32 exec_lo, exec_lo, s3
	s_add_i32 s2, s6, -1
	s_delay_alu instid0(SALU_CYCLE_1) | instskip(NEXT) | instid1(SALU_CYCLE_1)
	s_ashr_i32 s3, s2, 31
	s_lshr_b32 s3, s3, 27
	s_delay_alu instid0(SALU_CYCLE_1) | instskip(NEXT) | instid1(SALU_CYCLE_1)
	s_add_i32 s2, s2, s3
	s_and_b32 s3, s2, 0xffffffe0
	s_ashr_i32 s2, s2, 5
	s_sub_i32 s3, s6, s3
	s_cmp_ge_i32 s14, s2
	s_cselect_b32 s2, s3, 32
	s_lshl_b32 s6, s14, 5
	v_cmp_gt_i32_e64 s2, s2, v3
	s_ashr_i32 s7, s6, 31
	s_delay_alu instid0(VALU_DEP_1) | instskip(NEXT) | instid1(SALU_CYCLE_1)
	s_and_b32 s2, vcc_lo, s2
	s_and_saveexec_b32 s3, s2
	s_cbranch_execz .LBB167_5
; %bb.4:
	v_mad_u64_u32 v[4:5], null, v1, s24, 0
	s_lshl_b64 s[14:15], s[26:27], 3
	s_waitcnt lgkmcnt(0)
	s_add_u32 s14, s12, s14
	s_addc_u32 s15, s13, s15
	s_lshl_b64 s[12:13], s[6:7], 3
	s_delay_alu instid0(SALU_CYCLE_1) | instskip(NEXT) | instid1(VALU_DEP_1)
	s_add_u32 s12, s14, s12
	v_mad_u64_u32 v[6:7], null, v1, s25, v[5:6]
	s_addc_u32 s13, s15, s13
	s_delay_alu instid0(VALU_DEP_1) | instskip(NEXT) | instid1(VALU_DEP_1)
	v_dual_mov_b32 v5, v6 :: v_dual_add_nc_u32 v6, 0x2000, v2
	v_lshlrev_b64 v[4:5], 3, v[4:5]
	s_delay_alu instid0(VALU_DEP_1) | instskip(NEXT) | instid1(VALU_DEP_2)
	v_add_co_u32 v4, vcc_lo, s12, v4
	v_add_co_ci_u32_e32 v5, vcc_lo, s13, v5, vcc_lo
	s_delay_alu instid0(VALU_DEP_2) | instskip(NEXT) | instid1(VALU_DEP_2)
	v_add_co_u32 v4, vcc_lo, v4, v0
	v_add_co_ci_u32_e32 v5, vcc_lo, 0, v5, vcc_lo
	global_load_b64 v[4:5], v[4:5], off
	s_waitcnt vmcnt(0)
	ds_store_b64 v6, v[4:5]
.LBB167_5:
	s_or_b32 exec_lo, exec_lo, s3
	v_cmp_eq_u32_e32 vcc_lo, v1, v3
	s_cmpk_eq_i32 s5, 0x84
	s_cselect_b32 s3, -1, 0
	s_delay_alu instid0(SALU_CYCLE_1) | instskip(NEXT) | instid1(SALU_CYCLE_1)
	s_and_b32 s5, vcc_lo, s3
	s_and_saveexec_b32 s3, s5
	s_cbranch_execz .LBB167_7
; %bb.6:
	v_dual_mov_b32 v4, 0 :: v_dual_mov_b32 v5, 0x3ff00000
	ds_store_b64 v2, v[4:5]
.LBB167_7:
	s_or_b32 exec_lo, exec_lo, s3
	s_cmpk_lg_i32 s4, 0x79
	s_cbranch_scc0 .LBB167_9
; %bb.8:
	v_cmp_lt_u32_e32 vcc_lo, v3, v1
	s_and_b32 s3, vcc_lo, exec_lo
	s_cbranch_execz .LBB167_10
	s_branch .LBB167_11
.LBB167_9:
	s_mov_b32 s3, 0
.LBB167_10:
	v_cmp_gt_u32_e32 vcc_lo, v3, v1
	s_and_not1_b32 s3, s3, exec_lo
	s_and_b32 s4, vcc_lo, exec_lo
	s_delay_alu instid0(SALU_CYCLE_1)
	s_or_b32 s3, s3, s4
.LBB167_11:
	s_delay_alu instid0(SALU_CYCLE_1)
	s_and_saveexec_b32 s4, s3
	s_cbranch_execz .LBB167_13
; %bb.12:
	v_mov_b32_e32 v3, 0
	s_delay_alu instid0(VALU_DEP_1)
	v_mov_b32_e32 v4, v3
	ds_store_b64 v2, v[3:4]
.LBB167_13:
	s_or_b32 exec_lo, exec_lo, s4
	s_waitcnt lgkmcnt(0)
	s_barrier
	buffer_gl0_inv
	s_and_saveexec_b32 s3, s2
	s_cbranch_execz .LBB167_15
; %bb.14:
	v_add_nc_u32_e32 v12, 0x2000, v0
	v_lshlrev_b32_e32 v13, 3, v1
	s_load_b64 s[0:1], s[0:1], 0x60
	ds_load_2addr_b64 v[2:5], v12 offset1:32
	ds_load_2addr_b64 v[6:9], v13 offset1:32
	v_add_nc_u32_e32 v14, 0x800, v13
	s_waitcnt lgkmcnt(0)
	s_lshl_b64 s[0:1], s[0:1], 3
	s_delay_alu instid0(SALU_CYCLE_1) | instskip(SKIP_3) | instid1(SALU_CYCLE_1)
	s_add_u32 s2, s10, s0
	v_fma_f64 v[2:3], v[2:3], v[6:7], 0
	s_addc_u32 s3, s11, s1
	s_lshl_b64 s[0:1], s[6:7], 3
	s_add_u32 s0, s2, s0
	s_addc_u32 s1, s3, s1
	s_delay_alu instid0(VALU_DEP_1) | instskip(SKIP_4) | instid1(VALU_DEP_1)
	v_fma_f64 v[10:11], v[4:5], v[8:9], v[2:3]
	ds_load_2addr_b64 v[2:5], v12 offset0:64 offset1:96
	ds_load_2addr_b64 v[6:9], v13 offset0:64 offset1:96
	s_waitcnt lgkmcnt(0)
	v_fma_f64 v[2:3], v[2:3], v[6:7], v[10:11]
	v_fma_f64 v[10:11], v[4:5], v[8:9], v[2:3]
	ds_load_2addr_b64 v[2:5], v12 offset0:128 offset1:160
	ds_load_2addr_b64 v[6:9], v13 offset0:128 offset1:160
	s_waitcnt lgkmcnt(0)
	v_fma_f64 v[2:3], v[2:3], v[6:7], v[10:11]
	s_delay_alu instid0(VALU_DEP_1)
	v_fma_f64 v[10:11], v[4:5], v[8:9], v[2:3]
	ds_load_2addr_b64 v[2:5], v12 offset0:192 offset1:224
	ds_load_2addr_b64 v[6:9], v13 offset0:192 offset1:224
	v_add_nc_u32_e32 v12, 0x2800, v0
	s_waitcnt lgkmcnt(0)
	v_fma_f64 v[2:3], v[2:3], v[6:7], v[10:11]
	s_delay_alu instid0(VALU_DEP_1) | instskip(SKIP_4) | instid1(VALU_DEP_1)
	v_fma_f64 v[10:11], v[4:5], v[8:9], v[2:3]
	ds_load_2addr_b64 v[2:5], v12 offset1:32
	ds_load_2addr_b64 v[6:9], v14 offset1:32
	s_waitcnt lgkmcnt(0)
	v_fma_f64 v[2:3], v[2:3], v[6:7], v[10:11]
	v_fma_f64 v[10:11], v[4:5], v[8:9], v[2:3]
	ds_load_2addr_b64 v[2:5], v12 offset0:64 offset1:96
	ds_load_2addr_b64 v[6:9], v14 offset0:64 offset1:96
	s_waitcnt lgkmcnt(0)
	v_fma_f64 v[2:3], v[2:3], v[6:7], v[10:11]
	s_delay_alu instid0(VALU_DEP_1) | instskip(SKIP_4) | instid1(VALU_DEP_1)
	v_fma_f64 v[10:11], v[4:5], v[8:9], v[2:3]
	ds_load_2addr_b64 v[2:5], v12 offset0:128 offset1:160
	ds_load_2addr_b64 v[6:9], v14 offset0:128 offset1:160
	s_waitcnt lgkmcnt(0)
	v_fma_f64 v[2:3], v[2:3], v[6:7], v[10:11]
	v_fma_f64 v[10:11], v[4:5], v[8:9], v[2:3]
	ds_load_2addr_b64 v[2:5], v12 offset0:192 offset1:224
	ds_load_2addr_b64 v[6:9], v14 offset0:192 offset1:224
	v_add_nc_u32_e32 v12, 0x3000, v0
	v_add_nc_u32_e32 v14, 0x1000, v13
	;; [unrolled: 1-line block ×3, first 2 shown]
	s_waitcnt lgkmcnt(0)
	v_fma_f64 v[2:3], v[2:3], v[6:7], v[10:11]
	s_delay_alu instid0(VALU_DEP_1) | instskip(SKIP_4) | instid1(VALU_DEP_1)
	v_fma_f64 v[10:11], v[4:5], v[8:9], v[2:3]
	ds_load_2addr_b64 v[2:5], v12 offset1:32
	ds_load_2addr_b64 v[6:9], v14 offset1:32
	s_waitcnt lgkmcnt(0)
	v_fma_f64 v[2:3], v[2:3], v[6:7], v[10:11]
	v_fma_f64 v[10:11], v[4:5], v[8:9], v[2:3]
	ds_load_2addr_b64 v[2:5], v12 offset0:64 offset1:96
	ds_load_2addr_b64 v[6:9], v14 offset0:64 offset1:96
	s_waitcnt lgkmcnt(0)
	v_fma_f64 v[2:3], v[2:3], v[6:7], v[10:11]
	s_delay_alu instid0(VALU_DEP_1) | instskip(SKIP_4) | instid1(VALU_DEP_1)
	v_fma_f64 v[10:11], v[4:5], v[8:9], v[2:3]
	ds_load_2addr_b64 v[2:5], v12 offset0:128 offset1:160
	ds_load_2addr_b64 v[6:9], v14 offset0:128 offset1:160
	s_waitcnt lgkmcnt(0)
	v_fma_f64 v[2:3], v[2:3], v[6:7], v[10:11]
	v_fma_f64 v[10:11], v[4:5], v[8:9], v[2:3]
	ds_load_2addr_b64 v[2:5], v12 offset0:192 offset1:224
	ds_load_2addr_b64 v[6:9], v14 offset0:192 offset1:224
	v_add_nc_u32_e32 v12, 0x3800, v0
	s_waitcnt lgkmcnt(0)
	v_fma_f64 v[2:3], v[2:3], v[6:7], v[10:11]
	s_delay_alu instid0(VALU_DEP_1) | instskip(SKIP_4) | instid1(VALU_DEP_1)
	v_fma_f64 v[10:11], v[4:5], v[8:9], v[2:3]
	ds_load_2addr_b64 v[2:5], v12 offset1:32
	ds_load_2addr_b64 v[6:9], v13 offset1:32
	s_waitcnt lgkmcnt(0)
	v_fma_f64 v[2:3], v[2:3], v[6:7], v[10:11]
	v_fma_f64 v[10:11], v[4:5], v[8:9], v[2:3]
	ds_load_2addr_b64 v[2:5], v12 offset0:64 offset1:96
	ds_load_2addr_b64 v[6:9], v13 offset0:64 offset1:96
	s_waitcnt lgkmcnt(0)
	v_fma_f64 v[2:3], v[2:3], v[6:7], v[10:11]
	s_delay_alu instid0(VALU_DEP_1) | instskip(SKIP_4) | instid1(VALU_DEP_1)
	v_fma_f64 v[10:11], v[4:5], v[8:9], v[2:3]
	ds_load_2addr_b64 v[2:5], v12 offset0:128 offset1:160
	ds_load_2addr_b64 v[6:9], v13 offset0:128 offset1:160
	s_waitcnt lgkmcnt(0)
	v_fma_f64 v[2:3], v[2:3], v[6:7], v[10:11]
	v_fma_f64 v[10:11], v[4:5], v[8:9], v[2:3]
	ds_load_2addr_b64 v[2:5], v12 offset0:192 offset1:224
	ds_load_2addr_b64 v[6:9], v13 offset0:192 offset1:224
	s_waitcnt lgkmcnt(0)
	v_fma_f64 v[2:3], v[2:3], v[6:7], v[10:11]
	s_delay_alu instid0(VALU_DEP_1) | instskip(SKIP_1) | instid1(VALU_DEP_1)
	v_fma_f64 v[2:3], v[4:5], v[8:9], v[2:3]
	v_mad_u64_u32 v[4:5], null, v1, s30, 0
	v_mad_u64_u32 v[6:7], null, v1, s31, v[5:6]
	s_delay_alu instid0(VALU_DEP_1) | instskip(NEXT) | instid1(VALU_DEP_1)
	v_mov_b32_e32 v5, v6
	v_lshlrev_b64 v[4:5], 3, v[4:5]
	s_delay_alu instid0(VALU_DEP_1) | instskip(NEXT) | instid1(VALU_DEP_2)
	v_add_co_u32 v1, vcc_lo, s0, v4
	v_add_co_ci_u32_e32 v4, vcc_lo, s1, v5, vcc_lo
	s_delay_alu instid0(VALU_DEP_2) | instskip(NEXT) | instid1(VALU_DEP_2)
	v_add_co_u32 v0, vcc_lo, v1, v0
	v_add_co_ci_u32_e32 v1, vcc_lo, 0, v4, vcc_lo
	v_mul_f64 v[2:3], v[2:3], s[8:9]
	global_store_b64 v[0:1], v[2:3], off
.LBB167_15:
	s_nop 0
	s_sendmsg sendmsg(MSG_DEALLOC_VGPRS)
	s_endpgm
	.section	.rodata,"a",@progbits
	.p2align	6, 0x0
	.amdhsa_kernel _ZL23rocblas_trmm_rTx_kernelILi32ELb1EddKPKdKPdEv13rocblas_fill_17rocblas_diagonal_iiT2_lPT3_llS9_llPT4_lli
		.amdhsa_group_segment_fixed_size 16384
		.amdhsa_private_segment_fixed_size 0
		.amdhsa_kernarg_size 108
		.amdhsa_user_sgpr_count 14
		.amdhsa_user_sgpr_dispatch_ptr 0
		.amdhsa_user_sgpr_queue_ptr 0
		.amdhsa_user_sgpr_kernarg_segment_ptr 1
		.amdhsa_user_sgpr_dispatch_id 0
		.amdhsa_user_sgpr_private_segment_size 0
		.amdhsa_wavefront_size32 1
		.amdhsa_uses_dynamic_stack 0
		.amdhsa_enable_private_segment 0
		.amdhsa_system_sgpr_workgroup_id_x 1
		.amdhsa_system_sgpr_workgroup_id_y 0
		.amdhsa_system_sgpr_workgroup_id_z 1
		.amdhsa_system_sgpr_workgroup_info 0
		.amdhsa_system_vgpr_workitem_id 1
		.amdhsa_next_free_vgpr 15
		.amdhsa_next_free_sgpr 38
		.amdhsa_reserve_vcc 1
		.amdhsa_float_round_mode_32 0
		.amdhsa_float_round_mode_16_64 0
		.amdhsa_float_denorm_mode_32 3
		.amdhsa_float_denorm_mode_16_64 3
		.amdhsa_dx10_clamp 1
		.amdhsa_ieee_mode 1
		.amdhsa_fp16_overflow 0
		.amdhsa_workgroup_processor_mode 1
		.amdhsa_memory_ordered 1
		.amdhsa_forward_progress 0
		.amdhsa_shared_vgpr_count 0
		.amdhsa_exception_fp_ieee_invalid_op 0
		.amdhsa_exception_fp_denorm_src 0
		.amdhsa_exception_fp_ieee_div_zero 0
		.amdhsa_exception_fp_ieee_overflow 0
		.amdhsa_exception_fp_ieee_underflow 0
		.amdhsa_exception_fp_ieee_inexact 0
		.amdhsa_exception_int_div_zero 0
	.end_amdhsa_kernel
	.section	.text._ZL23rocblas_trmm_rTx_kernelILi32ELb1EddKPKdKPdEv13rocblas_fill_17rocblas_diagonal_iiT2_lPT3_llS9_llPT4_lli,"axG",@progbits,_ZL23rocblas_trmm_rTx_kernelILi32ELb1EddKPKdKPdEv13rocblas_fill_17rocblas_diagonal_iiT2_lPT3_llS9_llPT4_lli,comdat
.Lfunc_end167:
	.size	_ZL23rocblas_trmm_rTx_kernelILi32ELb1EddKPKdKPdEv13rocblas_fill_17rocblas_diagonal_iiT2_lPT3_llS9_llPT4_lli, .Lfunc_end167-_ZL23rocblas_trmm_rTx_kernelILi32ELb1EddKPKdKPdEv13rocblas_fill_17rocblas_diagonal_iiT2_lPT3_llS9_llPT4_lli
                                        ; -- End function
	.section	.AMDGPU.csdata,"",@progbits
; Kernel info:
; codeLenInByte = 1484
; NumSgprs: 40
; NumVgprs: 15
; ScratchSize: 0
; MemoryBound: 0
; FloatMode: 240
; IeeeMode: 1
; LDSByteSize: 16384 bytes/workgroup (compile time only)
; SGPRBlocks: 4
; VGPRBlocks: 1
; NumSGPRsForWavesPerEU: 40
; NumVGPRsForWavesPerEU: 15
; Occupancy: 16
; WaveLimiterHint : 1
; COMPUTE_PGM_RSRC2:SCRATCH_EN: 0
; COMPUTE_PGM_RSRC2:USER_SGPR: 14
; COMPUTE_PGM_RSRC2:TRAP_HANDLER: 0
; COMPUTE_PGM_RSRC2:TGID_X_EN: 1
; COMPUTE_PGM_RSRC2:TGID_Y_EN: 0
; COMPUTE_PGM_RSRC2:TGID_Z_EN: 1
; COMPUTE_PGM_RSRC2:TIDIG_COMP_CNT: 1
	.section	.text._ZL23rocblas_trmm_lNx_kernelILi16E19rocblas_complex_numIfEPKS1_KS3_KPS1_Ev13rocblas_fill_17rocblas_diagonal_iiT1_lPT2_llSB_llPT3_lli,"axG",@progbits,_ZL23rocblas_trmm_lNx_kernelILi16E19rocblas_complex_numIfEPKS1_KS3_KPS1_Ev13rocblas_fill_17rocblas_diagonal_iiT1_lPT2_llSB_llPT3_lli,comdat
	.globl	_ZL23rocblas_trmm_lNx_kernelILi16E19rocblas_complex_numIfEPKS1_KS3_KPS1_Ev13rocblas_fill_17rocblas_diagonal_iiT1_lPT2_llSB_llPT3_lli ; -- Begin function _ZL23rocblas_trmm_lNx_kernelILi16E19rocblas_complex_numIfEPKS1_KS3_KPS1_Ev13rocblas_fill_17rocblas_diagonal_iiT1_lPT2_llSB_llPT3_lli
	.p2align	8
	.type	_ZL23rocblas_trmm_lNx_kernelILi16E19rocblas_complex_numIfEPKS1_KS3_KPS1_Ev13rocblas_fill_17rocblas_diagonal_iiT1_lPT2_llSB_llPT3_lli,@function
_ZL23rocblas_trmm_lNx_kernelILi16E19rocblas_complex_numIfEPKS1_KS3_KPS1_Ev13rocblas_fill_17rocblas_diagonal_iiT1_lPT2_llSB_llPT3_lli: ; @_ZL23rocblas_trmm_lNx_kernelILi16E19rocblas_complex_numIfEPKS1_KS3_KPS1_Ev13rocblas_fill_17rocblas_diagonal_iiT1_lPT2_llSB_llPT3_lli
; %bb.0:
	s_load_b512 s[16:31], s[0:1], 0x10
	s_mov_b32 s35, 0
	s_waitcnt lgkmcnt(0)
	s_mul_i32 s3, s15, s19
	s_mul_hi_u32 s4, s15, s18
	s_mul_i32 s2, s15, s18
	s_add_i32 s3, s4, s3
	s_delay_alu instid0(SALU_CYCLE_1) | instskip(NEXT) | instid1(SALU_CYCLE_1)
	s_lshl_b64 s[2:3], s[2:3], 3
	s_add_u32 s2, s16, s2
	s_addc_u32 s3, s17, s3
	s_load_b64 s[12:13], s[2:3], 0x0
	s_waitcnt lgkmcnt(0)
	v_cmp_neq_f32_e64 s2, s12, 0
	v_cmp_neq_f32_e64 s3, s13, 0
	s_delay_alu instid0(VALU_DEP_1) | instskip(NEXT) | instid1(SALU_CYCLE_1)
	s_or_b32 s2, s2, s3
	s_and_not1_b32 vcc_lo, exec_lo, s2
	s_cbranch_vccnz .LBB168_15
; %bb.1:
	s_clause 0x1
	s_load_b128 s[4:7], s[0:1], 0x50
	s_load_b128 s[8:11], s[0:1], 0x0
	s_mov_b32 s34, s15
	v_bfe_u32 v1, v0, 10, 10
	s_lshl_b64 s[18:19], s[34:35], 3
	s_mov_b32 s34, s35
	s_add_u32 s2, s26, s18
	s_addc_u32 s3, s27, s19
	v_dual_mov_b32 v5, s34 :: v_dual_and_b32 v4, 0x3ff, v0
	v_lshlrev_b32_e32 v2, 4, v1
	v_mov_b32_e32 v6, s35
	s_delay_alu instid0(VALU_DEP_3) | instskip(NEXT) | instid1(VALU_DEP_3)
	v_lshlrev_b32_e32 v0, 3, v4
	v_add_lshl_u32 v3, v2, v4, 3
	s_waitcnt lgkmcnt(0)
	s_add_u32 s4, s4, s18
	s_addc_u32 s5, s5, s19
	s_load_b64 s[16:17], s[2:3], 0x0
	s_load_b64 s[4:5], s[4:5], 0x0
	v_cmp_gt_i32_e64 s2, s10, v1
	v_cmp_gt_i32_e32 vcc_lo, s10, v4
	ds_store_2addr_stride64_b64 v3, v[5:6], v[5:6] offset1:4
	s_and_b32 s2, s2, vcc_lo
	s_delay_alu instid0(SALU_CYCLE_1)
	s_and_saveexec_b32 s3, s2
	s_cbranch_execz .LBB168_3
; %bb.2:
	v_mad_u64_u32 v[5:6], null, v1, s22, 0
	s_add_u32 s18, s20, s18
	s_addc_u32 s19, s21, s19
	s_lshl_b64 s[20:21], s[24:25], 3
	s_load_b64 s[18:19], s[18:19], 0x0
	s_delay_alu instid0(VALU_DEP_1) | instskip(NEXT) | instid1(VALU_DEP_1)
	v_mad_u64_u32 v[7:8], null, v1, s23, v[6:7]
	v_mov_b32_e32 v6, v7
	s_delay_alu instid0(VALU_DEP_1) | instskip(SKIP_3) | instid1(VALU_DEP_1)
	v_lshlrev_b64 v[5:6], 3, v[5:6]
	s_waitcnt lgkmcnt(0)
	s_add_u32 s2, s18, s20
	s_addc_u32 s10, s19, s21
	v_add_co_u32 v5, s2, s2, v5
	s_delay_alu instid0(VALU_DEP_1) | instskip(NEXT) | instid1(VALU_DEP_2)
	v_add_co_ci_u32_e64 v6, s2, s10, v6, s2
	v_add_co_u32 v5, s2, v5, v0
	s_delay_alu instid0(VALU_DEP_1)
	v_add_co_ci_u32_e64 v6, s2, 0, v6, s2
	global_load_b64 v[5:6], v[5:6], off
	s_waitcnt vmcnt(0)
	ds_store_b64 v3, v[5:6]
.LBB168_3:
	s_or_b32 exec_lo, exec_lo, s3
	s_add_i32 s2, s11, -1
	s_delay_alu instid0(SALU_CYCLE_1) | instskip(NEXT) | instid1(SALU_CYCLE_1)
	s_ashr_i32 s3, s2, 31
	s_lshr_b32 s3, s3, 28
	s_delay_alu instid0(SALU_CYCLE_1) | instskip(NEXT) | instid1(SALU_CYCLE_1)
	s_add_i32 s2, s2, s3
	s_and_b32 s3, s2, -16
	s_ashr_i32 s2, s2, 4
	s_sub_i32 s3, s11, s3
	s_cmp_ge_i32 s14, s2
	s_cselect_b32 s2, s3, 16
	s_lshl_b32 s3, s14, 4
	v_cmp_gt_i32_e64 s2, s2, v1
	s_ashr_i32 s10, s3, 31
	s_delay_alu instid0(VALU_DEP_1) | instskip(NEXT) | instid1(SALU_CYCLE_1)
	s_and_b32 s2, vcc_lo, s2
	s_and_saveexec_b32 s11, s2
	s_cbranch_execz .LBB168_5
; %bb.4:
	v_mad_u64_u32 v[5:6], null, v1, s28, 0
	s_lshl_b64 s[14:15], s[30:31], 3
	s_mul_i32 s18, s3, s29
	s_mul_hi_u32 s19, s3, s28
	s_waitcnt lgkmcnt(0)
	s_add_u32 s16, s16, s14
	s_mul_i32 s20, s10, s28
	s_addc_u32 s17, s17, s15
	v_mad_u64_u32 v[7:8], null, v1, s29, v[6:7]
	s_add_i32 s15, s19, s18
	s_mul_i32 s14, s3, s28
	s_add_i32 s15, s15, s20
	s_delay_alu instid0(SALU_CYCLE_1) | instskip(NEXT) | instid1(SALU_CYCLE_1)
	s_lshl_b64 s[14:15], s[14:15], 3
	s_add_u32 s14, s16, s14
	s_delay_alu instid0(VALU_DEP_1) | instskip(SKIP_1) | instid1(VALU_DEP_1)
	v_dual_mov_b32 v6, v7 :: v_dual_add_nc_u32 v7, 0x800, v3
	s_addc_u32 s15, s17, s15
	v_lshlrev_b64 v[5:6], 3, v[5:6]
	s_delay_alu instid0(VALU_DEP_1) | instskip(NEXT) | instid1(VALU_DEP_2)
	v_add_co_u32 v5, vcc_lo, s14, v5
	v_add_co_ci_u32_e32 v6, vcc_lo, s15, v6, vcc_lo
	s_delay_alu instid0(VALU_DEP_2) | instskip(NEXT) | instid1(VALU_DEP_2)
	v_add_co_u32 v5, vcc_lo, v5, v0
	v_add_co_ci_u32_e32 v6, vcc_lo, 0, v6, vcc_lo
	global_load_b64 v[5:6], v[5:6], off
	s_waitcnt vmcnt(0)
	ds_store_b64 v7, v[5:6]
.LBB168_5:
	s_or_b32 exec_lo, exec_lo, s11
	v_cmp_eq_u32_e32 vcc_lo, v1, v4
	s_cmpk_eq_i32 s9, 0x84
	s_cselect_b32 s9, -1, 0
	s_delay_alu instid0(SALU_CYCLE_1) | instskip(NEXT) | instid1(SALU_CYCLE_1)
	s_and_b32 s11, vcc_lo, s9
	s_and_saveexec_b32 s9, s11
	s_cbranch_execz .LBB168_7
; %bb.6:
	v_dual_mov_b32 v5, 1.0 :: v_dual_mov_b32 v6, 0
	ds_store_b64 v3, v[5:6]
.LBB168_7:
	s_or_b32 exec_lo, exec_lo, s9
	s_cmpk_lg_i32 s8, 0x79
	s_cbranch_scc0 .LBB168_9
; %bb.8:
	v_cmp_lt_u32_e32 vcc_lo, v4, v1
	s_and_b32 s8, vcc_lo, exec_lo
	s_cbranch_execz .LBB168_10
	s_branch .LBB168_11
.LBB168_9:
	s_mov_b32 s8, 0
.LBB168_10:
	v_cmp_gt_u32_e32 vcc_lo, v4, v1
	s_and_not1_b32 s8, s8, exec_lo
	s_and_b32 s9, vcc_lo, exec_lo
	s_delay_alu instid0(SALU_CYCLE_1)
	s_or_b32 s8, s8, s9
.LBB168_11:
	s_delay_alu instid0(SALU_CYCLE_1)
	s_and_saveexec_b32 s9, s8
	s_cbranch_execz .LBB168_13
; %bb.12:
	v_mov_b32_e32 v4, 0
	s_delay_alu instid0(VALU_DEP_1)
	v_mov_b32_e32 v5, v4
	ds_store_b64 v3, v[4:5]
.LBB168_13:
	s_or_b32 exec_lo, exec_lo, s9
	s_waitcnt lgkmcnt(0)
	s_barrier
	buffer_gl0_inv
	s_and_saveexec_b32 s8, s2
	s_cbranch_execz .LBB168_15
; %bb.14:
	v_lshlrev_b32_e32 v62, 3, v2
	s_load_b64 s[0:1], s[0:1], 0x60
	s_mul_i32 s2, s3, s7
	s_mul_i32 s10, s10, s6
	ds_load_2addr_b64 v[2:5], v0 offset1:16
	ds_load_b128 v[6:9], v62 offset:2048
	ds_load_2addr_b64 v[10:13], v0 offset0:32 offset1:48
	ds_load_b128 v[14:17], v62 offset:2064
	ds_load_2addr_b64 v[18:21], v0 offset0:64 offset1:80
	;; [unrolled: 2-line block ×6, first 2 shown]
	ds_load_b128 v[54:57], v62 offset:2144
	s_waitcnt lgkmcnt(0)
	v_dual_mul_f32 v67, v8, v5 :: v_dual_mul_f32 v66, v6, v3
	v_dual_mul_f32 v69, v16, v13 :: v_dual_mul_f32 v68, v14, v11
	v_mul_f32_e32 v71, v24, v21
	s_delay_alu instid0(VALU_DEP_3) | instskip(SKIP_1) | instid1(VALU_DEP_4)
	v_dual_fmac_f32 v67, v9, v4 :: v_dual_fmac_f32 v66, v7, v2
	v_dual_mul_f32 v70, v22, v19 :: v_dual_mul_f32 v73, v32, v29
	v_fmac_f32_e32 v69, v17, v12
	s_delay_alu instid0(VALU_DEP_3) | instskip(SKIP_2) | instid1(VALU_DEP_3)
	v_dual_mul_f32 v3, v7, v3 :: v_dual_add_f32 v66, 0, v66
	v_dual_mul_f32 v78, v54, v51 :: v_dual_mul_f32 v5, v9, v5
	v_fmac_f32_e32 v68, v15, v10
	v_fma_f32 v2, v6, v2, -v3
	s_delay_alu instid0(VALU_DEP_4) | instskip(SKIP_3) | instid1(VALU_DEP_4)
	v_add_f32_e32 v9, v66, v67
	v_mul_f32_e32 v3, v15, v11
	v_fma_f32 v4, v8, v4, -v5
	v_mul_f32_e32 v6, v17, v13
	v_dual_add_f32 v2, 0, v2 :: v_dual_add_f32 v5, v9, v68
	v_fmac_f32_e32 v70, v23, v18
	v_fma_f32 v3, v14, v10, -v3
	v_dual_mul_f32 v72, v30, v27 :: v_dual_mul_f32 v75, v40, v37
	s_delay_alu instid0(VALU_DEP_4) | instskip(SKIP_1) | instid1(VALU_DEP_3)
	v_add_f32_e32 v2, v2, v4
	v_dual_mul_f32 v4, v23, v19 :: v_dual_add_f32 v5, v5, v69
	v_dual_fmac_f32 v71, v25, v20 :: v_dual_fmac_f32 v72, v31, v26
	v_fma_f32 v6, v16, v12, -v6
	s_delay_alu instid0(VALU_DEP_3) | instskip(SKIP_3) | instid1(VALU_DEP_4)
	v_dual_add_f32 v2, v2, v3 :: v_dual_add_f32 v5, v5, v70
	v_mul_f32_e32 v3, v25, v21
	v_fma_f32 v4, v22, v18, -v4
	v_dual_mul_f32 v74, v38, v35 :: v_dual_mul_f32 v77, v48, v45
	v_dual_add_f32 v2, v2, v6 :: v_dual_add_f32 v5, v5, v71
	v_dual_mul_f32 v6, v31, v27 :: v_dual_fmac_f32 v73, v33, v28
	v_fma_f32 v3, v24, v20, -v3
	s_delay_alu instid0(VALU_DEP_3) | instskip(NEXT) | instid1(VALU_DEP_4)
	v_add_f32_e32 v2, v2, v4
	v_dual_add_f32 v5, v5, v72 :: v_dual_fmac_f32 v74, v39, v34
	v_mul_f32_e32 v4, v33, v29
	v_fma_f32 v6, v30, v26, -v6
	s_delay_alu instid0(VALU_DEP_3) | instskip(SKIP_2) | instid1(VALU_DEP_3)
	v_dual_add_f32 v2, v2, v3 :: v_dual_add_f32 v5, v5, v73
	v_dual_mul_f32 v76, v46, v43 :: v_dual_mul_f32 v7, v56, v53
	v_mul_f32_e32 v3, v39, v35
	v_dual_fmac_f32 v75, v41, v36 :: v_dual_add_f32 v2, v2, v6
	v_fma_f32 v4, v32, v28, -v4
	v_add_f32_e32 v5, v5, v74
	ds_load_2addr_b64 v[58:61], v0 offset0:224 offset1:240
	ds_load_b128 v[62:65], v62 offset:2160
	v_mul_f32_e32 v6, v41, v37
	v_fma_f32 v3, v38, v34, -v3
	v_add_f32_e32 v2, v2, v4
	v_dual_fmac_f32 v76, v47, v42 :: v_dual_add_f32 v5, v5, v75
	v_dual_mul_f32 v4, v47, v43 :: v_dual_fmac_f32 v77, v49, v44
	v_fma_f32 v6, v40, v36, -v6
	s_delay_alu instid0(VALU_DEP_3) | instskip(SKIP_1) | instid1(VALU_DEP_4)
	v_dual_add_f32 v2, v2, v3 :: v_dual_add_f32 v5, v5, v76
	v_dual_mul_f32 v3, v49, v45 :: v_dual_fmac_f32 v78, v55, v50
	v_fma_f32 v4, v46, v42, -v4
	s_delay_alu instid0(VALU_DEP_3) | instskip(SKIP_1) | instid1(VALU_DEP_4)
	v_dual_add_f32 v2, v2, v6 :: v_dual_add_f32 v5, v5, v77
	v_fmac_f32_e32 v7, v57, v52
	v_fma_f32 v3, v48, v44, -v3
	v_mul_f32_e32 v8, v57, v53
	s_delay_alu instid0(VALU_DEP_4)
	v_dual_add_f32 v2, v2, v4 :: v_dual_add_f32 v5, v5, v78
	v_mul_f32_e32 v4, v55, v51
	s_waitcnt lgkmcnt(0)
	v_dual_mul_f32 v6, v62, v59 :: v_dual_mul_f32 v9, v64, v61
	s_lshl_b64 s[0:1], s[0:1], 3
	v_add_f32_e32 v5, v5, v7
	s_delay_alu instid0(VALU_DEP_2) | instskip(SKIP_4) | instid1(VALU_DEP_3)
	v_dual_add_f32 v7, v2, v3 :: v_dual_fmac_f32 v6, v63, v58
	v_fma_f32 v4, v54, v50, -v4
	v_mad_u64_u32 v[2:3], null, v1, s6, 0
	v_fmac_f32_e32 v9, v65, v60
	s_add_u32 s4, s4, s0
	v_add_f32_e32 v4, v7, v4
	v_fma_f32 v7, v56, v52, -v8
	v_mul_f32_e32 v8, v63, v59
	s_mul_hi_u32 s0, s3, s6
	s_addc_u32 s5, s5, s1
	s_add_i32 s0, s0, s2
	v_add_f32_e32 v7, v4, v7
	v_fma_f32 v8, v62, v58, -v8
	v_add_f32_e32 v6, v5, v6
	v_mad_u64_u32 v[4:5], null, v1, s7, v[3:4]
	s_add_i32 s1, s0, s10
	s_delay_alu instid0(VALU_DEP_2) | instskip(SKIP_2) | instid1(VALU_DEP_3)
	v_dual_add_f32 v1, v7, v8 :: v_dual_add_f32 v6, v6, v9
	v_mul_f32_e32 v10, v65, v61
	s_mul_i32 s0, s3, s6
	v_mov_b32_e32 v3, v4
	s_lshl_b64 s[0:1], s[0:1], 3
	s_delay_alu instid0(VALU_DEP_2) | instskip(SKIP_2) | instid1(VALU_DEP_1)
	v_fma_f32 v5, v64, v60, -v10
	s_add_u32 s0, s4, s0
	s_addc_u32 s1, s5, s1
	v_dual_mul_f32 v4, s12, v6 :: v_dual_add_f32 v5, v1, v5
	v_lshlrev_b64 v[1:2], 3, v[2:3]
	s_delay_alu instid0(VALU_DEP_2) | instskip(NEXT) | instid1(VALU_DEP_2)
	v_dual_mul_f32 v3, s13, v6 :: v_dual_fmac_f32 v4, s13, v5
	v_add_co_u32 v1, vcc_lo, s0, v1
	s_delay_alu instid0(VALU_DEP_3) | instskip(NEXT) | instid1(VALU_DEP_3)
	v_add_co_ci_u32_e32 v2, vcc_lo, s1, v2, vcc_lo
	v_fma_f32 v3, s12, v5, -v3
	s_delay_alu instid0(VALU_DEP_3) | instskip(NEXT) | instid1(VALU_DEP_3)
	v_add_co_u32 v0, vcc_lo, v1, v0
	v_add_co_ci_u32_e32 v1, vcc_lo, 0, v2, vcc_lo
	global_store_b64 v[0:1], v[3:4], off
.LBB168_15:
	s_nop 0
	s_sendmsg sendmsg(MSG_DEALLOC_VGPRS)
	s_endpgm
	.section	.rodata,"a",@progbits
	.p2align	6, 0x0
	.amdhsa_kernel _ZL23rocblas_trmm_lNx_kernelILi16E19rocblas_complex_numIfEPKS1_KS3_KPS1_Ev13rocblas_fill_17rocblas_diagonal_iiT1_lPT2_llSB_llPT3_lli
		.amdhsa_group_segment_fixed_size 4096
		.amdhsa_private_segment_fixed_size 0
		.amdhsa_kernarg_size 108
		.amdhsa_user_sgpr_count 14
		.amdhsa_user_sgpr_dispatch_ptr 0
		.amdhsa_user_sgpr_queue_ptr 0
		.amdhsa_user_sgpr_kernarg_segment_ptr 1
		.amdhsa_user_sgpr_dispatch_id 0
		.amdhsa_user_sgpr_private_segment_size 0
		.amdhsa_wavefront_size32 1
		.amdhsa_uses_dynamic_stack 0
		.amdhsa_enable_private_segment 0
		.amdhsa_system_sgpr_workgroup_id_x 1
		.amdhsa_system_sgpr_workgroup_id_y 0
		.amdhsa_system_sgpr_workgroup_id_z 1
		.amdhsa_system_sgpr_workgroup_info 0
		.amdhsa_system_vgpr_workitem_id 1
		.amdhsa_next_free_vgpr 79
		.amdhsa_next_free_sgpr 36
		.amdhsa_reserve_vcc 1
		.amdhsa_float_round_mode_32 0
		.amdhsa_float_round_mode_16_64 0
		.amdhsa_float_denorm_mode_32 3
		.amdhsa_float_denorm_mode_16_64 3
		.amdhsa_dx10_clamp 1
		.amdhsa_ieee_mode 1
		.amdhsa_fp16_overflow 0
		.amdhsa_workgroup_processor_mode 1
		.amdhsa_memory_ordered 1
		.amdhsa_forward_progress 0
		.amdhsa_shared_vgpr_count 0
		.amdhsa_exception_fp_ieee_invalid_op 0
		.amdhsa_exception_fp_denorm_src 0
		.amdhsa_exception_fp_ieee_div_zero 0
		.amdhsa_exception_fp_ieee_overflow 0
		.amdhsa_exception_fp_ieee_underflow 0
		.amdhsa_exception_fp_ieee_inexact 0
		.amdhsa_exception_int_div_zero 0
	.end_amdhsa_kernel
	.section	.text._ZL23rocblas_trmm_lNx_kernelILi16E19rocblas_complex_numIfEPKS1_KS3_KPS1_Ev13rocblas_fill_17rocblas_diagonal_iiT1_lPT2_llSB_llPT3_lli,"axG",@progbits,_ZL23rocblas_trmm_lNx_kernelILi16E19rocblas_complex_numIfEPKS1_KS3_KPS1_Ev13rocblas_fill_17rocblas_diagonal_iiT1_lPT2_llSB_llPT3_lli,comdat
.Lfunc_end168:
	.size	_ZL23rocblas_trmm_lNx_kernelILi16E19rocblas_complex_numIfEPKS1_KS3_KPS1_Ev13rocblas_fill_17rocblas_diagonal_iiT1_lPT2_llSB_llPT3_lli, .Lfunc_end168-_ZL23rocblas_trmm_lNx_kernelILi16E19rocblas_complex_numIfEPKS1_KS3_KPS1_Ev13rocblas_fill_17rocblas_diagonal_iiT1_lPT2_llSB_llPT3_lli
                                        ; -- End function
	.section	.AMDGPU.csdata,"",@progbits
; Kernel info:
; codeLenInByte = 1556
; NumSgprs: 38
; NumVgprs: 79
; ScratchSize: 0
; MemoryBound: 0
; FloatMode: 240
; IeeeMode: 1
; LDSByteSize: 4096 bytes/workgroup (compile time only)
; SGPRBlocks: 4
; VGPRBlocks: 9
; NumSGPRsForWavesPerEU: 38
; NumVGPRsForWavesPerEU: 79
; Occupancy: 16
; WaveLimiterHint : 1
; COMPUTE_PGM_RSRC2:SCRATCH_EN: 0
; COMPUTE_PGM_RSRC2:USER_SGPR: 14
; COMPUTE_PGM_RSRC2:TRAP_HANDLER: 0
; COMPUTE_PGM_RSRC2:TGID_X_EN: 1
; COMPUTE_PGM_RSRC2:TGID_Y_EN: 0
; COMPUTE_PGM_RSRC2:TGID_Z_EN: 1
; COMPUTE_PGM_RSRC2:TIDIG_COMP_CNT: 1
	.section	.text._ZL23rocblas_trmm_lNx_kernelILi16E19rocblas_complex_numIfES1_KPKS1_KPS1_Ev13rocblas_fill_17rocblas_diagonal_iiT1_lPT2_llSB_llPT3_lli,"axG",@progbits,_ZL23rocblas_trmm_lNx_kernelILi16E19rocblas_complex_numIfES1_KPKS1_KPS1_Ev13rocblas_fill_17rocblas_diagonal_iiT1_lPT2_llSB_llPT3_lli,comdat
	.globl	_ZL23rocblas_trmm_lNx_kernelILi16E19rocblas_complex_numIfES1_KPKS1_KPS1_Ev13rocblas_fill_17rocblas_diagonal_iiT1_lPT2_llSB_llPT3_lli ; -- Begin function _ZL23rocblas_trmm_lNx_kernelILi16E19rocblas_complex_numIfES1_KPKS1_KPS1_Ev13rocblas_fill_17rocblas_diagonal_iiT1_lPT2_llSB_llPT3_lli
	.p2align	8
	.type	_ZL23rocblas_trmm_lNx_kernelILi16E19rocblas_complex_numIfES1_KPKS1_KPS1_Ev13rocblas_fill_17rocblas_diagonal_iiT1_lPT2_llSB_llPT3_lli,@function
_ZL23rocblas_trmm_lNx_kernelILi16E19rocblas_complex_numIfES1_KPKS1_KPS1_Ev13rocblas_fill_17rocblas_diagonal_iiT1_lPT2_llSB_llPT3_lli: ; @_ZL23rocblas_trmm_lNx_kernelILi16E19rocblas_complex_numIfES1_KPKS1_KPS1_Ev13rocblas_fill_17rocblas_diagonal_iiT1_lPT2_llSB_llPT3_lli
; %bb.0:
	s_load_b64 s[8:9], s[0:1], 0x10
	s_mov_b32 s37, 0
	s_waitcnt lgkmcnt(0)
	v_cmp_neq_f32_e64 s2, s8, 0
	v_cmp_neq_f32_e64 s3, s9, 0
	s_delay_alu instid0(VALU_DEP_1) | instskip(NEXT) | instid1(SALU_CYCLE_1)
	s_or_b32 s2, s2, s3
	s_and_not1_b32 vcc_lo, exec_lo, s2
	s_cbranch_vccnz .LBB169_15
; %bb.1:
	s_clause 0x1
	s_load_b512 s[16:31], s[0:1], 0x20
	s_load_b128 s[4:7], s[0:1], 0x0
	s_mov_b32 s36, s15
	v_bfe_u32 v1, v0, 10, 10
	s_lshl_b64 s[34:35], s[36:37], 3
	s_mov_b32 s36, s37
	s_delay_alu instid0(SALU_CYCLE_1) | instskip(NEXT) | instid1(VALU_DEP_2)
	v_dual_mov_b32 v5, s36 :: v_dual_and_b32 v4, 0x3ff, v0
	v_lshlrev_b32_e32 v2, 4, v1
	v_mov_b32_e32 v6, s37
	s_delay_alu instid0(VALU_DEP_3) | instskip(NEXT) | instid1(VALU_DEP_3)
	v_lshlrev_b32_e32 v0, 3, v4
	v_add_lshl_u32 v3, v2, v4, 3
	s_waitcnt lgkmcnt(0)
	s_add_u32 s2, s22, s34
	s_addc_u32 s3, s23, s35
	s_add_u32 s10, s28, s34
	s_addc_u32 s11, s29, s35
	s_load_b64 s[12:13], s[2:3], 0x0
	s_load_b64 s[10:11], s[10:11], 0x0
	v_cmp_gt_i32_e64 s2, s6, v1
	v_cmp_gt_i32_e32 vcc_lo, s6, v4
	ds_store_2addr_stride64_b64 v3, v[5:6], v[5:6] offset1:4
	s_and_b32 s2, s2, vcc_lo
	s_delay_alu instid0(SALU_CYCLE_1)
	s_and_saveexec_b32 s3, s2
	s_cbranch_execz .LBB169_3
; %bb.2:
	v_mad_u64_u32 v[5:6], null, v1, s18, 0
	s_add_u32 s16, s16, s34
	s_addc_u32 s17, s17, s35
	s_load_b64 s[16:17], s[16:17], 0x0
	s_delay_alu instid0(VALU_DEP_1) | instskip(SKIP_1) | instid1(VALU_DEP_1)
	v_mad_u64_u32 v[7:8], null, v1, s19, v[6:7]
	s_lshl_b64 s[18:19], s[20:21], 3
	v_mov_b32_e32 v6, v7
	s_delay_alu instid0(VALU_DEP_1) | instskip(SKIP_3) | instid1(VALU_DEP_1)
	v_lshlrev_b64 v[5:6], 3, v[5:6]
	s_waitcnt lgkmcnt(0)
	s_add_u32 s2, s16, s18
	s_addc_u32 s6, s17, s19
	v_add_co_u32 v5, s2, s2, v5
	s_delay_alu instid0(VALU_DEP_1) | instskip(NEXT) | instid1(VALU_DEP_2)
	v_add_co_ci_u32_e64 v6, s2, s6, v6, s2
	v_add_co_u32 v5, s2, v5, v0
	s_delay_alu instid0(VALU_DEP_1)
	v_add_co_ci_u32_e64 v6, s2, 0, v6, s2
	global_load_b64 v[5:6], v[5:6], off
	s_waitcnt vmcnt(0)
	ds_store_b64 v3, v[5:6]
.LBB169_3:
	s_or_b32 exec_lo, exec_lo, s3
	s_add_i32 s2, s7, -1
	s_delay_alu instid0(SALU_CYCLE_1) | instskip(NEXT) | instid1(SALU_CYCLE_1)
	s_ashr_i32 s3, s2, 31
	s_lshr_b32 s3, s3, 28
	s_delay_alu instid0(SALU_CYCLE_1) | instskip(NEXT) | instid1(SALU_CYCLE_1)
	s_add_i32 s2, s2, s3
	s_and_b32 s3, s2, -16
	s_ashr_i32 s2, s2, 4
	s_sub_i32 s3, s7, s3
	s_cmp_ge_i32 s14, s2
	s_cselect_b32 s2, s3, 16
	s_lshl_b32 s3, s14, 4
	v_cmp_gt_i32_e64 s2, s2, v1
	s_ashr_i32 s6, s3, 31
	s_delay_alu instid0(VALU_DEP_1) | instskip(NEXT) | instid1(SALU_CYCLE_1)
	s_and_b32 s2, vcc_lo, s2
	s_and_saveexec_b32 s7, s2
	s_cbranch_execz .LBB169_5
; %bb.4:
	v_mad_u64_u32 v[5:6], null, v1, s24, 0
	s_lshl_b64 s[14:15], s[26:27], 3
	s_mul_i32 s16, s3, s25
	s_mul_hi_u32 s17, s3, s24
	s_waitcnt lgkmcnt(0)
	s_add_u32 s14, s12, s14
	s_mul_i32 s18, s6, s24
	s_addc_u32 s15, s13, s15
	v_mad_u64_u32 v[7:8], null, v1, s25, v[6:7]
	s_add_i32 s13, s17, s16
	s_mul_i32 s12, s3, s24
	s_add_i32 s13, s13, s18
	s_delay_alu instid0(SALU_CYCLE_1) | instskip(NEXT) | instid1(SALU_CYCLE_1)
	s_lshl_b64 s[12:13], s[12:13], 3
	s_add_u32 s12, s14, s12
	s_delay_alu instid0(VALU_DEP_1) | instskip(SKIP_1) | instid1(VALU_DEP_1)
	v_dual_mov_b32 v6, v7 :: v_dual_add_nc_u32 v7, 0x800, v3
	s_addc_u32 s13, s15, s13
	v_lshlrev_b64 v[5:6], 3, v[5:6]
	s_delay_alu instid0(VALU_DEP_1) | instskip(NEXT) | instid1(VALU_DEP_2)
	v_add_co_u32 v5, vcc_lo, s12, v5
	v_add_co_ci_u32_e32 v6, vcc_lo, s13, v6, vcc_lo
	s_delay_alu instid0(VALU_DEP_2) | instskip(NEXT) | instid1(VALU_DEP_2)
	v_add_co_u32 v5, vcc_lo, v5, v0
	v_add_co_ci_u32_e32 v6, vcc_lo, 0, v6, vcc_lo
	global_load_b64 v[5:6], v[5:6], off
	s_waitcnt vmcnt(0)
	ds_store_b64 v7, v[5:6]
.LBB169_5:
	s_or_b32 exec_lo, exec_lo, s7
	v_cmp_eq_u32_e32 vcc_lo, v1, v4
	s_cmpk_eq_i32 s5, 0x84
	s_cselect_b32 s5, -1, 0
	s_delay_alu instid0(SALU_CYCLE_1) | instskip(NEXT) | instid1(SALU_CYCLE_1)
	s_and_b32 s7, vcc_lo, s5
	s_and_saveexec_b32 s5, s7
	s_cbranch_execz .LBB169_7
; %bb.6:
	v_dual_mov_b32 v5, 1.0 :: v_dual_mov_b32 v6, 0
	ds_store_b64 v3, v[5:6]
.LBB169_7:
	s_or_b32 exec_lo, exec_lo, s5
	s_cmpk_lg_i32 s4, 0x79
	s_cbranch_scc0 .LBB169_9
; %bb.8:
	v_cmp_lt_u32_e32 vcc_lo, v4, v1
	s_and_b32 s4, vcc_lo, exec_lo
	s_cbranch_execz .LBB169_10
	s_branch .LBB169_11
.LBB169_9:
	s_mov_b32 s4, 0
.LBB169_10:
	v_cmp_gt_u32_e32 vcc_lo, v4, v1
	s_and_not1_b32 s4, s4, exec_lo
	s_and_b32 s5, vcc_lo, exec_lo
	s_delay_alu instid0(SALU_CYCLE_1)
	s_or_b32 s4, s4, s5
.LBB169_11:
	s_delay_alu instid0(SALU_CYCLE_1)
	s_and_saveexec_b32 s5, s4
	s_cbranch_execz .LBB169_13
; %bb.12:
	v_mov_b32_e32 v4, 0
	s_delay_alu instid0(VALU_DEP_1)
	v_mov_b32_e32 v5, v4
	ds_store_b64 v3, v[4:5]
.LBB169_13:
	s_or_b32 exec_lo, exec_lo, s5
	s_waitcnt lgkmcnt(0)
	s_barrier
	buffer_gl0_inv
	s_and_saveexec_b32 s4, s2
	s_cbranch_execz .LBB169_15
; %bb.14:
	v_lshlrev_b32_e32 v62, 3, v2
	s_load_b64 s[0:1], s[0:1], 0x60
	s_mul_i32 s2, s3, s31
	s_mul_i32 s6, s6, s30
	ds_load_2addr_b64 v[2:5], v0 offset1:16
	ds_load_b128 v[6:9], v62 offset:2048
	ds_load_2addr_b64 v[10:13], v0 offset0:32 offset1:48
	ds_load_b128 v[14:17], v62 offset:2064
	ds_load_2addr_b64 v[18:21], v0 offset0:64 offset1:80
	;; [unrolled: 2-line block ×6, first 2 shown]
	ds_load_b128 v[54:57], v62 offset:2144
	s_waitcnt lgkmcnt(0)
	v_dual_mul_f32 v67, v8, v5 :: v_dual_mul_f32 v66, v6, v3
	v_dual_mul_f32 v69, v16, v13 :: v_dual_mul_f32 v68, v14, v11
	v_mul_f32_e32 v71, v24, v21
	s_delay_alu instid0(VALU_DEP_3) | instskip(SKIP_1) | instid1(VALU_DEP_4)
	v_dual_fmac_f32 v67, v9, v4 :: v_dual_fmac_f32 v66, v7, v2
	v_dual_mul_f32 v70, v22, v19 :: v_dual_mul_f32 v73, v32, v29
	v_fmac_f32_e32 v69, v17, v12
	s_delay_alu instid0(VALU_DEP_3) | instskip(SKIP_2) | instid1(VALU_DEP_3)
	v_dual_mul_f32 v3, v7, v3 :: v_dual_add_f32 v66, 0, v66
	v_dual_mul_f32 v78, v54, v51 :: v_dual_mul_f32 v5, v9, v5
	v_fmac_f32_e32 v68, v15, v10
	v_fma_f32 v2, v6, v2, -v3
	s_delay_alu instid0(VALU_DEP_4) | instskip(SKIP_3) | instid1(VALU_DEP_4)
	v_add_f32_e32 v9, v66, v67
	v_mul_f32_e32 v3, v15, v11
	v_fma_f32 v4, v8, v4, -v5
	v_mul_f32_e32 v6, v17, v13
	v_dual_add_f32 v2, 0, v2 :: v_dual_add_f32 v5, v9, v68
	v_fmac_f32_e32 v70, v23, v18
	v_fma_f32 v3, v14, v10, -v3
	v_dual_mul_f32 v72, v30, v27 :: v_dual_mul_f32 v75, v40, v37
	s_delay_alu instid0(VALU_DEP_4) | instskip(SKIP_1) | instid1(VALU_DEP_3)
	v_add_f32_e32 v2, v2, v4
	v_dual_mul_f32 v4, v23, v19 :: v_dual_add_f32 v5, v5, v69
	v_dual_fmac_f32 v71, v25, v20 :: v_dual_fmac_f32 v72, v31, v26
	v_fma_f32 v6, v16, v12, -v6
	s_delay_alu instid0(VALU_DEP_3) | instskip(SKIP_3) | instid1(VALU_DEP_4)
	v_dual_add_f32 v2, v2, v3 :: v_dual_add_f32 v5, v5, v70
	v_mul_f32_e32 v3, v25, v21
	v_fma_f32 v4, v22, v18, -v4
	v_dual_mul_f32 v74, v38, v35 :: v_dual_mul_f32 v77, v48, v45
	v_dual_add_f32 v2, v2, v6 :: v_dual_add_f32 v5, v5, v71
	v_dual_mul_f32 v6, v31, v27 :: v_dual_fmac_f32 v73, v33, v28
	v_fma_f32 v3, v24, v20, -v3
	s_delay_alu instid0(VALU_DEP_3) | instskip(NEXT) | instid1(VALU_DEP_4)
	v_add_f32_e32 v2, v2, v4
	v_dual_add_f32 v5, v5, v72 :: v_dual_fmac_f32 v74, v39, v34
	v_mul_f32_e32 v4, v33, v29
	v_fma_f32 v6, v30, v26, -v6
	s_delay_alu instid0(VALU_DEP_3) | instskip(SKIP_2) | instid1(VALU_DEP_3)
	v_dual_add_f32 v2, v2, v3 :: v_dual_add_f32 v5, v5, v73
	v_dual_mul_f32 v76, v46, v43 :: v_dual_mul_f32 v7, v56, v53
	v_mul_f32_e32 v3, v39, v35
	v_dual_fmac_f32 v75, v41, v36 :: v_dual_add_f32 v2, v2, v6
	v_fma_f32 v4, v32, v28, -v4
	v_add_f32_e32 v5, v5, v74
	ds_load_2addr_b64 v[58:61], v0 offset0:224 offset1:240
	ds_load_b128 v[62:65], v62 offset:2160
	v_mul_f32_e32 v6, v41, v37
	v_fma_f32 v3, v38, v34, -v3
	v_add_f32_e32 v2, v2, v4
	v_dual_fmac_f32 v76, v47, v42 :: v_dual_add_f32 v5, v5, v75
	v_dual_mul_f32 v4, v47, v43 :: v_dual_fmac_f32 v77, v49, v44
	v_fma_f32 v6, v40, v36, -v6
	s_delay_alu instid0(VALU_DEP_3) | instskip(SKIP_1) | instid1(VALU_DEP_4)
	v_dual_add_f32 v2, v2, v3 :: v_dual_add_f32 v5, v5, v76
	v_dual_mul_f32 v3, v49, v45 :: v_dual_fmac_f32 v78, v55, v50
	v_fma_f32 v4, v46, v42, -v4
	s_delay_alu instid0(VALU_DEP_3) | instskip(SKIP_1) | instid1(VALU_DEP_4)
	v_dual_add_f32 v2, v2, v6 :: v_dual_add_f32 v5, v5, v77
	v_fmac_f32_e32 v7, v57, v52
	v_fma_f32 v3, v48, v44, -v3
	v_mul_f32_e32 v8, v57, v53
	s_delay_alu instid0(VALU_DEP_4)
	v_dual_add_f32 v2, v2, v4 :: v_dual_add_f32 v5, v5, v78
	v_mul_f32_e32 v4, v55, v51
	s_waitcnt lgkmcnt(0)
	v_dual_mul_f32 v6, v62, v59 :: v_dual_mul_f32 v9, v64, v61
	s_lshl_b64 s[0:1], s[0:1], 3
	v_add_f32_e32 v5, v5, v7
	s_delay_alu instid0(VALU_DEP_2) | instskip(SKIP_4) | instid1(VALU_DEP_3)
	v_dual_add_f32 v7, v2, v3 :: v_dual_fmac_f32 v6, v63, v58
	v_fma_f32 v4, v54, v50, -v4
	v_mad_u64_u32 v[2:3], null, v1, s30, 0
	v_fmac_f32_e32 v9, v65, v60
	s_add_u32 s4, s10, s0
	v_add_f32_e32 v4, v7, v4
	v_fma_f32 v7, v56, v52, -v8
	v_mul_f32_e32 v8, v63, v59
	s_mul_hi_u32 s0, s3, s30
	s_addc_u32 s5, s11, s1
	s_add_i32 s0, s0, s2
	v_add_f32_e32 v7, v4, v7
	v_fma_f32 v8, v62, v58, -v8
	v_add_f32_e32 v6, v5, v6
	v_mad_u64_u32 v[4:5], null, v1, s31, v[3:4]
	s_add_i32 s1, s0, s6
	s_delay_alu instid0(VALU_DEP_2) | instskip(SKIP_2) | instid1(VALU_DEP_3)
	v_dual_add_f32 v1, v7, v8 :: v_dual_add_f32 v6, v6, v9
	v_mul_f32_e32 v10, v65, v61
	s_mul_i32 s0, s3, s30
	v_mov_b32_e32 v3, v4
	s_lshl_b64 s[0:1], s[0:1], 3
	s_delay_alu instid0(VALU_DEP_2) | instskip(SKIP_2) | instid1(VALU_DEP_1)
	v_fma_f32 v5, v64, v60, -v10
	s_add_u32 s0, s4, s0
	s_addc_u32 s1, s5, s1
	v_dual_mul_f32 v4, s8, v6 :: v_dual_add_f32 v5, v1, v5
	v_lshlrev_b64 v[1:2], 3, v[2:3]
	s_delay_alu instid0(VALU_DEP_2) | instskip(NEXT) | instid1(VALU_DEP_2)
	v_dual_mul_f32 v3, s9, v6 :: v_dual_fmac_f32 v4, s9, v5
	v_add_co_u32 v1, vcc_lo, s0, v1
	s_delay_alu instid0(VALU_DEP_3) | instskip(NEXT) | instid1(VALU_DEP_3)
	v_add_co_ci_u32_e32 v2, vcc_lo, s1, v2, vcc_lo
	v_fma_f32 v3, s8, v5, -v3
	s_delay_alu instid0(VALU_DEP_3) | instskip(NEXT) | instid1(VALU_DEP_3)
	v_add_co_u32 v0, vcc_lo, v1, v0
	v_add_co_ci_u32_e32 v1, vcc_lo, 0, v2, vcc_lo
	global_store_b64 v[0:1], v[3:4], off
.LBB169_15:
	s_nop 0
	s_sendmsg sendmsg(MSG_DEALLOC_VGPRS)
	s_endpgm
	.section	.rodata,"a",@progbits
	.p2align	6, 0x0
	.amdhsa_kernel _ZL23rocblas_trmm_lNx_kernelILi16E19rocblas_complex_numIfES1_KPKS1_KPS1_Ev13rocblas_fill_17rocblas_diagonal_iiT1_lPT2_llSB_llPT3_lli
		.amdhsa_group_segment_fixed_size 4096
		.amdhsa_private_segment_fixed_size 0
		.amdhsa_kernarg_size 108
		.amdhsa_user_sgpr_count 14
		.amdhsa_user_sgpr_dispatch_ptr 0
		.amdhsa_user_sgpr_queue_ptr 0
		.amdhsa_user_sgpr_kernarg_segment_ptr 1
		.amdhsa_user_sgpr_dispatch_id 0
		.amdhsa_user_sgpr_private_segment_size 0
		.amdhsa_wavefront_size32 1
		.amdhsa_uses_dynamic_stack 0
		.amdhsa_enable_private_segment 0
		.amdhsa_system_sgpr_workgroup_id_x 1
		.amdhsa_system_sgpr_workgroup_id_y 0
		.amdhsa_system_sgpr_workgroup_id_z 1
		.amdhsa_system_sgpr_workgroup_info 0
		.amdhsa_system_vgpr_workitem_id 1
		.amdhsa_next_free_vgpr 79
		.amdhsa_next_free_sgpr 38
		.amdhsa_reserve_vcc 1
		.amdhsa_float_round_mode_32 0
		.amdhsa_float_round_mode_16_64 0
		.amdhsa_float_denorm_mode_32 3
		.amdhsa_float_denorm_mode_16_64 3
		.amdhsa_dx10_clamp 1
		.amdhsa_ieee_mode 1
		.amdhsa_fp16_overflow 0
		.amdhsa_workgroup_processor_mode 1
		.amdhsa_memory_ordered 1
		.amdhsa_forward_progress 0
		.amdhsa_shared_vgpr_count 0
		.amdhsa_exception_fp_ieee_invalid_op 0
		.amdhsa_exception_fp_denorm_src 0
		.amdhsa_exception_fp_ieee_div_zero 0
		.amdhsa_exception_fp_ieee_overflow 0
		.amdhsa_exception_fp_ieee_underflow 0
		.amdhsa_exception_fp_ieee_inexact 0
		.amdhsa_exception_int_div_zero 0
	.end_amdhsa_kernel
	.section	.text._ZL23rocblas_trmm_lNx_kernelILi16E19rocblas_complex_numIfES1_KPKS1_KPS1_Ev13rocblas_fill_17rocblas_diagonal_iiT1_lPT2_llSB_llPT3_lli,"axG",@progbits,_ZL23rocblas_trmm_lNx_kernelILi16E19rocblas_complex_numIfES1_KPKS1_KPS1_Ev13rocblas_fill_17rocblas_diagonal_iiT1_lPT2_llSB_llPT3_lli,comdat
.Lfunc_end169:
	.size	_ZL23rocblas_trmm_lNx_kernelILi16E19rocblas_complex_numIfES1_KPKS1_KPS1_Ev13rocblas_fill_17rocblas_diagonal_iiT1_lPT2_llSB_llPT3_lli, .Lfunc_end169-_ZL23rocblas_trmm_lNx_kernelILi16E19rocblas_complex_numIfES1_KPKS1_KPS1_Ev13rocblas_fill_17rocblas_diagonal_iiT1_lPT2_llSB_llPT3_lli
                                        ; -- End function
	.section	.AMDGPU.csdata,"",@progbits
; Kernel info:
; codeLenInByte = 1516
; NumSgprs: 40
; NumVgprs: 79
; ScratchSize: 0
; MemoryBound: 0
; FloatMode: 240
; IeeeMode: 1
; LDSByteSize: 4096 bytes/workgroup (compile time only)
; SGPRBlocks: 4
; VGPRBlocks: 9
; NumSGPRsForWavesPerEU: 40
; NumVGPRsForWavesPerEU: 79
; Occupancy: 16
; WaveLimiterHint : 1
; COMPUTE_PGM_RSRC2:SCRATCH_EN: 0
; COMPUTE_PGM_RSRC2:USER_SGPR: 14
; COMPUTE_PGM_RSRC2:TRAP_HANDLER: 0
; COMPUTE_PGM_RSRC2:TGID_X_EN: 1
; COMPUTE_PGM_RSRC2:TGID_Y_EN: 0
; COMPUTE_PGM_RSRC2:TGID_Z_EN: 1
; COMPUTE_PGM_RSRC2:TIDIG_COMP_CNT: 1
	.section	.text._ZL23rocblas_trmm_lTx_kernelILi16ELb0E19rocblas_complex_numIfEPKS1_KS3_KPS1_Ev13rocblas_fill_17rocblas_diagonal_iiT2_lPT3_llSB_llPT4_lli,"axG",@progbits,_ZL23rocblas_trmm_lTx_kernelILi16ELb0E19rocblas_complex_numIfEPKS1_KS3_KPS1_Ev13rocblas_fill_17rocblas_diagonal_iiT2_lPT3_llSB_llPT4_lli,comdat
	.globl	_ZL23rocblas_trmm_lTx_kernelILi16ELb0E19rocblas_complex_numIfEPKS1_KS3_KPS1_Ev13rocblas_fill_17rocblas_diagonal_iiT2_lPT3_llSB_llPT4_lli ; -- Begin function _ZL23rocblas_trmm_lTx_kernelILi16ELb0E19rocblas_complex_numIfEPKS1_KS3_KPS1_Ev13rocblas_fill_17rocblas_diagonal_iiT2_lPT3_llSB_llPT4_lli
	.p2align	8
	.type	_ZL23rocblas_trmm_lTx_kernelILi16ELb0E19rocblas_complex_numIfEPKS1_KS3_KPS1_Ev13rocblas_fill_17rocblas_diagonal_iiT2_lPT3_llSB_llPT4_lli,@function
_ZL23rocblas_trmm_lTx_kernelILi16ELb0E19rocblas_complex_numIfEPKS1_KS3_KPS1_Ev13rocblas_fill_17rocblas_diagonal_iiT2_lPT3_llSB_llPT4_lli: ; @_ZL23rocblas_trmm_lTx_kernelILi16ELb0E19rocblas_complex_numIfEPKS1_KS3_KPS1_Ev13rocblas_fill_17rocblas_diagonal_iiT2_lPT3_llSB_llPT4_lli
; %bb.0:
	s_load_b512 s[16:31], s[0:1], 0x10
	s_waitcnt lgkmcnt(0)
	s_mul_i32 s3, s15, s19
	s_mul_hi_u32 s5, s15, s18
	s_mul_i32 s4, s15, s18
	s_add_i32 s5, s5, s3
	s_delay_alu instid0(SALU_CYCLE_1) | instskip(NEXT) | instid1(SALU_CYCLE_1)
	s_lshl_b64 s[4:5], s[4:5], 3
	s_add_u32 s4, s16, s4
	s_addc_u32 s5, s17, s5
	s_load_b64 s[12:13], s[4:5], 0x0
	s_waitcnt lgkmcnt(0)
	v_cmp_neq_f32_e64 s3, s12, 0
	v_cmp_neq_f32_e64 s4, s13, 0
	s_delay_alu instid0(VALU_DEP_1) | instskip(NEXT) | instid1(SALU_CYCLE_1)
	s_or_b32 s3, s3, s4
	s_and_not1_b32 vcc_lo, exec_lo, s3
	s_mov_b32 s3, 0
	s_cbranch_vccnz .LBB170_15
; %bb.1:
	s_clause 0x1
	s_load_b128 s[4:7], s[0:1], 0x50
	s_load_b128 s[8:11], s[0:1], 0x0
	s_mov_b32 s2, s15
	v_bfe_u32 v1, v0, 10, 10
	s_lshl_b64 s[16:17], s[2:3], 3
	s_mov_b32 s2, s3
	s_add_u32 s18, s20, s16
	s_addc_u32 s19, s21, s17
	s_add_u32 s20, s26, s16
	s_addc_u32 s21, s27, s17
	s_load_b64 s[18:19], s[18:19], 0x0
	v_and_b32_e32 v4, 0x3ff, v0
	v_lshlrev_b32_e32 v2, 4, v1
	v_dual_mov_b32 v6, s3 :: v_dual_mov_b32 v5, s2
	s_delay_alu instid0(VALU_DEP_3) | instskip(NEXT) | instid1(VALU_DEP_3)
	v_lshlrev_b32_e32 v0, 3, v4
	v_add_lshl_u32 v3, v2, v4, 3
	s_waitcnt lgkmcnt(0)
	s_add_u32 s4, s4, s16
	s_addc_u32 s5, s5, s17
	s_load_b64 s[16:17], s[20:21], 0x0
	s_load_b64 s[4:5], s[4:5], 0x0
	v_cmp_gt_i32_e64 s2, s10, v1
	v_cmp_gt_i32_e32 vcc_lo, s10, v4
	ds_store_2addr_stride64_b64 v3, v[5:6], v[5:6] offset1:4
	s_waitcnt lgkmcnt(0)
	s_barrier
	buffer_gl0_inv
	s_and_b32 s2, s2, vcc_lo
	s_delay_alu instid0(SALU_CYCLE_1)
	s_and_saveexec_b32 s3, s2
	s_cbranch_execz .LBB170_3
; %bb.2:
	v_mad_u64_u32 v[5:6], null, v1, s22, 0
	s_lshl_b64 s[20:21], s[24:25], 3
	s_delay_alu instid0(SALU_CYCLE_1) | instskip(SKIP_1) | instid1(VALU_DEP_1)
	s_add_u32 s2, s18, s20
	s_addc_u32 s10, s19, s21
	v_mad_u64_u32 v[7:8], null, v1, s23, v[6:7]
	s_delay_alu instid0(VALU_DEP_1) | instskip(NEXT) | instid1(VALU_DEP_1)
	v_dual_mov_b32 v6, v7 :: v_dual_lshlrev_b32 v7, 4, v4
	v_lshlrev_b64 v[5:6], 3, v[5:6]
	s_delay_alu instid0(VALU_DEP_2) | instskip(NEXT) | instid1(VALU_DEP_2)
	v_add_lshl_u32 v7, v7, v1, 3
	v_add_co_u32 v5, s2, s2, v5
	s_delay_alu instid0(VALU_DEP_1) | instskip(NEXT) | instid1(VALU_DEP_2)
	v_add_co_ci_u32_e64 v6, s2, s10, v6, s2
	v_add_co_u32 v5, s2, v5, v0
	s_delay_alu instid0(VALU_DEP_1)
	v_add_co_ci_u32_e64 v6, s2, 0, v6, s2
	global_load_b64 v[5:6], v[5:6], off
	s_waitcnt vmcnt(0)
	ds_store_b64 v7, v[5:6]
.LBB170_3:
	s_or_b32 exec_lo, exec_lo, s3
	s_add_i32 s2, s11, -1
	s_delay_alu instid0(SALU_CYCLE_1) | instskip(NEXT) | instid1(SALU_CYCLE_1)
	s_ashr_i32 s3, s2, 31
	s_lshr_b32 s3, s3, 28
	s_delay_alu instid0(SALU_CYCLE_1) | instskip(NEXT) | instid1(SALU_CYCLE_1)
	s_add_i32 s2, s2, s3
	s_and_b32 s3, s2, -16
	s_ashr_i32 s2, s2, 4
	s_sub_i32 s3, s11, s3
	s_cmp_ge_i32 s14, s2
	s_cselect_b32 s2, s3, 16
	s_lshl_b32 s3, s14, 4
	v_cmp_gt_i32_e64 s2, s2, v1
	s_ashr_i32 s10, s3, 31
	s_delay_alu instid0(VALU_DEP_1) | instskip(NEXT) | instid1(SALU_CYCLE_1)
	s_and_b32 s2, vcc_lo, s2
	s_and_saveexec_b32 s11, s2
	s_cbranch_execz .LBB170_5
; %bb.4:
	v_mad_u64_u32 v[5:6], null, v1, s28, 0
	s_lshl_b64 s[14:15], s[30:31], 3
	s_mul_i32 s18, s3, s29
	s_mul_hi_u32 s19, s3, s28
	s_add_u32 s16, s16, s14
	s_mul_i32 s20, s10, s28
	s_addc_u32 s17, s17, s15
	s_delay_alu instid0(VALU_DEP_1) | instskip(SKIP_3) | instid1(SALU_CYCLE_1)
	v_mad_u64_u32 v[7:8], null, v1, s29, v[6:7]
	s_add_i32 s15, s19, s18
	s_mul_i32 s14, s3, s28
	s_add_i32 s15, s15, s20
	s_lshl_b64 s[14:15], s[14:15], 3
	s_delay_alu instid0(SALU_CYCLE_1) | instskip(NEXT) | instid1(VALU_DEP_1)
	s_add_u32 s14, s16, s14
	v_dual_mov_b32 v6, v7 :: v_dual_add_nc_u32 v7, 0x800, v3
	s_addc_u32 s15, s17, s15
	s_delay_alu instid0(VALU_DEP_1) | instskip(NEXT) | instid1(VALU_DEP_1)
	v_lshlrev_b64 v[5:6], 3, v[5:6]
	v_add_co_u32 v5, vcc_lo, s14, v5
	s_delay_alu instid0(VALU_DEP_2) | instskip(NEXT) | instid1(VALU_DEP_2)
	v_add_co_ci_u32_e32 v6, vcc_lo, s15, v6, vcc_lo
	v_add_co_u32 v5, vcc_lo, v5, v0
	s_delay_alu instid0(VALU_DEP_2)
	v_add_co_ci_u32_e32 v6, vcc_lo, 0, v6, vcc_lo
	global_load_b64 v[5:6], v[5:6], off
	s_waitcnt vmcnt(0)
	ds_store_b64 v7, v[5:6]
.LBB170_5:
	s_or_b32 exec_lo, exec_lo, s11
	v_cmp_eq_u32_e32 vcc_lo, v1, v4
	s_cmpk_eq_i32 s9, 0x84
	s_cselect_b32 s9, -1, 0
	s_delay_alu instid0(SALU_CYCLE_1) | instskip(NEXT) | instid1(SALU_CYCLE_1)
	s_and_b32 s11, vcc_lo, s9
	s_and_saveexec_b32 s9, s11
	s_cbranch_execz .LBB170_7
; %bb.6:
	v_dual_mov_b32 v5, 1.0 :: v_dual_mov_b32 v6, 0
	ds_store_b64 v3, v[5:6]
.LBB170_7:
	s_or_b32 exec_lo, exec_lo, s9
	s_cmpk_lg_i32 s8, 0x7a
	s_waitcnt lgkmcnt(0)
	s_barrier
	buffer_gl0_inv
	s_cbranch_scc0 .LBB170_9
; %bb.8:
	v_cmp_lt_u32_e32 vcc_lo, v4, v1
	s_and_b32 s8, vcc_lo, exec_lo
	s_cbranch_execz .LBB170_10
	s_branch .LBB170_11
.LBB170_9:
	s_mov_b32 s8, 0
.LBB170_10:
	v_cmp_gt_u32_e32 vcc_lo, v4, v1
	s_and_not1_b32 s8, s8, exec_lo
	s_and_b32 s9, vcc_lo, exec_lo
	s_delay_alu instid0(SALU_CYCLE_1)
	s_or_b32 s8, s8, s9
.LBB170_11:
	s_delay_alu instid0(SALU_CYCLE_1)
	s_and_saveexec_b32 s9, s8
	s_cbranch_execz .LBB170_13
; %bb.12:
	v_mov_b32_e32 v4, 0
	s_delay_alu instid0(VALU_DEP_1)
	v_mov_b32_e32 v5, v4
	ds_store_b64 v3, v[4:5]
.LBB170_13:
	s_or_b32 exec_lo, exec_lo, s9
	s_waitcnt lgkmcnt(0)
	s_barrier
	buffer_gl0_inv
	s_and_saveexec_b32 s8, s2
	s_cbranch_execz .LBB170_15
; %bb.14:
	v_lshlrev_b32_e32 v62, 3, v2
	s_load_b64 s[0:1], s[0:1], 0x60
	s_mul_i32 s2, s3, s7
	s_mul_i32 s10, s10, s6
	ds_load_2addr_b64 v[2:5], v0 offset1:16
	ds_load_b128 v[6:9], v62 offset:2048
	ds_load_2addr_b64 v[10:13], v0 offset0:32 offset1:48
	ds_load_b128 v[14:17], v62 offset:2064
	ds_load_2addr_b64 v[18:21], v0 offset0:64 offset1:80
	;; [unrolled: 2-line block ×6, first 2 shown]
	ds_load_b128 v[54:57], v62 offset:2144
	s_waitcnt lgkmcnt(0)
	v_dual_mul_f32 v67, v8, v5 :: v_dual_mul_f32 v66, v6, v3
	v_dual_mul_f32 v69, v16, v13 :: v_dual_mul_f32 v68, v14, v11
	v_mul_f32_e32 v71, v24, v21
	s_delay_alu instid0(VALU_DEP_3) | instskip(SKIP_1) | instid1(VALU_DEP_4)
	v_dual_fmac_f32 v67, v9, v4 :: v_dual_fmac_f32 v66, v7, v2
	v_dual_mul_f32 v70, v22, v19 :: v_dual_mul_f32 v73, v32, v29
	v_fmac_f32_e32 v69, v17, v12
	s_delay_alu instid0(VALU_DEP_3) | instskip(SKIP_2) | instid1(VALU_DEP_3)
	v_dual_mul_f32 v3, v7, v3 :: v_dual_add_f32 v66, 0, v66
	v_dual_mul_f32 v78, v54, v51 :: v_dual_mul_f32 v5, v9, v5
	v_fmac_f32_e32 v68, v15, v10
	v_fma_f32 v2, v6, v2, -v3
	s_delay_alu instid0(VALU_DEP_4) | instskip(SKIP_3) | instid1(VALU_DEP_4)
	v_add_f32_e32 v9, v66, v67
	v_mul_f32_e32 v3, v15, v11
	v_fma_f32 v4, v8, v4, -v5
	v_mul_f32_e32 v6, v17, v13
	v_dual_add_f32 v2, 0, v2 :: v_dual_add_f32 v5, v9, v68
	v_fmac_f32_e32 v70, v23, v18
	v_fma_f32 v3, v14, v10, -v3
	v_dual_mul_f32 v72, v30, v27 :: v_dual_mul_f32 v75, v40, v37
	s_delay_alu instid0(VALU_DEP_4) | instskip(SKIP_1) | instid1(VALU_DEP_3)
	v_add_f32_e32 v2, v2, v4
	v_dual_mul_f32 v4, v23, v19 :: v_dual_add_f32 v5, v5, v69
	v_dual_fmac_f32 v71, v25, v20 :: v_dual_fmac_f32 v72, v31, v26
	v_fma_f32 v6, v16, v12, -v6
	s_delay_alu instid0(VALU_DEP_3) | instskip(SKIP_3) | instid1(VALU_DEP_4)
	v_dual_add_f32 v2, v2, v3 :: v_dual_add_f32 v5, v5, v70
	v_mul_f32_e32 v3, v25, v21
	v_fma_f32 v4, v22, v18, -v4
	v_dual_mul_f32 v74, v38, v35 :: v_dual_mul_f32 v77, v48, v45
	v_dual_add_f32 v2, v2, v6 :: v_dual_add_f32 v5, v5, v71
	v_dual_mul_f32 v6, v31, v27 :: v_dual_fmac_f32 v73, v33, v28
	v_fma_f32 v3, v24, v20, -v3
	s_delay_alu instid0(VALU_DEP_3) | instskip(NEXT) | instid1(VALU_DEP_4)
	v_add_f32_e32 v2, v2, v4
	v_dual_add_f32 v5, v5, v72 :: v_dual_fmac_f32 v74, v39, v34
	v_mul_f32_e32 v4, v33, v29
	v_fma_f32 v6, v30, v26, -v6
	s_delay_alu instid0(VALU_DEP_3) | instskip(SKIP_2) | instid1(VALU_DEP_3)
	v_dual_add_f32 v2, v2, v3 :: v_dual_add_f32 v5, v5, v73
	v_dual_mul_f32 v76, v46, v43 :: v_dual_mul_f32 v7, v56, v53
	v_mul_f32_e32 v3, v39, v35
	v_dual_fmac_f32 v75, v41, v36 :: v_dual_add_f32 v2, v2, v6
	v_fma_f32 v4, v32, v28, -v4
	v_add_f32_e32 v5, v5, v74
	ds_load_2addr_b64 v[58:61], v0 offset0:224 offset1:240
	ds_load_b128 v[62:65], v62 offset:2160
	v_mul_f32_e32 v6, v41, v37
	v_fma_f32 v3, v38, v34, -v3
	v_add_f32_e32 v2, v2, v4
	v_dual_fmac_f32 v76, v47, v42 :: v_dual_add_f32 v5, v5, v75
	v_dual_mul_f32 v4, v47, v43 :: v_dual_fmac_f32 v77, v49, v44
	v_fma_f32 v6, v40, v36, -v6
	s_delay_alu instid0(VALU_DEP_3) | instskip(SKIP_1) | instid1(VALU_DEP_4)
	v_dual_add_f32 v2, v2, v3 :: v_dual_add_f32 v5, v5, v76
	v_dual_mul_f32 v3, v49, v45 :: v_dual_fmac_f32 v78, v55, v50
	v_fma_f32 v4, v46, v42, -v4
	s_delay_alu instid0(VALU_DEP_3) | instskip(SKIP_1) | instid1(VALU_DEP_4)
	v_dual_add_f32 v2, v2, v6 :: v_dual_add_f32 v5, v5, v77
	v_fmac_f32_e32 v7, v57, v52
	v_fma_f32 v3, v48, v44, -v3
	v_mul_f32_e32 v8, v57, v53
	s_delay_alu instid0(VALU_DEP_4)
	v_dual_add_f32 v2, v2, v4 :: v_dual_add_f32 v5, v5, v78
	v_mul_f32_e32 v4, v55, v51
	s_waitcnt lgkmcnt(0)
	v_dual_mul_f32 v6, v62, v59 :: v_dual_mul_f32 v9, v64, v61
	s_lshl_b64 s[0:1], s[0:1], 3
	v_add_f32_e32 v5, v5, v7
	s_delay_alu instid0(VALU_DEP_2) | instskip(SKIP_4) | instid1(VALU_DEP_3)
	v_dual_add_f32 v7, v2, v3 :: v_dual_fmac_f32 v6, v63, v58
	v_fma_f32 v4, v54, v50, -v4
	v_mad_u64_u32 v[2:3], null, v1, s6, 0
	v_fmac_f32_e32 v9, v65, v60
	s_add_u32 s4, s4, s0
	v_add_f32_e32 v4, v7, v4
	v_fma_f32 v7, v56, v52, -v8
	v_mul_f32_e32 v8, v63, v59
	s_mul_hi_u32 s0, s3, s6
	s_addc_u32 s5, s5, s1
	s_add_i32 s0, s0, s2
	v_add_f32_e32 v7, v4, v7
	v_fma_f32 v8, v62, v58, -v8
	v_add_f32_e32 v6, v5, v6
	v_mad_u64_u32 v[4:5], null, v1, s7, v[3:4]
	s_add_i32 s1, s0, s10
	s_delay_alu instid0(VALU_DEP_2) | instskip(SKIP_2) | instid1(VALU_DEP_3)
	v_dual_add_f32 v1, v7, v8 :: v_dual_add_f32 v6, v6, v9
	v_mul_f32_e32 v10, v65, v61
	s_mul_i32 s0, s3, s6
	v_mov_b32_e32 v3, v4
	s_lshl_b64 s[0:1], s[0:1], 3
	s_delay_alu instid0(VALU_DEP_2) | instskip(SKIP_2) | instid1(VALU_DEP_1)
	v_fma_f32 v5, v64, v60, -v10
	s_add_u32 s0, s4, s0
	s_addc_u32 s1, s5, s1
	v_dual_mul_f32 v4, s12, v6 :: v_dual_add_f32 v5, v1, v5
	v_lshlrev_b64 v[1:2], 3, v[2:3]
	s_delay_alu instid0(VALU_DEP_2) | instskip(NEXT) | instid1(VALU_DEP_2)
	v_dual_mul_f32 v3, s13, v6 :: v_dual_fmac_f32 v4, s13, v5
	v_add_co_u32 v1, vcc_lo, s0, v1
	s_delay_alu instid0(VALU_DEP_3) | instskip(NEXT) | instid1(VALU_DEP_3)
	v_add_co_ci_u32_e32 v2, vcc_lo, s1, v2, vcc_lo
	v_fma_f32 v3, s12, v5, -v3
	s_delay_alu instid0(VALU_DEP_3) | instskip(NEXT) | instid1(VALU_DEP_3)
	v_add_co_u32 v0, vcc_lo, v1, v0
	v_add_co_ci_u32_e32 v1, vcc_lo, 0, v2, vcc_lo
	global_store_b64 v[0:1], v[3:4], off
.LBB170_15:
	s_nop 0
	s_sendmsg sendmsg(MSG_DEALLOC_VGPRS)
	s_endpgm
	.section	.rodata,"a",@progbits
	.p2align	6, 0x0
	.amdhsa_kernel _ZL23rocblas_trmm_lTx_kernelILi16ELb0E19rocblas_complex_numIfEPKS1_KS3_KPS1_Ev13rocblas_fill_17rocblas_diagonal_iiT2_lPT3_llSB_llPT4_lli
		.amdhsa_group_segment_fixed_size 4096
		.amdhsa_private_segment_fixed_size 0
		.amdhsa_kernarg_size 108
		.amdhsa_user_sgpr_count 14
		.amdhsa_user_sgpr_dispatch_ptr 0
		.amdhsa_user_sgpr_queue_ptr 0
		.amdhsa_user_sgpr_kernarg_segment_ptr 1
		.amdhsa_user_sgpr_dispatch_id 0
		.amdhsa_user_sgpr_private_segment_size 0
		.amdhsa_wavefront_size32 1
		.amdhsa_uses_dynamic_stack 0
		.amdhsa_enable_private_segment 0
		.amdhsa_system_sgpr_workgroup_id_x 1
		.amdhsa_system_sgpr_workgroup_id_y 0
		.amdhsa_system_sgpr_workgroup_id_z 1
		.amdhsa_system_sgpr_workgroup_info 0
		.amdhsa_system_vgpr_workitem_id 1
		.amdhsa_next_free_vgpr 79
		.amdhsa_next_free_sgpr 32
		.amdhsa_reserve_vcc 1
		.amdhsa_float_round_mode_32 0
		.amdhsa_float_round_mode_16_64 0
		.amdhsa_float_denorm_mode_32 3
		.amdhsa_float_denorm_mode_16_64 3
		.amdhsa_dx10_clamp 1
		.amdhsa_ieee_mode 1
		.amdhsa_fp16_overflow 0
		.amdhsa_workgroup_processor_mode 1
		.amdhsa_memory_ordered 1
		.amdhsa_forward_progress 0
		.amdhsa_shared_vgpr_count 0
		.amdhsa_exception_fp_ieee_invalid_op 0
		.amdhsa_exception_fp_denorm_src 0
		.amdhsa_exception_fp_ieee_div_zero 0
		.amdhsa_exception_fp_ieee_overflow 0
		.amdhsa_exception_fp_ieee_underflow 0
		.amdhsa_exception_fp_ieee_inexact 0
		.amdhsa_exception_int_div_zero 0
	.end_amdhsa_kernel
	.section	.text._ZL23rocblas_trmm_lTx_kernelILi16ELb0E19rocblas_complex_numIfEPKS1_KS3_KPS1_Ev13rocblas_fill_17rocblas_diagonal_iiT2_lPT3_llSB_llPT4_lli,"axG",@progbits,_ZL23rocblas_trmm_lTx_kernelILi16ELb0E19rocblas_complex_numIfEPKS1_KS3_KPS1_Ev13rocblas_fill_17rocblas_diagonal_iiT2_lPT3_llSB_llPT4_lli,comdat
.Lfunc_end170:
	.size	_ZL23rocblas_trmm_lTx_kernelILi16ELb0E19rocblas_complex_numIfEPKS1_KS3_KPS1_Ev13rocblas_fill_17rocblas_diagonal_iiT2_lPT3_llSB_llPT4_lli, .Lfunc_end170-_ZL23rocblas_trmm_lTx_kernelILi16ELb0E19rocblas_complex_numIfEPKS1_KS3_KPS1_Ev13rocblas_fill_17rocblas_diagonal_iiT2_lPT3_llSB_llPT4_lli
                                        ; -- End function
	.section	.AMDGPU.csdata,"",@progbits
; Kernel info:
; codeLenInByte = 1600
; NumSgprs: 34
; NumVgprs: 79
; ScratchSize: 0
; MemoryBound: 0
; FloatMode: 240
; IeeeMode: 1
; LDSByteSize: 4096 bytes/workgroup (compile time only)
; SGPRBlocks: 4
; VGPRBlocks: 9
; NumSGPRsForWavesPerEU: 34
; NumVGPRsForWavesPerEU: 79
; Occupancy: 16
; WaveLimiterHint : 1
; COMPUTE_PGM_RSRC2:SCRATCH_EN: 0
; COMPUTE_PGM_RSRC2:USER_SGPR: 14
; COMPUTE_PGM_RSRC2:TRAP_HANDLER: 0
; COMPUTE_PGM_RSRC2:TGID_X_EN: 1
; COMPUTE_PGM_RSRC2:TGID_Y_EN: 0
; COMPUTE_PGM_RSRC2:TGID_Z_EN: 1
; COMPUTE_PGM_RSRC2:TIDIG_COMP_CNT: 1
	.section	.text._ZL23rocblas_trmm_lTx_kernelILi16ELb0E19rocblas_complex_numIfES1_KPKS1_KPS1_Ev13rocblas_fill_17rocblas_diagonal_iiT2_lPT3_llSB_llPT4_lli,"axG",@progbits,_ZL23rocblas_trmm_lTx_kernelILi16ELb0E19rocblas_complex_numIfES1_KPKS1_KPS1_Ev13rocblas_fill_17rocblas_diagonal_iiT2_lPT3_llSB_llPT4_lli,comdat
	.globl	_ZL23rocblas_trmm_lTx_kernelILi16ELb0E19rocblas_complex_numIfES1_KPKS1_KPS1_Ev13rocblas_fill_17rocblas_diagonal_iiT2_lPT3_llSB_llPT4_lli ; -- Begin function _ZL23rocblas_trmm_lTx_kernelILi16ELb0E19rocblas_complex_numIfES1_KPKS1_KPS1_Ev13rocblas_fill_17rocblas_diagonal_iiT2_lPT3_llSB_llPT4_lli
	.p2align	8
	.type	_ZL23rocblas_trmm_lTx_kernelILi16ELb0E19rocblas_complex_numIfES1_KPKS1_KPS1_Ev13rocblas_fill_17rocblas_diagonal_iiT2_lPT3_llSB_llPT4_lli,@function
_ZL23rocblas_trmm_lTx_kernelILi16ELb0E19rocblas_complex_numIfES1_KPKS1_KPS1_Ev13rocblas_fill_17rocblas_diagonal_iiT2_lPT3_llSB_llPT4_lli: ; @_ZL23rocblas_trmm_lTx_kernelILi16ELb0E19rocblas_complex_numIfES1_KPKS1_KPS1_Ev13rocblas_fill_17rocblas_diagonal_iiT2_lPT3_llSB_llPT4_lli
; %bb.0:
	s_load_b64 s[8:9], s[0:1], 0x10
	s_waitcnt lgkmcnt(0)
	v_cmp_neq_f32_e64 s3, s8, 0
	v_cmp_neq_f32_e64 s4, s9, 0
	s_delay_alu instid0(VALU_DEP_1) | instskip(NEXT) | instid1(SALU_CYCLE_1)
	s_or_b32 s3, s3, s4
	s_and_not1_b32 vcc_lo, exec_lo, s3
	s_mov_b32 s3, 0
	s_cbranch_vccnz .LBB171_15
; %bb.1:
	s_clause 0x1
	s_load_b512 s[16:31], s[0:1], 0x20
	s_load_b128 s[4:7], s[0:1], 0x0
	s_mov_b32 s2, s15
	v_bfe_u32 v1, v0, 10, 10
	s_lshl_b64 s[10:11], s[2:3], 3
	s_mov_b32 s2, s3
	v_and_b32_e32 v4, 0x3ff, v0
	v_dual_mov_b32 v6, s3 :: v_dual_mov_b32 v5, s2
	v_lshlrev_b32_e32 v2, 4, v1
	s_delay_alu instid0(VALU_DEP_3) | instskip(NEXT) | instid1(VALU_DEP_2)
	v_lshlrev_b32_e32 v0, 3, v4
	v_add_lshl_u32 v3, v2, v4, 3
	s_waitcnt lgkmcnt(0)
	s_add_u32 s12, s16, s10
	s_addc_u32 s13, s17, s11
	s_add_u32 s22, s22, s10
	s_addc_u32 s23, s23, s11
	;; [unrolled: 2-line block ×3, first 2 shown]
	s_load_b64 s[16:17], s[12:13], 0x0
	s_load_b64 s[12:13], s[22:23], 0x0
	;; [unrolled: 1-line block ×3, first 2 shown]
	v_cmp_gt_i32_e64 s2, s6, v1
	v_cmp_gt_i32_e32 vcc_lo, s6, v4
	ds_store_2addr_stride64_b64 v3, v[5:6], v[5:6] offset1:4
	s_waitcnt lgkmcnt(0)
	s_barrier
	buffer_gl0_inv
	s_and_b32 s2, s2, vcc_lo
	s_delay_alu instid0(SALU_CYCLE_1)
	s_and_saveexec_b32 s3, s2
	s_cbranch_execz .LBB171_3
; %bb.2:
	v_mad_u64_u32 v[5:6], null, v1, s18, 0
	s_delay_alu instid0(VALU_DEP_1) | instskip(SKIP_1) | instid1(SALU_CYCLE_1)
	v_mad_u64_u32 v[7:8], null, v1, s19, v[6:7]
	s_lshl_b64 s[18:19], s[20:21], 3
	s_add_u32 s2, s16, s18
	s_addc_u32 s6, s17, s19
	s_delay_alu instid0(VALU_DEP_1) | instskip(NEXT) | instid1(VALU_DEP_1)
	v_dual_mov_b32 v6, v7 :: v_dual_lshlrev_b32 v7, 4, v4
	v_lshlrev_b64 v[5:6], 3, v[5:6]
	s_delay_alu instid0(VALU_DEP_2) | instskip(NEXT) | instid1(VALU_DEP_2)
	v_add_lshl_u32 v7, v7, v1, 3
	v_add_co_u32 v5, s2, s2, v5
	s_delay_alu instid0(VALU_DEP_1) | instskip(NEXT) | instid1(VALU_DEP_2)
	v_add_co_ci_u32_e64 v6, s2, s6, v6, s2
	v_add_co_u32 v5, s2, v5, v0
	s_delay_alu instid0(VALU_DEP_1)
	v_add_co_ci_u32_e64 v6, s2, 0, v6, s2
	global_load_b64 v[5:6], v[5:6], off
	s_waitcnt vmcnt(0)
	ds_store_b64 v7, v[5:6]
.LBB171_3:
	s_or_b32 exec_lo, exec_lo, s3
	s_add_i32 s2, s7, -1
	s_delay_alu instid0(SALU_CYCLE_1) | instskip(NEXT) | instid1(SALU_CYCLE_1)
	s_ashr_i32 s3, s2, 31
	s_lshr_b32 s3, s3, 28
	s_delay_alu instid0(SALU_CYCLE_1) | instskip(NEXT) | instid1(SALU_CYCLE_1)
	s_add_i32 s2, s2, s3
	s_and_b32 s3, s2, -16
	s_ashr_i32 s2, s2, 4
	s_sub_i32 s3, s7, s3
	s_cmp_ge_i32 s14, s2
	s_cselect_b32 s2, s3, 16
	s_lshl_b32 s3, s14, 4
	v_cmp_gt_i32_e64 s2, s2, v1
	s_ashr_i32 s6, s3, 31
	s_delay_alu instid0(VALU_DEP_1) | instskip(NEXT) | instid1(SALU_CYCLE_1)
	s_and_b32 s2, vcc_lo, s2
	s_and_saveexec_b32 s7, s2
	s_cbranch_execz .LBB171_5
; %bb.4:
	v_mad_u64_u32 v[5:6], null, v1, s24, 0
	s_lshl_b64 s[14:15], s[26:27], 3
	s_mul_i32 s16, s3, s25
	s_mul_hi_u32 s17, s3, s24
	s_add_u32 s14, s12, s14
	s_mul_i32 s18, s6, s24
	s_addc_u32 s15, s13, s15
	s_delay_alu instid0(VALU_DEP_1) | instskip(SKIP_3) | instid1(SALU_CYCLE_1)
	v_mad_u64_u32 v[7:8], null, v1, s25, v[6:7]
	s_add_i32 s13, s17, s16
	s_mul_i32 s12, s3, s24
	s_add_i32 s13, s13, s18
	s_lshl_b64 s[12:13], s[12:13], 3
	s_delay_alu instid0(SALU_CYCLE_1) | instskip(NEXT) | instid1(VALU_DEP_1)
	s_add_u32 s12, s14, s12
	v_dual_mov_b32 v6, v7 :: v_dual_add_nc_u32 v7, 0x800, v3
	s_addc_u32 s13, s15, s13
	s_delay_alu instid0(VALU_DEP_1) | instskip(NEXT) | instid1(VALU_DEP_1)
	v_lshlrev_b64 v[5:6], 3, v[5:6]
	v_add_co_u32 v5, vcc_lo, s12, v5
	s_delay_alu instid0(VALU_DEP_2) | instskip(NEXT) | instid1(VALU_DEP_2)
	v_add_co_ci_u32_e32 v6, vcc_lo, s13, v6, vcc_lo
	v_add_co_u32 v5, vcc_lo, v5, v0
	s_delay_alu instid0(VALU_DEP_2)
	v_add_co_ci_u32_e32 v6, vcc_lo, 0, v6, vcc_lo
	global_load_b64 v[5:6], v[5:6], off
	s_waitcnt vmcnt(0)
	ds_store_b64 v7, v[5:6]
.LBB171_5:
	s_or_b32 exec_lo, exec_lo, s7
	v_cmp_eq_u32_e32 vcc_lo, v1, v4
	s_cmpk_eq_i32 s5, 0x84
	s_cselect_b32 s5, -1, 0
	s_delay_alu instid0(SALU_CYCLE_1) | instskip(NEXT) | instid1(SALU_CYCLE_1)
	s_and_b32 s7, vcc_lo, s5
	s_and_saveexec_b32 s5, s7
	s_cbranch_execz .LBB171_7
; %bb.6:
	v_dual_mov_b32 v5, 1.0 :: v_dual_mov_b32 v6, 0
	ds_store_b64 v3, v[5:6]
.LBB171_7:
	s_or_b32 exec_lo, exec_lo, s5
	s_cmpk_lg_i32 s4, 0x7a
	s_waitcnt lgkmcnt(0)
	s_barrier
	buffer_gl0_inv
	s_cbranch_scc0 .LBB171_9
; %bb.8:
	v_cmp_lt_u32_e32 vcc_lo, v4, v1
	s_and_b32 s4, vcc_lo, exec_lo
	s_cbranch_execz .LBB171_10
	s_branch .LBB171_11
.LBB171_9:
	s_mov_b32 s4, 0
.LBB171_10:
	v_cmp_gt_u32_e32 vcc_lo, v4, v1
	s_and_not1_b32 s4, s4, exec_lo
	s_and_b32 s5, vcc_lo, exec_lo
	s_delay_alu instid0(SALU_CYCLE_1)
	s_or_b32 s4, s4, s5
.LBB171_11:
	s_delay_alu instid0(SALU_CYCLE_1)
	s_and_saveexec_b32 s5, s4
	s_cbranch_execz .LBB171_13
; %bb.12:
	v_mov_b32_e32 v4, 0
	s_delay_alu instid0(VALU_DEP_1)
	v_mov_b32_e32 v5, v4
	ds_store_b64 v3, v[4:5]
.LBB171_13:
	s_or_b32 exec_lo, exec_lo, s5
	s_waitcnt lgkmcnt(0)
	s_barrier
	buffer_gl0_inv
	s_and_saveexec_b32 s4, s2
	s_cbranch_execz .LBB171_15
; %bb.14:
	v_lshlrev_b32_e32 v62, 3, v2
	s_load_b64 s[0:1], s[0:1], 0x60
	s_mul_i32 s2, s3, s31
	s_mul_i32 s6, s6, s30
	ds_load_2addr_b64 v[2:5], v0 offset1:16
	ds_load_b128 v[6:9], v62 offset:2048
	ds_load_2addr_b64 v[10:13], v0 offset0:32 offset1:48
	ds_load_b128 v[14:17], v62 offset:2064
	ds_load_2addr_b64 v[18:21], v0 offset0:64 offset1:80
	;; [unrolled: 2-line block ×6, first 2 shown]
	ds_load_b128 v[54:57], v62 offset:2144
	s_waitcnt lgkmcnt(0)
	v_dual_mul_f32 v67, v8, v5 :: v_dual_mul_f32 v66, v6, v3
	v_dual_mul_f32 v69, v16, v13 :: v_dual_mul_f32 v68, v14, v11
	v_mul_f32_e32 v71, v24, v21
	s_delay_alu instid0(VALU_DEP_3) | instskip(SKIP_1) | instid1(VALU_DEP_4)
	v_dual_fmac_f32 v67, v9, v4 :: v_dual_fmac_f32 v66, v7, v2
	v_dual_mul_f32 v70, v22, v19 :: v_dual_mul_f32 v73, v32, v29
	v_fmac_f32_e32 v69, v17, v12
	s_delay_alu instid0(VALU_DEP_3) | instskip(SKIP_2) | instid1(VALU_DEP_3)
	v_dual_mul_f32 v3, v7, v3 :: v_dual_add_f32 v66, 0, v66
	v_dual_mul_f32 v78, v54, v51 :: v_dual_mul_f32 v5, v9, v5
	v_fmac_f32_e32 v68, v15, v10
	v_fma_f32 v2, v6, v2, -v3
	s_delay_alu instid0(VALU_DEP_4) | instskip(SKIP_3) | instid1(VALU_DEP_4)
	v_add_f32_e32 v9, v66, v67
	v_mul_f32_e32 v3, v15, v11
	v_fma_f32 v4, v8, v4, -v5
	v_mul_f32_e32 v6, v17, v13
	v_dual_add_f32 v2, 0, v2 :: v_dual_add_f32 v5, v9, v68
	v_fmac_f32_e32 v70, v23, v18
	v_fma_f32 v3, v14, v10, -v3
	v_dual_mul_f32 v72, v30, v27 :: v_dual_mul_f32 v75, v40, v37
	s_delay_alu instid0(VALU_DEP_4) | instskip(SKIP_1) | instid1(VALU_DEP_3)
	v_add_f32_e32 v2, v2, v4
	v_dual_mul_f32 v4, v23, v19 :: v_dual_add_f32 v5, v5, v69
	v_dual_fmac_f32 v71, v25, v20 :: v_dual_fmac_f32 v72, v31, v26
	v_fma_f32 v6, v16, v12, -v6
	s_delay_alu instid0(VALU_DEP_3) | instskip(SKIP_3) | instid1(VALU_DEP_4)
	v_dual_add_f32 v2, v2, v3 :: v_dual_add_f32 v5, v5, v70
	v_mul_f32_e32 v3, v25, v21
	v_fma_f32 v4, v22, v18, -v4
	v_dual_mul_f32 v74, v38, v35 :: v_dual_mul_f32 v77, v48, v45
	v_dual_add_f32 v2, v2, v6 :: v_dual_add_f32 v5, v5, v71
	v_dual_mul_f32 v6, v31, v27 :: v_dual_fmac_f32 v73, v33, v28
	v_fma_f32 v3, v24, v20, -v3
	s_delay_alu instid0(VALU_DEP_3) | instskip(NEXT) | instid1(VALU_DEP_4)
	v_add_f32_e32 v2, v2, v4
	v_dual_add_f32 v5, v5, v72 :: v_dual_fmac_f32 v74, v39, v34
	v_mul_f32_e32 v4, v33, v29
	v_fma_f32 v6, v30, v26, -v6
	s_delay_alu instid0(VALU_DEP_3) | instskip(SKIP_2) | instid1(VALU_DEP_3)
	v_dual_add_f32 v2, v2, v3 :: v_dual_add_f32 v5, v5, v73
	v_dual_mul_f32 v76, v46, v43 :: v_dual_mul_f32 v7, v56, v53
	v_mul_f32_e32 v3, v39, v35
	v_dual_fmac_f32 v75, v41, v36 :: v_dual_add_f32 v2, v2, v6
	v_fma_f32 v4, v32, v28, -v4
	v_add_f32_e32 v5, v5, v74
	ds_load_2addr_b64 v[58:61], v0 offset0:224 offset1:240
	ds_load_b128 v[62:65], v62 offset:2160
	v_mul_f32_e32 v6, v41, v37
	v_fma_f32 v3, v38, v34, -v3
	v_add_f32_e32 v2, v2, v4
	v_dual_fmac_f32 v76, v47, v42 :: v_dual_add_f32 v5, v5, v75
	v_dual_mul_f32 v4, v47, v43 :: v_dual_fmac_f32 v77, v49, v44
	v_fma_f32 v6, v40, v36, -v6
	s_delay_alu instid0(VALU_DEP_3) | instskip(SKIP_1) | instid1(VALU_DEP_4)
	v_dual_add_f32 v2, v2, v3 :: v_dual_add_f32 v5, v5, v76
	v_dual_mul_f32 v3, v49, v45 :: v_dual_fmac_f32 v78, v55, v50
	v_fma_f32 v4, v46, v42, -v4
	s_delay_alu instid0(VALU_DEP_3) | instskip(SKIP_1) | instid1(VALU_DEP_4)
	v_dual_add_f32 v2, v2, v6 :: v_dual_add_f32 v5, v5, v77
	v_fmac_f32_e32 v7, v57, v52
	v_fma_f32 v3, v48, v44, -v3
	v_mul_f32_e32 v8, v57, v53
	s_delay_alu instid0(VALU_DEP_4)
	v_dual_add_f32 v2, v2, v4 :: v_dual_add_f32 v5, v5, v78
	v_mul_f32_e32 v4, v55, v51
	s_waitcnt lgkmcnt(0)
	v_dual_mul_f32 v6, v62, v59 :: v_dual_mul_f32 v9, v64, v61
	s_lshl_b64 s[0:1], s[0:1], 3
	v_add_f32_e32 v5, v5, v7
	s_delay_alu instid0(VALU_DEP_2) | instskip(SKIP_4) | instid1(VALU_DEP_3)
	v_dual_add_f32 v7, v2, v3 :: v_dual_fmac_f32 v6, v63, v58
	v_fma_f32 v4, v54, v50, -v4
	v_mad_u64_u32 v[2:3], null, v1, s30, 0
	v_fmac_f32_e32 v9, v65, v60
	s_add_u32 s4, s10, s0
	v_add_f32_e32 v4, v7, v4
	v_fma_f32 v7, v56, v52, -v8
	v_mul_f32_e32 v8, v63, v59
	s_mul_hi_u32 s0, s3, s30
	s_addc_u32 s5, s11, s1
	s_add_i32 s0, s0, s2
	v_add_f32_e32 v7, v4, v7
	v_fma_f32 v8, v62, v58, -v8
	v_add_f32_e32 v6, v5, v6
	v_mad_u64_u32 v[4:5], null, v1, s31, v[3:4]
	s_add_i32 s1, s0, s6
	s_delay_alu instid0(VALU_DEP_2) | instskip(SKIP_2) | instid1(VALU_DEP_3)
	v_dual_add_f32 v1, v7, v8 :: v_dual_add_f32 v6, v6, v9
	v_mul_f32_e32 v10, v65, v61
	s_mul_i32 s0, s3, s30
	v_mov_b32_e32 v3, v4
	s_lshl_b64 s[0:1], s[0:1], 3
	s_delay_alu instid0(VALU_DEP_2) | instskip(SKIP_2) | instid1(VALU_DEP_1)
	v_fma_f32 v5, v64, v60, -v10
	s_add_u32 s0, s4, s0
	s_addc_u32 s1, s5, s1
	v_dual_mul_f32 v4, s8, v6 :: v_dual_add_f32 v5, v1, v5
	v_lshlrev_b64 v[1:2], 3, v[2:3]
	s_delay_alu instid0(VALU_DEP_2) | instskip(NEXT) | instid1(VALU_DEP_2)
	v_dual_mul_f32 v3, s9, v6 :: v_dual_fmac_f32 v4, s9, v5
	v_add_co_u32 v1, vcc_lo, s0, v1
	s_delay_alu instid0(VALU_DEP_3) | instskip(NEXT) | instid1(VALU_DEP_3)
	v_add_co_ci_u32_e32 v2, vcc_lo, s1, v2, vcc_lo
	v_fma_f32 v3, s8, v5, -v3
	s_delay_alu instid0(VALU_DEP_3) | instskip(NEXT) | instid1(VALU_DEP_3)
	v_add_co_u32 v0, vcc_lo, v1, v0
	v_add_co_ci_u32_e32 v1, vcc_lo, 0, v2, vcc_lo
	global_store_b64 v[0:1], v[3:4], off
.LBB171_15:
	s_nop 0
	s_sendmsg sendmsg(MSG_DEALLOC_VGPRS)
	s_endpgm
	.section	.rodata,"a",@progbits
	.p2align	6, 0x0
	.amdhsa_kernel _ZL23rocblas_trmm_lTx_kernelILi16ELb0E19rocblas_complex_numIfES1_KPKS1_KPS1_Ev13rocblas_fill_17rocblas_diagonal_iiT2_lPT3_llSB_llPT4_lli
		.amdhsa_group_segment_fixed_size 4096
		.amdhsa_private_segment_fixed_size 0
		.amdhsa_kernarg_size 108
		.amdhsa_user_sgpr_count 14
		.amdhsa_user_sgpr_dispatch_ptr 0
		.amdhsa_user_sgpr_queue_ptr 0
		.amdhsa_user_sgpr_kernarg_segment_ptr 1
		.amdhsa_user_sgpr_dispatch_id 0
		.amdhsa_user_sgpr_private_segment_size 0
		.amdhsa_wavefront_size32 1
		.amdhsa_uses_dynamic_stack 0
		.amdhsa_enable_private_segment 0
		.amdhsa_system_sgpr_workgroup_id_x 1
		.amdhsa_system_sgpr_workgroup_id_y 0
		.amdhsa_system_sgpr_workgroup_id_z 1
		.amdhsa_system_sgpr_workgroup_info 0
		.amdhsa_system_vgpr_workitem_id 1
		.amdhsa_next_free_vgpr 79
		.amdhsa_next_free_sgpr 32
		.amdhsa_reserve_vcc 1
		.amdhsa_float_round_mode_32 0
		.amdhsa_float_round_mode_16_64 0
		.amdhsa_float_denorm_mode_32 3
		.amdhsa_float_denorm_mode_16_64 3
		.amdhsa_dx10_clamp 1
		.amdhsa_ieee_mode 1
		.amdhsa_fp16_overflow 0
		.amdhsa_workgroup_processor_mode 1
		.amdhsa_memory_ordered 1
		.amdhsa_forward_progress 0
		.amdhsa_shared_vgpr_count 0
		.amdhsa_exception_fp_ieee_invalid_op 0
		.amdhsa_exception_fp_denorm_src 0
		.amdhsa_exception_fp_ieee_div_zero 0
		.amdhsa_exception_fp_ieee_overflow 0
		.amdhsa_exception_fp_ieee_underflow 0
		.amdhsa_exception_fp_ieee_inexact 0
		.amdhsa_exception_int_div_zero 0
	.end_amdhsa_kernel
	.section	.text._ZL23rocblas_trmm_lTx_kernelILi16ELb0E19rocblas_complex_numIfES1_KPKS1_KPS1_Ev13rocblas_fill_17rocblas_diagonal_iiT2_lPT3_llSB_llPT4_lli,"axG",@progbits,_ZL23rocblas_trmm_lTx_kernelILi16ELb0E19rocblas_complex_numIfES1_KPKS1_KPS1_Ev13rocblas_fill_17rocblas_diagonal_iiT2_lPT3_llSB_llPT4_lli,comdat
.Lfunc_end171:
	.size	_ZL23rocblas_trmm_lTx_kernelILi16ELb0E19rocblas_complex_numIfES1_KPKS1_KPS1_Ev13rocblas_fill_17rocblas_diagonal_iiT2_lPT3_llSB_llPT4_lli, .Lfunc_end171-_ZL23rocblas_trmm_lTx_kernelILi16ELb0E19rocblas_complex_numIfES1_KPKS1_KPS1_Ev13rocblas_fill_17rocblas_diagonal_iiT2_lPT3_llSB_llPT4_lli
                                        ; -- End function
	.section	.AMDGPU.csdata,"",@progbits
; Kernel info:
; codeLenInByte = 1556
; NumSgprs: 34
; NumVgprs: 79
; ScratchSize: 0
; MemoryBound: 0
; FloatMode: 240
; IeeeMode: 1
; LDSByteSize: 4096 bytes/workgroup (compile time only)
; SGPRBlocks: 4
; VGPRBlocks: 9
; NumSGPRsForWavesPerEU: 34
; NumVGPRsForWavesPerEU: 79
; Occupancy: 16
; WaveLimiterHint : 1
; COMPUTE_PGM_RSRC2:SCRATCH_EN: 0
; COMPUTE_PGM_RSRC2:USER_SGPR: 14
; COMPUTE_PGM_RSRC2:TRAP_HANDLER: 0
; COMPUTE_PGM_RSRC2:TGID_X_EN: 1
; COMPUTE_PGM_RSRC2:TGID_Y_EN: 0
; COMPUTE_PGM_RSRC2:TGID_Z_EN: 1
; COMPUTE_PGM_RSRC2:TIDIG_COMP_CNT: 1
	.section	.text._ZL23rocblas_trmm_lTx_kernelILi16ELb1E19rocblas_complex_numIfEPKS1_KS3_KPS1_Ev13rocblas_fill_17rocblas_diagonal_iiT2_lPT3_llSB_llPT4_lli,"axG",@progbits,_ZL23rocblas_trmm_lTx_kernelILi16ELb1E19rocblas_complex_numIfEPKS1_KS3_KPS1_Ev13rocblas_fill_17rocblas_diagonal_iiT2_lPT3_llSB_llPT4_lli,comdat
	.globl	_ZL23rocblas_trmm_lTx_kernelILi16ELb1E19rocblas_complex_numIfEPKS1_KS3_KPS1_Ev13rocblas_fill_17rocblas_diagonal_iiT2_lPT3_llSB_llPT4_lli ; -- Begin function _ZL23rocblas_trmm_lTx_kernelILi16ELb1E19rocblas_complex_numIfEPKS1_KS3_KPS1_Ev13rocblas_fill_17rocblas_diagonal_iiT2_lPT3_llSB_llPT4_lli
	.p2align	8
	.type	_ZL23rocblas_trmm_lTx_kernelILi16ELb1E19rocblas_complex_numIfEPKS1_KS3_KPS1_Ev13rocblas_fill_17rocblas_diagonal_iiT2_lPT3_llSB_llPT4_lli,@function
_ZL23rocblas_trmm_lTx_kernelILi16ELb1E19rocblas_complex_numIfEPKS1_KS3_KPS1_Ev13rocblas_fill_17rocblas_diagonal_iiT2_lPT3_llSB_llPT4_lli: ; @_ZL23rocblas_trmm_lTx_kernelILi16ELb1E19rocblas_complex_numIfEPKS1_KS3_KPS1_Ev13rocblas_fill_17rocblas_diagonal_iiT2_lPT3_llSB_llPT4_lli
; %bb.0:
	s_load_b512 s[16:31], s[0:1], 0x10
	s_waitcnt lgkmcnt(0)
	s_mul_i32 s3, s15, s19
	s_mul_hi_u32 s5, s15, s18
	s_mul_i32 s4, s15, s18
	s_add_i32 s5, s5, s3
	s_delay_alu instid0(SALU_CYCLE_1) | instskip(NEXT) | instid1(SALU_CYCLE_1)
	s_lshl_b64 s[4:5], s[4:5], 3
	s_add_u32 s4, s16, s4
	s_addc_u32 s5, s17, s5
	s_load_b64 s[12:13], s[4:5], 0x0
	s_waitcnt lgkmcnt(0)
	v_cmp_neq_f32_e64 s3, s12, 0
	v_cmp_neq_f32_e64 s4, s13, 0
	s_delay_alu instid0(VALU_DEP_1) | instskip(NEXT) | instid1(SALU_CYCLE_1)
	s_or_b32 s3, s3, s4
	s_and_not1_b32 vcc_lo, exec_lo, s3
	s_mov_b32 s3, 0
	s_cbranch_vccnz .LBB172_15
; %bb.1:
	s_clause 0x1
	s_load_b128 s[4:7], s[0:1], 0x50
	s_load_b128 s[8:11], s[0:1], 0x0
	s_mov_b32 s2, s15
	v_bfe_u32 v1, v0, 10, 10
	s_lshl_b64 s[16:17], s[2:3], 3
	s_mov_b32 s2, s3
	s_add_u32 s18, s20, s16
	s_addc_u32 s19, s21, s17
	s_add_u32 s20, s26, s16
	s_addc_u32 s21, s27, s17
	s_load_b64 s[18:19], s[18:19], 0x0
	v_and_b32_e32 v4, 0x3ff, v0
	v_lshlrev_b32_e32 v2, 4, v1
	v_dual_mov_b32 v6, s3 :: v_dual_mov_b32 v5, s2
	s_delay_alu instid0(VALU_DEP_3) | instskip(NEXT) | instid1(VALU_DEP_3)
	v_lshlrev_b32_e32 v0, 3, v4
	v_add_lshl_u32 v3, v2, v4, 3
	s_waitcnt lgkmcnt(0)
	s_add_u32 s4, s4, s16
	s_addc_u32 s5, s5, s17
	s_load_b64 s[16:17], s[20:21], 0x0
	s_load_b64 s[4:5], s[4:5], 0x0
	v_cmp_gt_i32_e64 s2, s10, v1
	v_cmp_gt_i32_e32 vcc_lo, s10, v4
	ds_store_2addr_stride64_b64 v3, v[5:6], v[5:6] offset1:4
	s_waitcnt lgkmcnt(0)
	s_barrier
	buffer_gl0_inv
	s_and_b32 s2, s2, vcc_lo
	s_delay_alu instid0(SALU_CYCLE_1)
	s_and_saveexec_b32 s3, s2
	s_cbranch_execz .LBB172_3
; %bb.2:
	v_mad_u64_u32 v[5:6], null, v1, s22, 0
	s_lshl_b64 s[20:21], s[24:25], 3
	s_delay_alu instid0(SALU_CYCLE_1) | instskip(SKIP_1) | instid1(VALU_DEP_1)
	s_add_u32 s2, s18, s20
	s_addc_u32 s10, s19, s21
	v_mad_u64_u32 v[7:8], null, v1, s23, v[6:7]
	s_delay_alu instid0(VALU_DEP_1) | instskip(NEXT) | instid1(VALU_DEP_1)
	v_dual_mov_b32 v6, v7 :: v_dual_lshlrev_b32 v7, 4, v4
	v_lshlrev_b64 v[5:6], 3, v[5:6]
	s_delay_alu instid0(VALU_DEP_2) | instskip(NEXT) | instid1(VALU_DEP_2)
	v_add_lshl_u32 v7, v7, v1, 3
	v_add_co_u32 v5, s2, s2, v5
	s_delay_alu instid0(VALU_DEP_1) | instskip(NEXT) | instid1(VALU_DEP_2)
	v_add_co_ci_u32_e64 v6, s2, s10, v6, s2
	v_add_co_u32 v5, s2, v5, v0
	s_delay_alu instid0(VALU_DEP_1)
	v_add_co_ci_u32_e64 v6, s2, 0, v6, s2
	global_load_b64 v[5:6], v[5:6], off
	s_waitcnt vmcnt(0)
	v_xor_b32_e32 v6, 0x80000000, v6
	ds_store_b64 v7, v[5:6]
.LBB172_3:
	s_or_b32 exec_lo, exec_lo, s3
	s_add_i32 s2, s11, -1
	s_delay_alu instid0(SALU_CYCLE_1) | instskip(NEXT) | instid1(SALU_CYCLE_1)
	s_ashr_i32 s3, s2, 31
	s_lshr_b32 s3, s3, 28
	s_delay_alu instid0(SALU_CYCLE_1) | instskip(NEXT) | instid1(SALU_CYCLE_1)
	s_add_i32 s2, s2, s3
	s_and_b32 s3, s2, -16
	s_ashr_i32 s2, s2, 4
	s_sub_i32 s3, s11, s3
	s_cmp_ge_i32 s14, s2
	s_cselect_b32 s2, s3, 16
	s_lshl_b32 s3, s14, 4
	v_cmp_gt_i32_e64 s2, s2, v1
	s_ashr_i32 s10, s3, 31
	s_delay_alu instid0(VALU_DEP_1) | instskip(NEXT) | instid1(SALU_CYCLE_1)
	s_and_b32 s2, vcc_lo, s2
	s_and_saveexec_b32 s11, s2
	s_cbranch_execz .LBB172_5
; %bb.4:
	v_mad_u64_u32 v[5:6], null, v1, s28, 0
	s_lshl_b64 s[14:15], s[30:31], 3
	s_mul_i32 s18, s3, s29
	s_mul_hi_u32 s19, s3, s28
	s_add_u32 s16, s16, s14
	s_mul_i32 s20, s10, s28
	s_addc_u32 s17, s17, s15
	s_delay_alu instid0(VALU_DEP_1) | instskip(SKIP_3) | instid1(SALU_CYCLE_1)
	v_mad_u64_u32 v[7:8], null, v1, s29, v[6:7]
	s_add_i32 s15, s19, s18
	s_mul_i32 s14, s3, s28
	s_add_i32 s15, s15, s20
	s_lshl_b64 s[14:15], s[14:15], 3
	s_delay_alu instid0(SALU_CYCLE_1) | instskip(NEXT) | instid1(VALU_DEP_1)
	s_add_u32 s14, s16, s14
	v_dual_mov_b32 v6, v7 :: v_dual_add_nc_u32 v7, 0x800, v3
	s_addc_u32 s15, s17, s15
	s_delay_alu instid0(VALU_DEP_1) | instskip(NEXT) | instid1(VALU_DEP_1)
	v_lshlrev_b64 v[5:6], 3, v[5:6]
	v_add_co_u32 v5, vcc_lo, s14, v5
	s_delay_alu instid0(VALU_DEP_2) | instskip(NEXT) | instid1(VALU_DEP_2)
	v_add_co_ci_u32_e32 v6, vcc_lo, s15, v6, vcc_lo
	v_add_co_u32 v5, vcc_lo, v5, v0
	s_delay_alu instid0(VALU_DEP_2)
	v_add_co_ci_u32_e32 v6, vcc_lo, 0, v6, vcc_lo
	global_load_b64 v[5:6], v[5:6], off
	s_waitcnt vmcnt(0)
	ds_store_b64 v7, v[5:6]
.LBB172_5:
	s_or_b32 exec_lo, exec_lo, s11
	v_cmp_eq_u32_e32 vcc_lo, v1, v4
	s_cmpk_eq_i32 s9, 0x84
	s_cselect_b32 s9, -1, 0
	s_delay_alu instid0(SALU_CYCLE_1) | instskip(NEXT) | instid1(SALU_CYCLE_1)
	s_and_b32 s11, vcc_lo, s9
	s_and_saveexec_b32 s9, s11
	s_cbranch_execz .LBB172_7
; %bb.6:
	v_dual_mov_b32 v5, 1.0 :: v_dual_mov_b32 v6, 0
	ds_store_b64 v3, v[5:6]
.LBB172_7:
	s_or_b32 exec_lo, exec_lo, s9
	s_cmpk_lg_i32 s8, 0x7a
	s_waitcnt lgkmcnt(0)
	s_barrier
	buffer_gl0_inv
	s_cbranch_scc0 .LBB172_9
; %bb.8:
	v_cmp_lt_u32_e32 vcc_lo, v4, v1
	s_and_b32 s8, vcc_lo, exec_lo
	s_cbranch_execz .LBB172_10
	s_branch .LBB172_11
.LBB172_9:
	s_mov_b32 s8, 0
.LBB172_10:
	v_cmp_gt_u32_e32 vcc_lo, v4, v1
	s_and_not1_b32 s8, s8, exec_lo
	s_and_b32 s9, vcc_lo, exec_lo
	s_delay_alu instid0(SALU_CYCLE_1)
	s_or_b32 s8, s8, s9
.LBB172_11:
	s_delay_alu instid0(SALU_CYCLE_1)
	s_and_saveexec_b32 s9, s8
	s_cbranch_execz .LBB172_13
; %bb.12:
	v_mov_b32_e32 v4, 0
	s_delay_alu instid0(VALU_DEP_1)
	v_mov_b32_e32 v5, v4
	ds_store_b64 v3, v[4:5]
.LBB172_13:
	s_or_b32 exec_lo, exec_lo, s9
	s_waitcnt lgkmcnt(0)
	s_barrier
	buffer_gl0_inv
	s_and_saveexec_b32 s8, s2
	s_cbranch_execz .LBB172_15
; %bb.14:
	v_lshlrev_b32_e32 v62, 3, v2
	s_load_b64 s[0:1], s[0:1], 0x60
	s_mul_i32 s2, s3, s7
	s_mul_i32 s10, s10, s6
	ds_load_2addr_b64 v[2:5], v0 offset1:16
	ds_load_b128 v[6:9], v62 offset:2048
	ds_load_2addr_b64 v[10:13], v0 offset0:32 offset1:48
	ds_load_b128 v[14:17], v62 offset:2064
	ds_load_2addr_b64 v[18:21], v0 offset0:64 offset1:80
	;; [unrolled: 2-line block ×6, first 2 shown]
	ds_load_b128 v[54:57], v62 offset:2144
	s_waitcnt lgkmcnt(0)
	v_dual_mul_f32 v67, v8, v5 :: v_dual_mul_f32 v66, v6, v3
	v_dual_mul_f32 v69, v16, v13 :: v_dual_mul_f32 v68, v14, v11
	v_mul_f32_e32 v71, v24, v21
	s_delay_alu instid0(VALU_DEP_3) | instskip(SKIP_1) | instid1(VALU_DEP_4)
	v_dual_fmac_f32 v67, v9, v4 :: v_dual_fmac_f32 v66, v7, v2
	v_dual_mul_f32 v70, v22, v19 :: v_dual_mul_f32 v73, v32, v29
	v_fmac_f32_e32 v69, v17, v12
	s_delay_alu instid0(VALU_DEP_3) | instskip(SKIP_2) | instid1(VALU_DEP_3)
	v_dual_mul_f32 v3, v7, v3 :: v_dual_add_f32 v66, 0, v66
	v_dual_mul_f32 v78, v54, v51 :: v_dual_mul_f32 v5, v9, v5
	v_fmac_f32_e32 v68, v15, v10
	v_fma_f32 v2, v6, v2, -v3
	s_delay_alu instid0(VALU_DEP_4) | instskip(SKIP_3) | instid1(VALU_DEP_4)
	v_add_f32_e32 v9, v66, v67
	v_mul_f32_e32 v3, v15, v11
	v_fma_f32 v4, v8, v4, -v5
	v_mul_f32_e32 v6, v17, v13
	v_dual_add_f32 v2, 0, v2 :: v_dual_add_f32 v5, v9, v68
	v_fmac_f32_e32 v70, v23, v18
	v_fma_f32 v3, v14, v10, -v3
	v_dual_mul_f32 v72, v30, v27 :: v_dual_mul_f32 v75, v40, v37
	s_delay_alu instid0(VALU_DEP_4) | instskip(SKIP_1) | instid1(VALU_DEP_3)
	v_add_f32_e32 v2, v2, v4
	v_dual_mul_f32 v4, v23, v19 :: v_dual_add_f32 v5, v5, v69
	v_dual_fmac_f32 v71, v25, v20 :: v_dual_fmac_f32 v72, v31, v26
	v_fma_f32 v6, v16, v12, -v6
	s_delay_alu instid0(VALU_DEP_3) | instskip(SKIP_3) | instid1(VALU_DEP_4)
	v_dual_add_f32 v2, v2, v3 :: v_dual_add_f32 v5, v5, v70
	v_mul_f32_e32 v3, v25, v21
	v_fma_f32 v4, v22, v18, -v4
	v_dual_mul_f32 v74, v38, v35 :: v_dual_mul_f32 v77, v48, v45
	v_dual_add_f32 v2, v2, v6 :: v_dual_add_f32 v5, v5, v71
	v_dual_mul_f32 v6, v31, v27 :: v_dual_fmac_f32 v73, v33, v28
	v_fma_f32 v3, v24, v20, -v3
	s_delay_alu instid0(VALU_DEP_3) | instskip(NEXT) | instid1(VALU_DEP_4)
	v_add_f32_e32 v2, v2, v4
	v_dual_add_f32 v5, v5, v72 :: v_dual_fmac_f32 v74, v39, v34
	v_mul_f32_e32 v4, v33, v29
	v_fma_f32 v6, v30, v26, -v6
	s_delay_alu instid0(VALU_DEP_3) | instskip(SKIP_2) | instid1(VALU_DEP_3)
	v_dual_add_f32 v2, v2, v3 :: v_dual_add_f32 v5, v5, v73
	v_dual_mul_f32 v76, v46, v43 :: v_dual_mul_f32 v7, v56, v53
	v_mul_f32_e32 v3, v39, v35
	v_dual_fmac_f32 v75, v41, v36 :: v_dual_add_f32 v2, v2, v6
	v_fma_f32 v4, v32, v28, -v4
	v_add_f32_e32 v5, v5, v74
	ds_load_2addr_b64 v[58:61], v0 offset0:224 offset1:240
	ds_load_b128 v[62:65], v62 offset:2160
	v_mul_f32_e32 v6, v41, v37
	v_fma_f32 v3, v38, v34, -v3
	v_add_f32_e32 v2, v2, v4
	v_dual_fmac_f32 v76, v47, v42 :: v_dual_add_f32 v5, v5, v75
	v_dual_mul_f32 v4, v47, v43 :: v_dual_fmac_f32 v77, v49, v44
	v_fma_f32 v6, v40, v36, -v6
	s_delay_alu instid0(VALU_DEP_3) | instskip(SKIP_1) | instid1(VALU_DEP_4)
	v_dual_add_f32 v2, v2, v3 :: v_dual_add_f32 v5, v5, v76
	v_dual_mul_f32 v3, v49, v45 :: v_dual_fmac_f32 v78, v55, v50
	v_fma_f32 v4, v46, v42, -v4
	s_delay_alu instid0(VALU_DEP_3) | instskip(SKIP_1) | instid1(VALU_DEP_4)
	v_dual_add_f32 v2, v2, v6 :: v_dual_add_f32 v5, v5, v77
	v_fmac_f32_e32 v7, v57, v52
	v_fma_f32 v3, v48, v44, -v3
	v_mul_f32_e32 v8, v57, v53
	s_delay_alu instid0(VALU_DEP_4)
	v_dual_add_f32 v2, v2, v4 :: v_dual_add_f32 v5, v5, v78
	v_mul_f32_e32 v4, v55, v51
	s_waitcnt lgkmcnt(0)
	v_dual_mul_f32 v6, v62, v59 :: v_dual_mul_f32 v9, v64, v61
	s_lshl_b64 s[0:1], s[0:1], 3
	v_add_f32_e32 v5, v5, v7
	s_delay_alu instid0(VALU_DEP_2) | instskip(SKIP_4) | instid1(VALU_DEP_3)
	v_dual_add_f32 v7, v2, v3 :: v_dual_fmac_f32 v6, v63, v58
	v_fma_f32 v4, v54, v50, -v4
	v_mad_u64_u32 v[2:3], null, v1, s6, 0
	v_fmac_f32_e32 v9, v65, v60
	s_add_u32 s4, s4, s0
	v_add_f32_e32 v4, v7, v4
	v_fma_f32 v7, v56, v52, -v8
	v_mul_f32_e32 v8, v63, v59
	s_mul_hi_u32 s0, s3, s6
	s_addc_u32 s5, s5, s1
	s_add_i32 s0, s0, s2
	v_add_f32_e32 v7, v4, v7
	v_fma_f32 v8, v62, v58, -v8
	v_add_f32_e32 v6, v5, v6
	v_mad_u64_u32 v[4:5], null, v1, s7, v[3:4]
	s_add_i32 s1, s0, s10
	s_delay_alu instid0(VALU_DEP_2) | instskip(SKIP_2) | instid1(VALU_DEP_3)
	v_dual_add_f32 v1, v7, v8 :: v_dual_add_f32 v6, v6, v9
	v_mul_f32_e32 v10, v65, v61
	s_mul_i32 s0, s3, s6
	v_mov_b32_e32 v3, v4
	s_lshl_b64 s[0:1], s[0:1], 3
	s_delay_alu instid0(VALU_DEP_2) | instskip(SKIP_2) | instid1(VALU_DEP_1)
	v_fma_f32 v5, v64, v60, -v10
	s_add_u32 s0, s4, s0
	s_addc_u32 s1, s5, s1
	v_dual_mul_f32 v4, s12, v6 :: v_dual_add_f32 v5, v1, v5
	v_lshlrev_b64 v[1:2], 3, v[2:3]
	s_delay_alu instid0(VALU_DEP_2) | instskip(NEXT) | instid1(VALU_DEP_2)
	v_dual_mul_f32 v3, s13, v6 :: v_dual_fmac_f32 v4, s13, v5
	v_add_co_u32 v1, vcc_lo, s0, v1
	s_delay_alu instid0(VALU_DEP_3) | instskip(NEXT) | instid1(VALU_DEP_3)
	v_add_co_ci_u32_e32 v2, vcc_lo, s1, v2, vcc_lo
	v_fma_f32 v3, s12, v5, -v3
	s_delay_alu instid0(VALU_DEP_3) | instskip(NEXT) | instid1(VALU_DEP_3)
	v_add_co_u32 v0, vcc_lo, v1, v0
	v_add_co_ci_u32_e32 v1, vcc_lo, 0, v2, vcc_lo
	global_store_b64 v[0:1], v[3:4], off
.LBB172_15:
	s_nop 0
	s_sendmsg sendmsg(MSG_DEALLOC_VGPRS)
	s_endpgm
	.section	.rodata,"a",@progbits
	.p2align	6, 0x0
	.amdhsa_kernel _ZL23rocblas_trmm_lTx_kernelILi16ELb1E19rocblas_complex_numIfEPKS1_KS3_KPS1_Ev13rocblas_fill_17rocblas_diagonal_iiT2_lPT3_llSB_llPT4_lli
		.amdhsa_group_segment_fixed_size 4096
		.amdhsa_private_segment_fixed_size 0
		.amdhsa_kernarg_size 108
		.amdhsa_user_sgpr_count 14
		.amdhsa_user_sgpr_dispatch_ptr 0
		.amdhsa_user_sgpr_queue_ptr 0
		.amdhsa_user_sgpr_kernarg_segment_ptr 1
		.amdhsa_user_sgpr_dispatch_id 0
		.amdhsa_user_sgpr_private_segment_size 0
		.amdhsa_wavefront_size32 1
		.amdhsa_uses_dynamic_stack 0
		.amdhsa_enable_private_segment 0
		.amdhsa_system_sgpr_workgroup_id_x 1
		.amdhsa_system_sgpr_workgroup_id_y 0
		.amdhsa_system_sgpr_workgroup_id_z 1
		.amdhsa_system_sgpr_workgroup_info 0
		.amdhsa_system_vgpr_workitem_id 1
		.amdhsa_next_free_vgpr 79
		.amdhsa_next_free_sgpr 32
		.amdhsa_reserve_vcc 1
		.amdhsa_float_round_mode_32 0
		.amdhsa_float_round_mode_16_64 0
		.amdhsa_float_denorm_mode_32 3
		.amdhsa_float_denorm_mode_16_64 3
		.amdhsa_dx10_clamp 1
		.amdhsa_ieee_mode 1
		.amdhsa_fp16_overflow 0
		.amdhsa_workgroup_processor_mode 1
		.amdhsa_memory_ordered 1
		.amdhsa_forward_progress 0
		.amdhsa_shared_vgpr_count 0
		.amdhsa_exception_fp_ieee_invalid_op 0
		.amdhsa_exception_fp_denorm_src 0
		.amdhsa_exception_fp_ieee_div_zero 0
		.amdhsa_exception_fp_ieee_overflow 0
		.amdhsa_exception_fp_ieee_underflow 0
		.amdhsa_exception_fp_ieee_inexact 0
		.amdhsa_exception_int_div_zero 0
	.end_amdhsa_kernel
	.section	.text._ZL23rocblas_trmm_lTx_kernelILi16ELb1E19rocblas_complex_numIfEPKS1_KS3_KPS1_Ev13rocblas_fill_17rocblas_diagonal_iiT2_lPT3_llSB_llPT4_lli,"axG",@progbits,_ZL23rocblas_trmm_lTx_kernelILi16ELb1E19rocblas_complex_numIfEPKS1_KS3_KPS1_Ev13rocblas_fill_17rocblas_diagonal_iiT2_lPT3_llSB_llPT4_lli,comdat
.Lfunc_end172:
	.size	_ZL23rocblas_trmm_lTx_kernelILi16ELb1E19rocblas_complex_numIfEPKS1_KS3_KPS1_Ev13rocblas_fill_17rocblas_diagonal_iiT2_lPT3_llSB_llPT4_lli, .Lfunc_end172-_ZL23rocblas_trmm_lTx_kernelILi16ELb1E19rocblas_complex_numIfEPKS1_KS3_KPS1_Ev13rocblas_fill_17rocblas_diagonal_iiT2_lPT3_llSB_llPT4_lli
                                        ; -- End function
	.section	.AMDGPU.csdata,"",@progbits
; Kernel info:
; codeLenInByte = 1608
; NumSgprs: 34
; NumVgprs: 79
; ScratchSize: 0
; MemoryBound: 0
; FloatMode: 240
; IeeeMode: 1
; LDSByteSize: 4096 bytes/workgroup (compile time only)
; SGPRBlocks: 4
; VGPRBlocks: 9
; NumSGPRsForWavesPerEU: 34
; NumVGPRsForWavesPerEU: 79
; Occupancy: 16
; WaveLimiterHint : 1
; COMPUTE_PGM_RSRC2:SCRATCH_EN: 0
; COMPUTE_PGM_RSRC2:USER_SGPR: 14
; COMPUTE_PGM_RSRC2:TRAP_HANDLER: 0
; COMPUTE_PGM_RSRC2:TGID_X_EN: 1
; COMPUTE_PGM_RSRC2:TGID_Y_EN: 0
; COMPUTE_PGM_RSRC2:TGID_Z_EN: 1
; COMPUTE_PGM_RSRC2:TIDIG_COMP_CNT: 1
	.section	.text._ZL23rocblas_trmm_lTx_kernelILi16ELb1E19rocblas_complex_numIfES1_KPKS1_KPS1_Ev13rocblas_fill_17rocblas_diagonal_iiT2_lPT3_llSB_llPT4_lli,"axG",@progbits,_ZL23rocblas_trmm_lTx_kernelILi16ELb1E19rocblas_complex_numIfES1_KPKS1_KPS1_Ev13rocblas_fill_17rocblas_diagonal_iiT2_lPT3_llSB_llPT4_lli,comdat
	.globl	_ZL23rocblas_trmm_lTx_kernelILi16ELb1E19rocblas_complex_numIfES1_KPKS1_KPS1_Ev13rocblas_fill_17rocblas_diagonal_iiT2_lPT3_llSB_llPT4_lli ; -- Begin function _ZL23rocblas_trmm_lTx_kernelILi16ELb1E19rocblas_complex_numIfES1_KPKS1_KPS1_Ev13rocblas_fill_17rocblas_diagonal_iiT2_lPT3_llSB_llPT4_lli
	.p2align	8
	.type	_ZL23rocblas_trmm_lTx_kernelILi16ELb1E19rocblas_complex_numIfES1_KPKS1_KPS1_Ev13rocblas_fill_17rocblas_diagonal_iiT2_lPT3_llSB_llPT4_lli,@function
_ZL23rocblas_trmm_lTx_kernelILi16ELb1E19rocblas_complex_numIfES1_KPKS1_KPS1_Ev13rocblas_fill_17rocblas_diagonal_iiT2_lPT3_llSB_llPT4_lli: ; @_ZL23rocblas_trmm_lTx_kernelILi16ELb1E19rocblas_complex_numIfES1_KPKS1_KPS1_Ev13rocblas_fill_17rocblas_diagonal_iiT2_lPT3_llSB_llPT4_lli
; %bb.0:
	s_load_b64 s[8:9], s[0:1], 0x10
	s_waitcnt lgkmcnt(0)
	v_cmp_neq_f32_e64 s3, s8, 0
	v_cmp_neq_f32_e64 s4, s9, 0
	s_delay_alu instid0(VALU_DEP_1) | instskip(NEXT) | instid1(SALU_CYCLE_1)
	s_or_b32 s3, s3, s4
	s_and_not1_b32 vcc_lo, exec_lo, s3
	s_mov_b32 s3, 0
	s_cbranch_vccnz .LBB173_15
; %bb.1:
	s_clause 0x1
	s_load_b512 s[16:31], s[0:1], 0x20
	s_load_b128 s[4:7], s[0:1], 0x0
	s_mov_b32 s2, s15
	v_bfe_u32 v1, v0, 10, 10
	s_lshl_b64 s[10:11], s[2:3], 3
	s_mov_b32 s2, s3
	v_and_b32_e32 v4, 0x3ff, v0
	v_dual_mov_b32 v6, s3 :: v_dual_mov_b32 v5, s2
	v_lshlrev_b32_e32 v2, 4, v1
	s_delay_alu instid0(VALU_DEP_3) | instskip(NEXT) | instid1(VALU_DEP_2)
	v_lshlrev_b32_e32 v0, 3, v4
	v_add_lshl_u32 v3, v2, v4, 3
	s_waitcnt lgkmcnt(0)
	s_add_u32 s12, s16, s10
	s_addc_u32 s13, s17, s11
	s_add_u32 s22, s22, s10
	s_addc_u32 s23, s23, s11
	;; [unrolled: 2-line block ×3, first 2 shown]
	s_load_b64 s[16:17], s[12:13], 0x0
	s_load_b64 s[12:13], s[22:23], 0x0
	;; [unrolled: 1-line block ×3, first 2 shown]
	v_cmp_gt_i32_e64 s2, s6, v1
	v_cmp_gt_i32_e32 vcc_lo, s6, v4
	ds_store_2addr_stride64_b64 v3, v[5:6], v[5:6] offset1:4
	s_waitcnt lgkmcnt(0)
	s_barrier
	buffer_gl0_inv
	s_and_b32 s2, s2, vcc_lo
	s_delay_alu instid0(SALU_CYCLE_1)
	s_and_saveexec_b32 s3, s2
	s_cbranch_execz .LBB173_3
; %bb.2:
	v_mad_u64_u32 v[5:6], null, v1, s18, 0
	s_delay_alu instid0(VALU_DEP_1) | instskip(SKIP_1) | instid1(SALU_CYCLE_1)
	v_mad_u64_u32 v[7:8], null, v1, s19, v[6:7]
	s_lshl_b64 s[18:19], s[20:21], 3
	s_add_u32 s2, s16, s18
	s_addc_u32 s6, s17, s19
	s_delay_alu instid0(VALU_DEP_1) | instskip(NEXT) | instid1(VALU_DEP_1)
	v_dual_mov_b32 v6, v7 :: v_dual_lshlrev_b32 v7, 4, v4
	v_lshlrev_b64 v[5:6], 3, v[5:6]
	s_delay_alu instid0(VALU_DEP_2) | instskip(NEXT) | instid1(VALU_DEP_2)
	v_add_lshl_u32 v7, v7, v1, 3
	v_add_co_u32 v5, s2, s2, v5
	s_delay_alu instid0(VALU_DEP_1) | instskip(NEXT) | instid1(VALU_DEP_2)
	v_add_co_ci_u32_e64 v6, s2, s6, v6, s2
	v_add_co_u32 v5, s2, v5, v0
	s_delay_alu instid0(VALU_DEP_1)
	v_add_co_ci_u32_e64 v6, s2, 0, v6, s2
	global_load_b64 v[5:6], v[5:6], off
	s_waitcnt vmcnt(0)
	v_xor_b32_e32 v6, 0x80000000, v6
	ds_store_b64 v7, v[5:6]
.LBB173_3:
	s_or_b32 exec_lo, exec_lo, s3
	s_add_i32 s2, s7, -1
	s_delay_alu instid0(SALU_CYCLE_1) | instskip(NEXT) | instid1(SALU_CYCLE_1)
	s_ashr_i32 s3, s2, 31
	s_lshr_b32 s3, s3, 28
	s_delay_alu instid0(SALU_CYCLE_1) | instskip(NEXT) | instid1(SALU_CYCLE_1)
	s_add_i32 s2, s2, s3
	s_and_b32 s3, s2, -16
	s_ashr_i32 s2, s2, 4
	s_sub_i32 s3, s7, s3
	s_cmp_ge_i32 s14, s2
	s_cselect_b32 s2, s3, 16
	s_lshl_b32 s3, s14, 4
	v_cmp_gt_i32_e64 s2, s2, v1
	s_ashr_i32 s6, s3, 31
	s_delay_alu instid0(VALU_DEP_1) | instskip(NEXT) | instid1(SALU_CYCLE_1)
	s_and_b32 s2, vcc_lo, s2
	s_and_saveexec_b32 s7, s2
	s_cbranch_execz .LBB173_5
; %bb.4:
	v_mad_u64_u32 v[5:6], null, v1, s24, 0
	s_lshl_b64 s[14:15], s[26:27], 3
	s_mul_i32 s16, s3, s25
	s_mul_hi_u32 s17, s3, s24
	s_add_u32 s14, s12, s14
	s_mul_i32 s18, s6, s24
	s_addc_u32 s15, s13, s15
	s_delay_alu instid0(VALU_DEP_1) | instskip(SKIP_3) | instid1(SALU_CYCLE_1)
	v_mad_u64_u32 v[7:8], null, v1, s25, v[6:7]
	s_add_i32 s13, s17, s16
	s_mul_i32 s12, s3, s24
	s_add_i32 s13, s13, s18
	s_lshl_b64 s[12:13], s[12:13], 3
	s_delay_alu instid0(SALU_CYCLE_1) | instskip(NEXT) | instid1(VALU_DEP_1)
	s_add_u32 s12, s14, s12
	v_dual_mov_b32 v6, v7 :: v_dual_add_nc_u32 v7, 0x800, v3
	s_addc_u32 s13, s15, s13
	s_delay_alu instid0(VALU_DEP_1) | instskip(NEXT) | instid1(VALU_DEP_1)
	v_lshlrev_b64 v[5:6], 3, v[5:6]
	v_add_co_u32 v5, vcc_lo, s12, v5
	s_delay_alu instid0(VALU_DEP_2) | instskip(NEXT) | instid1(VALU_DEP_2)
	v_add_co_ci_u32_e32 v6, vcc_lo, s13, v6, vcc_lo
	v_add_co_u32 v5, vcc_lo, v5, v0
	s_delay_alu instid0(VALU_DEP_2)
	v_add_co_ci_u32_e32 v6, vcc_lo, 0, v6, vcc_lo
	global_load_b64 v[5:6], v[5:6], off
	s_waitcnt vmcnt(0)
	ds_store_b64 v7, v[5:6]
.LBB173_5:
	s_or_b32 exec_lo, exec_lo, s7
	v_cmp_eq_u32_e32 vcc_lo, v1, v4
	s_cmpk_eq_i32 s5, 0x84
	s_cselect_b32 s5, -1, 0
	s_delay_alu instid0(SALU_CYCLE_1) | instskip(NEXT) | instid1(SALU_CYCLE_1)
	s_and_b32 s7, vcc_lo, s5
	s_and_saveexec_b32 s5, s7
	s_cbranch_execz .LBB173_7
; %bb.6:
	v_dual_mov_b32 v5, 1.0 :: v_dual_mov_b32 v6, 0
	ds_store_b64 v3, v[5:6]
.LBB173_7:
	s_or_b32 exec_lo, exec_lo, s5
	s_cmpk_lg_i32 s4, 0x7a
	s_waitcnt lgkmcnt(0)
	s_barrier
	buffer_gl0_inv
	s_cbranch_scc0 .LBB173_9
; %bb.8:
	v_cmp_lt_u32_e32 vcc_lo, v4, v1
	s_and_b32 s4, vcc_lo, exec_lo
	s_cbranch_execz .LBB173_10
	s_branch .LBB173_11
.LBB173_9:
	s_mov_b32 s4, 0
.LBB173_10:
	v_cmp_gt_u32_e32 vcc_lo, v4, v1
	s_and_not1_b32 s4, s4, exec_lo
	s_and_b32 s5, vcc_lo, exec_lo
	s_delay_alu instid0(SALU_CYCLE_1)
	s_or_b32 s4, s4, s5
.LBB173_11:
	s_delay_alu instid0(SALU_CYCLE_1)
	s_and_saveexec_b32 s5, s4
	s_cbranch_execz .LBB173_13
; %bb.12:
	v_mov_b32_e32 v4, 0
	s_delay_alu instid0(VALU_DEP_1)
	v_mov_b32_e32 v5, v4
	ds_store_b64 v3, v[4:5]
.LBB173_13:
	s_or_b32 exec_lo, exec_lo, s5
	s_waitcnt lgkmcnt(0)
	s_barrier
	buffer_gl0_inv
	s_and_saveexec_b32 s4, s2
	s_cbranch_execz .LBB173_15
; %bb.14:
	v_lshlrev_b32_e32 v62, 3, v2
	s_load_b64 s[0:1], s[0:1], 0x60
	s_mul_i32 s2, s3, s31
	s_mul_i32 s6, s6, s30
	ds_load_2addr_b64 v[2:5], v0 offset1:16
	ds_load_b128 v[6:9], v62 offset:2048
	ds_load_2addr_b64 v[10:13], v0 offset0:32 offset1:48
	ds_load_b128 v[14:17], v62 offset:2064
	ds_load_2addr_b64 v[18:21], v0 offset0:64 offset1:80
	;; [unrolled: 2-line block ×6, first 2 shown]
	ds_load_b128 v[54:57], v62 offset:2144
	s_waitcnt lgkmcnt(0)
	v_dual_mul_f32 v67, v8, v5 :: v_dual_mul_f32 v66, v6, v3
	v_dual_mul_f32 v69, v16, v13 :: v_dual_mul_f32 v68, v14, v11
	v_mul_f32_e32 v71, v24, v21
	s_delay_alu instid0(VALU_DEP_3) | instskip(SKIP_1) | instid1(VALU_DEP_4)
	v_dual_fmac_f32 v67, v9, v4 :: v_dual_fmac_f32 v66, v7, v2
	v_dual_mul_f32 v70, v22, v19 :: v_dual_mul_f32 v73, v32, v29
	v_fmac_f32_e32 v69, v17, v12
	s_delay_alu instid0(VALU_DEP_3) | instskip(SKIP_2) | instid1(VALU_DEP_3)
	v_dual_mul_f32 v3, v7, v3 :: v_dual_add_f32 v66, 0, v66
	v_dual_mul_f32 v78, v54, v51 :: v_dual_mul_f32 v5, v9, v5
	v_fmac_f32_e32 v68, v15, v10
	v_fma_f32 v2, v6, v2, -v3
	s_delay_alu instid0(VALU_DEP_4) | instskip(SKIP_3) | instid1(VALU_DEP_4)
	v_add_f32_e32 v9, v66, v67
	v_mul_f32_e32 v3, v15, v11
	v_fma_f32 v4, v8, v4, -v5
	v_mul_f32_e32 v6, v17, v13
	v_dual_add_f32 v2, 0, v2 :: v_dual_add_f32 v5, v9, v68
	v_fmac_f32_e32 v70, v23, v18
	v_fma_f32 v3, v14, v10, -v3
	v_dual_mul_f32 v72, v30, v27 :: v_dual_mul_f32 v75, v40, v37
	s_delay_alu instid0(VALU_DEP_4) | instskip(SKIP_1) | instid1(VALU_DEP_3)
	v_add_f32_e32 v2, v2, v4
	v_dual_mul_f32 v4, v23, v19 :: v_dual_add_f32 v5, v5, v69
	v_dual_fmac_f32 v71, v25, v20 :: v_dual_fmac_f32 v72, v31, v26
	v_fma_f32 v6, v16, v12, -v6
	s_delay_alu instid0(VALU_DEP_3) | instskip(SKIP_3) | instid1(VALU_DEP_4)
	v_dual_add_f32 v2, v2, v3 :: v_dual_add_f32 v5, v5, v70
	v_mul_f32_e32 v3, v25, v21
	v_fma_f32 v4, v22, v18, -v4
	v_dual_mul_f32 v74, v38, v35 :: v_dual_mul_f32 v77, v48, v45
	v_dual_add_f32 v2, v2, v6 :: v_dual_add_f32 v5, v5, v71
	v_dual_mul_f32 v6, v31, v27 :: v_dual_fmac_f32 v73, v33, v28
	v_fma_f32 v3, v24, v20, -v3
	s_delay_alu instid0(VALU_DEP_3) | instskip(NEXT) | instid1(VALU_DEP_4)
	v_add_f32_e32 v2, v2, v4
	v_dual_add_f32 v5, v5, v72 :: v_dual_fmac_f32 v74, v39, v34
	v_mul_f32_e32 v4, v33, v29
	v_fma_f32 v6, v30, v26, -v6
	s_delay_alu instid0(VALU_DEP_3) | instskip(SKIP_2) | instid1(VALU_DEP_3)
	v_dual_add_f32 v2, v2, v3 :: v_dual_add_f32 v5, v5, v73
	v_dual_mul_f32 v76, v46, v43 :: v_dual_mul_f32 v7, v56, v53
	v_mul_f32_e32 v3, v39, v35
	v_dual_fmac_f32 v75, v41, v36 :: v_dual_add_f32 v2, v2, v6
	v_fma_f32 v4, v32, v28, -v4
	v_add_f32_e32 v5, v5, v74
	ds_load_2addr_b64 v[58:61], v0 offset0:224 offset1:240
	ds_load_b128 v[62:65], v62 offset:2160
	v_mul_f32_e32 v6, v41, v37
	v_fma_f32 v3, v38, v34, -v3
	v_add_f32_e32 v2, v2, v4
	v_dual_fmac_f32 v76, v47, v42 :: v_dual_add_f32 v5, v5, v75
	v_dual_mul_f32 v4, v47, v43 :: v_dual_fmac_f32 v77, v49, v44
	v_fma_f32 v6, v40, v36, -v6
	s_delay_alu instid0(VALU_DEP_3) | instskip(SKIP_1) | instid1(VALU_DEP_4)
	v_dual_add_f32 v2, v2, v3 :: v_dual_add_f32 v5, v5, v76
	v_dual_mul_f32 v3, v49, v45 :: v_dual_fmac_f32 v78, v55, v50
	v_fma_f32 v4, v46, v42, -v4
	s_delay_alu instid0(VALU_DEP_3) | instskip(SKIP_1) | instid1(VALU_DEP_4)
	v_dual_add_f32 v2, v2, v6 :: v_dual_add_f32 v5, v5, v77
	v_fmac_f32_e32 v7, v57, v52
	v_fma_f32 v3, v48, v44, -v3
	v_mul_f32_e32 v8, v57, v53
	s_delay_alu instid0(VALU_DEP_4)
	v_dual_add_f32 v2, v2, v4 :: v_dual_add_f32 v5, v5, v78
	v_mul_f32_e32 v4, v55, v51
	s_waitcnt lgkmcnt(0)
	v_dual_mul_f32 v6, v62, v59 :: v_dual_mul_f32 v9, v64, v61
	s_lshl_b64 s[0:1], s[0:1], 3
	v_add_f32_e32 v5, v5, v7
	s_delay_alu instid0(VALU_DEP_2) | instskip(SKIP_4) | instid1(VALU_DEP_3)
	v_dual_add_f32 v7, v2, v3 :: v_dual_fmac_f32 v6, v63, v58
	v_fma_f32 v4, v54, v50, -v4
	v_mad_u64_u32 v[2:3], null, v1, s30, 0
	v_fmac_f32_e32 v9, v65, v60
	s_add_u32 s4, s10, s0
	v_add_f32_e32 v4, v7, v4
	v_fma_f32 v7, v56, v52, -v8
	v_mul_f32_e32 v8, v63, v59
	s_mul_hi_u32 s0, s3, s30
	s_addc_u32 s5, s11, s1
	s_add_i32 s0, s0, s2
	v_add_f32_e32 v7, v4, v7
	v_fma_f32 v8, v62, v58, -v8
	v_add_f32_e32 v6, v5, v6
	v_mad_u64_u32 v[4:5], null, v1, s31, v[3:4]
	s_add_i32 s1, s0, s6
	s_delay_alu instid0(VALU_DEP_2) | instskip(SKIP_2) | instid1(VALU_DEP_3)
	v_dual_add_f32 v1, v7, v8 :: v_dual_add_f32 v6, v6, v9
	v_mul_f32_e32 v10, v65, v61
	s_mul_i32 s0, s3, s30
	v_mov_b32_e32 v3, v4
	s_lshl_b64 s[0:1], s[0:1], 3
	s_delay_alu instid0(VALU_DEP_2) | instskip(SKIP_2) | instid1(VALU_DEP_1)
	v_fma_f32 v5, v64, v60, -v10
	s_add_u32 s0, s4, s0
	s_addc_u32 s1, s5, s1
	v_dual_mul_f32 v4, s8, v6 :: v_dual_add_f32 v5, v1, v5
	v_lshlrev_b64 v[1:2], 3, v[2:3]
	s_delay_alu instid0(VALU_DEP_2) | instskip(NEXT) | instid1(VALU_DEP_2)
	v_dual_mul_f32 v3, s9, v6 :: v_dual_fmac_f32 v4, s9, v5
	v_add_co_u32 v1, vcc_lo, s0, v1
	s_delay_alu instid0(VALU_DEP_3) | instskip(NEXT) | instid1(VALU_DEP_3)
	v_add_co_ci_u32_e32 v2, vcc_lo, s1, v2, vcc_lo
	v_fma_f32 v3, s8, v5, -v3
	s_delay_alu instid0(VALU_DEP_3) | instskip(NEXT) | instid1(VALU_DEP_3)
	v_add_co_u32 v0, vcc_lo, v1, v0
	v_add_co_ci_u32_e32 v1, vcc_lo, 0, v2, vcc_lo
	global_store_b64 v[0:1], v[3:4], off
.LBB173_15:
	s_nop 0
	s_sendmsg sendmsg(MSG_DEALLOC_VGPRS)
	s_endpgm
	.section	.rodata,"a",@progbits
	.p2align	6, 0x0
	.amdhsa_kernel _ZL23rocblas_trmm_lTx_kernelILi16ELb1E19rocblas_complex_numIfES1_KPKS1_KPS1_Ev13rocblas_fill_17rocblas_diagonal_iiT2_lPT3_llSB_llPT4_lli
		.amdhsa_group_segment_fixed_size 4096
		.amdhsa_private_segment_fixed_size 0
		.amdhsa_kernarg_size 108
		.amdhsa_user_sgpr_count 14
		.amdhsa_user_sgpr_dispatch_ptr 0
		.amdhsa_user_sgpr_queue_ptr 0
		.amdhsa_user_sgpr_kernarg_segment_ptr 1
		.amdhsa_user_sgpr_dispatch_id 0
		.amdhsa_user_sgpr_private_segment_size 0
		.amdhsa_wavefront_size32 1
		.amdhsa_uses_dynamic_stack 0
		.amdhsa_enable_private_segment 0
		.amdhsa_system_sgpr_workgroup_id_x 1
		.amdhsa_system_sgpr_workgroup_id_y 0
		.amdhsa_system_sgpr_workgroup_id_z 1
		.amdhsa_system_sgpr_workgroup_info 0
		.amdhsa_system_vgpr_workitem_id 1
		.amdhsa_next_free_vgpr 79
		.amdhsa_next_free_sgpr 32
		.amdhsa_reserve_vcc 1
		.amdhsa_float_round_mode_32 0
		.amdhsa_float_round_mode_16_64 0
		.amdhsa_float_denorm_mode_32 3
		.amdhsa_float_denorm_mode_16_64 3
		.amdhsa_dx10_clamp 1
		.amdhsa_ieee_mode 1
		.amdhsa_fp16_overflow 0
		.amdhsa_workgroup_processor_mode 1
		.amdhsa_memory_ordered 1
		.amdhsa_forward_progress 0
		.amdhsa_shared_vgpr_count 0
		.amdhsa_exception_fp_ieee_invalid_op 0
		.amdhsa_exception_fp_denorm_src 0
		.amdhsa_exception_fp_ieee_div_zero 0
		.amdhsa_exception_fp_ieee_overflow 0
		.amdhsa_exception_fp_ieee_underflow 0
		.amdhsa_exception_fp_ieee_inexact 0
		.amdhsa_exception_int_div_zero 0
	.end_amdhsa_kernel
	.section	.text._ZL23rocblas_trmm_lTx_kernelILi16ELb1E19rocblas_complex_numIfES1_KPKS1_KPS1_Ev13rocblas_fill_17rocblas_diagonal_iiT2_lPT3_llSB_llPT4_lli,"axG",@progbits,_ZL23rocblas_trmm_lTx_kernelILi16ELb1E19rocblas_complex_numIfES1_KPKS1_KPS1_Ev13rocblas_fill_17rocblas_diagonal_iiT2_lPT3_llSB_llPT4_lli,comdat
.Lfunc_end173:
	.size	_ZL23rocblas_trmm_lTx_kernelILi16ELb1E19rocblas_complex_numIfES1_KPKS1_KPS1_Ev13rocblas_fill_17rocblas_diagonal_iiT2_lPT3_llSB_llPT4_lli, .Lfunc_end173-_ZL23rocblas_trmm_lTx_kernelILi16ELb1E19rocblas_complex_numIfES1_KPKS1_KPS1_Ev13rocblas_fill_17rocblas_diagonal_iiT2_lPT3_llSB_llPT4_lli
                                        ; -- End function
	.section	.AMDGPU.csdata,"",@progbits
; Kernel info:
; codeLenInByte = 1564
; NumSgprs: 34
; NumVgprs: 79
; ScratchSize: 0
; MemoryBound: 0
; FloatMode: 240
; IeeeMode: 1
; LDSByteSize: 4096 bytes/workgroup (compile time only)
; SGPRBlocks: 4
; VGPRBlocks: 9
; NumSGPRsForWavesPerEU: 34
; NumVGPRsForWavesPerEU: 79
; Occupancy: 16
; WaveLimiterHint : 1
; COMPUTE_PGM_RSRC2:SCRATCH_EN: 0
; COMPUTE_PGM_RSRC2:USER_SGPR: 14
; COMPUTE_PGM_RSRC2:TRAP_HANDLER: 0
; COMPUTE_PGM_RSRC2:TGID_X_EN: 1
; COMPUTE_PGM_RSRC2:TGID_Y_EN: 0
; COMPUTE_PGM_RSRC2:TGID_Z_EN: 1
; COMPUTE_PGM_RSRC2:TIDIG_COMP_CNT: 1
	.section	.text._ZL23rocblas_trmm_rNx_kernelILi16E19rocblas_complex_numIfEPKS1_KS3_KPS1_Ev13rocblas_fill_17rocblas_diagonal_iiT1_lPT2_llSB_llPT3_lli,"axG",@progbits,_ZL23rocblas_trmm_rNx_kernelILi16E19rocblas_complex_numIfEPKS1_KS3_KPS1_Ev13rocblas_fill_17rocblas_diagonal_iiT1_lPT2_llSB_llPT3_lli,comdat
	.globl	_ZL23rocblas_trmm_rNx_kernelILi16E19rocblas_complex_numIfEPKS1_KS3_KPS1_Ev13rocblas_fill_17rocblas_diagonal_iiT1_lPT2_llSB_llPT3_lli ; -- Begin function _ZL23rocblas_trmm_rNx_kernelILi16E19rocblas_complex_numIfEPKS1_KS3_KPS1_Ev13rocblas_fill_17rocblas_diagonal_iiT1_lPT2_llSB_llPT3_lli
	.p2align	8
	.type	_ZL23rocblas_trmm_rNx_kernelILi16E19rocblas_complex_numIfEPKS1_KS3_KPS1_Ev13rocblas_fill_17rocblas_diagonal_iiT1_lPT2_llSB_llPT3_lli,@function
_ZL23rocblas_trmm_rNx_kernelILi16E19rocblas_complex_numIfEPKS1_KS3_KPS1_Ev13rocblas_fill_17rocblas_diagonal_iiT1_lPT2_llSB_llPT3_lli: ; @_ZL23rocblas_trmm_rNx_kernelILi16E19rocblas_complex_numIfEPKS1_KS3_KPS1_Ev13rocblas_fill_17rocblas_diagonal_iiT1_lPT2_llSB_llPT3_lli
; %bb.0:
	s_load_b512 s[16:31], s[0:1], 0x10
	s_mov_b32 s35, 0
	s_waitcnt lgkmcnt(0)
	s_mul_i32 s3, s15, s19
	s_mul_hi_u32 s4, s15, s18
	s_mul_i32 s2, s15, s18
	s_add_i32 s3, s4, s3
	s_delay_alu instid0(SALU_CYCLE_1) | instskip(NEXT) | instid1(SALU_CYCLE_1)
	s_lshl_b64 s[2:3], s[2:3], 3
	s_add_u32 s2, s16, s2
	s_addc_u32 s3, s17, s3
	s_load_b64 s[12:13], s[2:3], 0x0
	s_waitcnt lgkmcnt(0)
	v_cmp_neq_f32_e64 s2, s12, 0
	v_cmp_neq_f32_e64 s3, s13, 0
	s_delay_alu instid0(VALU_DEP_1) | instskip(NEXT) | instid1(SALU_CYCLE_1)
	s_or_b32 s2, s2, s3
	s_and_not1_b32 vcc_lo, exec_lo, s2
	s_cbranch_vccnz .LBB174_15
; %bb.1:
	s_clause 0x1
	s_load_b128 s[4:7], s[0:1], 0x50
	s_load_b128 s[8:11], s[0:1], 0x0
	s_mov_b32 s34, s15
	v_bfe_u32 v1, v0, 10, 10
	s_lshl_b64 s[18:19], s[34:35], 3
	s_mov_b32 s34, s35
	s_add_u32 s2, s26, s18
	s_addc_u32 s3, s27, s19
	v_dual_mov_b32 v5, s34 :: v_dual_and_b32 v4, 0x3ff, v0
	v_lshlrev_b32_e32 v2, 4, v1
	v_mov_b32_e32 v6, s35
	s_delay_alu instid0(VALU_DEP_3) | instskip(NEXT) | instid1(VALU_DEP_3)
	v_lshlrev_b32_e32 v0, 3, v4
	v_add_lshl_u32 v3, v2, v4, 3
	s_waitcnt lgkmcnt(0)
	s_add_u32 s4, s4, s18
	s_addc_u32 s5, s5, s19
	s_load_b64 s[16:17], s[2:3], 0x0
	s_load_b64 s[4:5], s[4:5], 0x0
	v_cmp_gt_i32_e32 vcc_lo, s11, v1
	v_cmp_gt_i32_e64 s2, s11, v4
	ds_store_2addr_stride64_b64 v3, v[5:6], v[5:6] offset1:4
	s_and_b32 s2, vcc_lo, s2
	s_delay_alu instid0(SALU_CYCLE_1)
	s_and_saveexec_b32 s3, s2
	s_cbranch_execz .LBB174_3
; %bb.2:
	v_mad_u64_u32 v[5:6], null, v1, s22, 0
	s_add_u32 s18, s20, s18
	s_addc_u32 s19, s21, s19
	s_lshl_b64 s[20:21], s[24:25], 3
	s_load_b64 s[18:19], s[18:19], 0x0
	s_delay_alu instid0(VALU_DEP_1) | instskip(NEXT) | instid1(VALU_DEP_1)
	v_mad_u64_u32 v[7:8], null, v1, s23, v[6:7]
	v_mov_b32_e32 v6, v7
	s_delay_alu instid0(VALU_DEP_1) | instskip(SKIP_3) | instid1(VALU_DEP_1)
	v_lshlrev_b64 v[5:6], 3, v[5:6]
	s_waitcnt lgkmcnt(0)
	s_add_u32 s2, s18, s20
	s_addc_u32 s11, s19, s21
	v_add_co_u32 v5, s2, s2, v5
	s_delay_alu instid0(VALU_DEP_1) | instskip(NEXT) | instid1(VALU_DEP_2)
	v_add_co_ci_u32_e64 v6, s2, s11, v6, s2
	v_add_co_u32 v5, s2, v5, v0
	s_delay_alu instid0(VALU_DEP_1)
	v_add_co_ci_u32_e64 v6, s2, 0, v6, s2
	global_load_b64 v[5:6], v[5:6], off
	s_waitcnt vmcnt(0)
	ds_store_b64 v3, v[5:6]
.LBB174_3:
	s_or_b32 exec_lo, exec_lo, s3
	s_add_i32 s2, s10, -1
	s_delay_alu instid0(SALU_CYCLE_1) | instskip(NEXT) | instid1(SALU_CYCLE_1)
	s_ashr_i32 s3, s2, 31
	s_lshr_b32 s3, s3, 28
	s_delay_alu instid0(SALU_CYCLE_1) | instskip(NEXT) | instid1(SALU_CYCLE_1)
	s_add_i32 s2, s2, s3
	s_and_b32 s3, s2, -16
	s_ashr_i32 s2, s2, 4
	s_sub_i32 s3, s10, s3
	s_cmp_ge_i32 s14, s2
	s_cselect_b32 s2, s3, 16
	s_lshl_b32 s10, s14, 4
	v_cmp_gt_i32_e64 s2, s2, v4
	s_ashr_i32 s11, s10, 31
	s_delay_alu instid0(VALU_DEP_1) | instskip(NEXT) | instid1(SALU_CYCLE_1)
	s_and_b32 s2, vcc_lo, s2
	s_and_saveexec_b32 s3, s2
	s_cbranch_execz .LBB174_5
; %bb.4:
	v_mad_u64_u32 v[5:6], null, v1, s28, 0
	s_lshl_b64 s[14:15], s[30:31], 3
	s_waitcnt lgkmcnt(0)
	s_add_u32 s16, s16, s14
	s_addc_u32 s17, s17, s15
	s_lshl_b64 s[14:15], s[10:11], 3
	s_delay_alu instid0(SALU_CYCLE_1) | instskip(NEXT) | instid1(VALU_DEP_1)
	s_add_u32 s14, s16, s14
	v_mad_u64_u32 v[7:8], null, v1, s29, v[6:7]
	s_addc_u32 s15, s17, s15
	s_delay_alu instid0(VALU_DEP_1) | instskip(NEXT) | instid1(VALU_DEP_1)
	v_dual_mov_b32 v6, v7 :: v_dual_add_nc_u32 v7, 0x800, v3
	v_lshlrev_b64 v[5:6], 3, v[5:6]
	s_delay_alu instid0(VALU_DEP_1) | instskip(NEXT) | instid1(VALU_DEP_2)
	v_add_co_u32 v5, vcc_lo, s14, v5
	v_add_co_ci_u32_e32 v6, vcc_lo, s15, v6, vcc_lo
	s_delay_alu instid0(VALU_DEP_2) | instskip(NEXT) | instid1(VALU_DEP_2)
	v_add_co_u32 v5, vcc_lo, v5, v0
	v_add_co_ci_u32_e32 v6, vcc_lo, 0, v6, vcc_lo
	global_load_b64 v[5:6], v[5:6], off
	s_waitcnt vmcnt(0)
	ds_store_b64 v7, v[5:6]
.LBB174_5:
	s_or_b32 exec_lo, exec_lo, s3
	v_cmp_eq_u32_e32 vcc_lo, v1, v4
	s_cmpk_eq_i32 s9, 0x84
	s_cselect_b32 s3, -1, 0
	s_delay_alu instid0(SALU_CYCLE_1) | instskip(NEXT) | instid1(SALU_CYCLE_1)
	s_and_b32 s9, vcc_lo, s3
	s_and_saveexec_b32 s3, s9
	s_cbranch_execz .LBB174_7
; %bb.6:
	v_dual_mov_b32 v5, 1.0 :: v_dual_mov_b32 v6, 0
	ds_store_b64 v3, v[5:6]
.LBB174_7:
	s_or_b32 exec_lo, exec_lo, s3
	s_cmpk_lg_i32 s8, 0x79
	s_cbranch_scc0 .LBB174_9
; %bb.8:
	v_cmp_lt_u32_e32 vcc_lo, v4, v1
	s_and_b32 s3, vcc_lo, exec_lo
	s_cbranch_execz .LBB174_10
	s_branch .LBB174_11
.LBB174_9:
	s_mov_b32 s3, 0
.LBB174_10:
	v_cmp_gt_u32_e32 vcc_lo, v4, v1
	s_and_not1_b32 s3, s3, exec_lo
	s_and_b32 s8, vcc_lo, exec_lo
	s_delay_alu instid0(SALU_CYCLE_1)
	s_or_b32 s3, s3, s8
.LBB174_11:
	s_delay_alu instid0(SALU_CYCLE_1)
	s_and_saveexec_b32 s8, s3
	s_cbranch_execz .LBB174_13
; %bb.12:
	v_mov_b32_e32 v4, 0
	s_delay_alu instid0(VALU_DEP_1)
	v_mov_b32_e32 v5, v4
	ds_store_b64 v3, v[4:5]
.LBB174_13:
	s_or_b32 exec_lo, exec_lo, s8
	s_waitcnt lgkmcnt(0)
	s_barrier
	buffer_gl0_inv
	s_and_saveexec_b32 s3, s2
	s_cbranch_execz .LBB174_15
; %bb.14:
	v_add_nc_u32_e32 v62, 0x800, v0
	v_lshlrev_b32_e32 v58, 3, v2
	s_load_b64 s[0:1], s[0:1], 0x60
	ds_load_2addr_b64 v[2:5], v62 offset1:16
	ds_load_b128 v[6:9], v58
	ds_load_b128 v[10:13], v58 offset:16
	ds_load_2addr_b64 v[14:17], v62 offset0:32 offset1:48
	ds_load_2addr_b64 v[18:21], v62 offset0:64 offset1:80
	ds_load_b128 v[22:25], v58 offset:32
	ds_load_b128 v[26:29], v58 offset:48
	ds_load_2addr_b64 v[30:33], v62 offset0:96 offset1:112
	ds_load_2addr_b64 v[34:37], v62 offset0:128 offset1:144
	ds_load_b128 v[38:41], v58 offset:64
	;; [unrolled: 4-line block ×3, first 2 shown]
	s_waitcnt lgkmcnt(0)
	v_dual_mul_f32 v66, v6, v3 :: v_dual_mul_f32 v67, v8, v5
	v_mul_f32_e32 v3, v7, v3
	v_dual_mul_f32 v68, v10, v15 :: v_dual_mul_f32 v71, v24, v21
	s_delay_alu instid0(VALU_DEP_3) | instskip(SKIP_2) | instid1(VALU_DEP_3)
	v_dual_fmac_f32 v66, v7, v2 :: v_dual_mul_f32 v5, v9, v5
	v_dual_mul_f32 v69, v12, v17 :: v_dual_mul_f32 v74, v38, v35
	v_dual_fmac_f32 v67, v9, v4 :: v_dual_mul_f32 v76, v42, v47
	v_dual_add_f32 v7, 0, v66 :: v_dual_mul_f32 v66, v56, v53
	v_fma_f32 v2, v6, v2, -v3
	v_dual_mul_f32 v73, v28, v33 :: v_dual_fmac_f32 v68, v11, v14
	s_delay_alu instid0(VALU_DEP_3)
	v_add_f32_e32 v3, v7, v67
	v_dual_mul_f32 v6, v11, v15 :: v_dual_fmac_f32 v71, v25, v20
	v_fma_f32 v4, v8, v4, -v5
	v_add_f32_e32 v2, 0, v2
	v_dual_mul_f32 v70, v22, v19 :: v_dual_mul_f32 v75, v40, v37
	v_dual_mul_f32 v78, v54, v51 :: v_dual_fmac_f32 v69, v13, v16
	v_mul_f32_e32 v5, v13, v17
	v_fma_f32 v6, v10, v14, -v6
	v_add_f32_e32 v2, v2, v4
	v_add_f32_e32 v3, v3, v68
	v_dual_fmac_f32 v70, v23, v18 :: v_dual_fmac_f32 v73, v29, v32
	v_dual_mul_f32 v4, v23, v19 :: v_dual_fmac_f32 v75, v41, v36
	v_fma_f32 v5, v12, v16, -v5
	s_delay_alu instid0(VALU_DEP_4) | instskip(SKIP_1) | instid1(VALU_DEP_4)
	v_dual_add_f32 v2, v2, v6 :: v_dual_add_f32 v3, v3, v69
	v_mul_f32_e32 v6, v25, v21
	v_fma_f32 v4, v22, v18, -v4
	v_dual_mul_f32 v72, v26, v31 :: v_dual_mul_f32 v77, v44, v49
	s_delay_alu instid0(VALU_DEP_4) | instskip(NEXT) | instid1(VALU_DEP_4)
	v_dual_add_f32 v3, v3, v70 :: v_dual_add_f32 v2, v2, v5
	v_fma_f32 v6, v24, v20, -v6
	ds_load_b128 v[58:61], v58 offset:112
	ds_load_2addr_b64 v[62:65], v62 offset0:224 offset1:240
	v_fmac_f32_e32 v72, v27, v30
	v_add_f32_e32 v3, v3, v71
	v_dual_mul_f32 v5, v27, v31 :: v_dual_add_f32 v2, v2, v4
	v_mul_f32_e32 v4, v29, v33
	v_dual_fmac_f32 v74, v39, v34 :: v_dual_fmac_f32 v77, v45, v48
	s_delay_alu instid0(VALU_DEP_3) | instskip(NEXT) | instid1(VALU_DEP_4)
	v_fma_f32 v5, v26, v30, -v5
	v_add_f32_e32 v2, v2, v6
	v_dual_mul_f32 v6, v39, v35 :: v_dual_mul_f32 v7, v57, v53
	v_fma_f32 v4, v28, v32, -v4
	s_lshl_b64 s[0:1], s[0:1], 3
	s_delay_alu instid0(VALU_DEP_3)
	v_add_f32_e32 v2, v2, v5
	v_mul_f32_e32 v5, v41, v37
	v_add_f32_e32 v3, v3, v72
	v_fma_f32 v6, v38, v34, -v6
	s_add_u32 s2, s4, s0
	s_addc_u32 s3, s5, s1
	v_fma_f32 v5, v40, v36, -v5
	v_add_f32_e32 v3, v3, v73
	s_waitcnt lgkmcnt(0)
	v_dual_mul_f32 v9, v60, v65 :: v_dual_fmac_f32 v78, v55, v50
	v_mul_f32_e32 v10, v61, v65
	s_lshl_b64 s[0:1], s[10:11], 3
	v_add_f32_e32 v3, v3, v74
	s_delay_alu instid0(VALU_DEP_3)
	v_fmac_f32_e32 v9, v61, v64
	v_add_f32_e32 v2, v2, v4
	v_mul_f32_e32 v4, v43, v47
	s_add_u32 s0, s2, s0
	v_add_f32_e32 v3, v3, v75
	s_addc_u32 s1, s3, s1
	v_add_f32_e32 v2, v2, v6
	v_mul_f32_e32 v6, v45, v49
	v_fma_f32 v4, v42, v46, -v4
	v_fmac_f32_e32 v66, v57, v52
	s_delay_alu instid0(VALU_DEP_4) | instskip(NEXT) | instid1(VALU_DEP_4)
	v_dual_add_f32 v2, v2, v5 :: v_dual_mul_f32 v5, v55, v51
	v_fma_f32 v6, v44, v48, -v6
	s_delay_alu instid0(VALU_DEP_2) | instskip(NEXT) | instid1(VALU_DEP_3)
	v_add_f32_e32 v2, v2, v4
	v_fma_f32 v5, v54, v50, -v5
	v_mul_f32_e32 v4, v58, v63
	s_delay_alu instid0(VALU_DEP_3) | instskip(SKIP_1) | instid1(VALU_DEP_2)
	v_add_f32_e32 v6, v2, v6
	v_fmac_f32_e32 v76, v43, v46
	v_dual_fmac_f32 v4, v59, v62 :: v_dual_add_f32 v5, v6, v5
	s_delay_alu instid0(VALU_DEP_2) | instskip(SKIP_2) | instid1(VALU_DEP_2)
	v_add_f32_e32 v3, v3, v76
	v_fma_f32 v6, v56, v52, -v7
	v_mul_f32_e32 v7, v59, v63
	v_dual_add_f32 v3, v3, v77 :: v_dual_add_f32 v6, v5, v6
	s_delay_alu instid0(VALU_DEP_2) | instskip(NEXT) | instid1(VALU_DEP_2)
	v_fma_f32 v7, v58, v62, -v7
	v_add_f32_e32 v3, v3, v78
	s_delay_alu instid0(VALU_DEP_1) | instskip(SKIP_1) | instid1(VALU_DEP_2)
	v_add_f32_e32 v8, v3, v66
	v_mad_u64_u32 v[2:3], null, v1, s6, 0
	v_add_f32_e32 v8, v8, v4
	s_delay_alu instid0(VALU_DEP_2) | instskip(SKIP_2) | instid1(VALU_DEP_4)
	v_mad_u64_u32 v[4:5], null, v1, s7, v[3:4]
	v_add_f32_e32 v1, v6, v7
	v_fma_f32 v5, v60, v64, -v10
	v_add_f32_e32 v6, v8, v9
	s_delay_alu instid0(VALU_DEP_4) | instskip(NEXT) | instid1(VALU_DEP_2)
	v_mov_b32_e32 v3, v4
	v_dual_add_f32 v5, v1, v5 :: v_dual_mul_f32 v4, s12, v6
	s_delay_alu instid0(VALU_DEP_2) | instskip(NEXT) | instid1(VALU_DEP_2)
	v_lshlrev_b64 v[1:2], 3, v[2:3]
	v_dual_mul_f32 v3, s13, v6 :: v_dual_fmac_f32 v4, s13, v5
	s_delay_alu instid0(VALU_DEP_2) | instskip(NEXT) | instid1(VALU_DEP_3)
	v_add_co_u32 v1, vcc_lo, s0, v1
	v_add_co_ci_u32_e32 v2, vcc_lo, s1, v2, vcc_lo
	s_delay_alu instid0(VALU_DEP_3) | instskip(NEXT) | instid1(VALU_DEP_3)
	v_fma_f32 v3, s12, v5, -v3
	v_add_co_u32 v0, vcc_lo, v1, v0
	s_delay_alu instid0(VALU_DEP_3)
	v_add_co_ci_u32_e32 v1, vcc_lo, 0, v2, vcc_lo
	global_store_b64 v[0:1], v[3:4], off
.LBB174_15:
	s_nop 0
	s_sendmsg sendmsg(MSG_DEALLOC_VGPRS)
	s_endpgm
	.section	.rodata,"a",@progbits
	.p2align	6, 0x0
	.amdhsa_kernel _ZL23rocblas_trmm_rNx_kernelILi16E19rocblas_complex_numIfEPKS1_KS3_KPS1_Ev13rocblas_fill_17rocblas_diagonal_iiT1_lPT2_llSB_llPT3_lli
		.amdhsa_group_segment_fixed_size 4096
		.amdhsa_private_segment_fixed_size 0
		.amdhsa_kernarg_size 108
		.amdhsa_user_sgpr_count 14
		.amdhsa_user_sgpr_dispatch_ptr 0
		.amdhsa_user_sgpr_queue_ptr 0
		.amdhsa_user_sgpr_kernarg_segment_ptr 1
		.amdhsa_user_sgpr_dispatch_id 0
		.amdhsa_user_sgpr_private_segment_size 0
		.amdhsa_wavefront_size32 1
		.amdhsa_uses_dynamic_stack 0
		.amdhsa_enable_private_segment 0
		.amdhsa_system_sgpr_workgroup_id_x 1
		.amdhsa_system_sgpr_workgroup_id_y 0
		.amdhsa_system_sgpr_workgroup_id_z 1
		.amdhsa_system_sgpr_workgroup_info 0
		.amdhsa_system_vgpr_workitem_id 1
		.amdhsa_next_free_vgpr 79
		.amdhsa_next_free_sgpr 36
		.amdhsa_reserve_vcc 1
		.amdhsa_float_round_mode_32 0
		.amdhsa_float_round_mode_16_64 0
		.amdhsa_float_denorm_mode_32 3
		.amdhsa_float_denorm_mode_16_64 3
		.amdhsa_dx10_clamp 1
		.amdhsa_ieee_mode 1
		.amdhsa_fp16_overflow 0
		.amdhsa_workgroup_processor_mode 1
		.amdhsa_memory_ordered 1
		.amdhsa_forward_progress 0
		.amdhsa_shared_vgpr_count 0
		.amdhsa_exception_fp_ieee_invalid_op 0
		.amdhsa_exception_fp_denorm_src 0
		.amdhsa_exception_fp_ieee_div_zero 0
		.amdhsa_exception_fp_ieee_overflow 0
		.amdhsa_exception_fp_ieee_underflow 0
		.amdhsa_exception_fp_ieee_inexact 0
		.amdhsa_exception_int_div_zero 0
	.end_amdhsa_kernel
	.section	.text._ZL23rocblas_trmm_rNx_kernelILi16E19rocblas_complex_numIfEPKS1_KS3_KPS1_Ev13rocblas_fill_17rocblas_diagonal_iiT1_lPT2_llSB_llPT3_lli,"axG",@progbits,_ZL23rocblas_trmm_rNx_kernelILi16E19rocblas_complex_numIfEPKS1_KS3_KPS1_Ev13rocblas_fill_17rocblas_diagonal_iiT1_lPT2_llSB_llPT3_lli,comdat
.Lfunc_end174:
	.size	_ZL23rocblas_trmm_rNx_kernelILi16E19rocblas_complex_numIfEPKS1_KS3_KPS1_Ev13rocblas_fill_17rocblas_diagonal_iiT1_lPT2_llSB_llPT3_lli, .Lfunc_end174-_ZL23rocblas_trmm_rNx_kernelILi16E19rocblas_complex_numIfEPKS1_KS3_KPS1_Ev13rocblas_fill_17rocblas_diagonal_iiT1_lPT2_llSB_llPT3_lli
                                        ; -- End function
	.section	.AMDGPU.csdata,"",@progbits
; Kernel info:
; codeLenInByte = 1528
; NumSgprs: 38
; NumVgprs: 79
; ScratchSize: 0
; MemoryBound: 0
; FloatMode: 240
; IeeeMode: 1
; LDSByteSize: 4096 bytes/workgroup (compile time only)
; SGPRBlocks: 4
; VGPRBlocks: 9
; NumSGPRsForWavesPerEU: 38
; NumVGPRsForWavesPerEU: 79
; Occupancy: 16
; WaveLimiterHint : 1
; COMPUTE_PGM_RSRC2:SCRATCH_EN: 0
; COMPUTE_PGM_RSRC2:USER_SGPR: 14
; COMPUTE_PGM_RSRC2:TRAP_HANDLER: 0
; COMPUTE_PGM_RSRC2:TGID_X_EN: 1
; COMPUTE_PGM_RSRC2:TGID_Y_EN: 0
; COMPUTE_PGM_RSRC2:TGID_Z_EN: 1
; COMPUTE_PGM_RSRC2:TIDIG_COMP_CNT: 1
	.section	.text._ZL23rocblas_trmm_rNx_kernelILi16E19rocblas_complex_numIfES1_KPKS1_KPS1_Ev13rocblas_fill_17rocblas_diagonal_iiT1_lPT2_llSB_llPT3_lli,"axG",@progbits,_ZL23rocblas_trmm_rNx_kernelILi16E19rocblas_complex_numIfES1_KPKS1_KPS1_Ev13rocblas_fill_17rocblas_diagonal_iiT1_lPT2_llSB_llPT3_lli,comdat
	.globl	_ZL23rocblas_trmm_rNx_kernelILi16E19rocblas_complex_numIfES1_KPKS1_KPS1_Ev13rocblas_fill_17rocblas_diagonal_iiT1_lPT2_llSB_llPT3_lli ; -- Begin function _ZL23rocblas_trmm_rNx_kernelILi16E19rocblas_complex_numIfES1_KPKS1_KPS1_Ev13rocblas_fill_17rocblas_diagonal_iiT1_lPT2_llSB_llPT3_lli
	.p2align	8
	.type	_ZL23rocblas_trmm_rNx_kernelILi16E19rocblas_complex_numIfES1_KPKS1_KPS1_Ev13rocblas_fill_17rocblas_diagonal_iiT1_lPT2_llSB_llPT3_lli,@function
_ZL23rocblas_trmm_rNx_kernelILi16E19rocblas_complex_numIfES1_KPKS1_KPS1_Ev13rocblas_fill_17rocblas_diagonal_iiT1_lPT2_llSB_llPT3_lli: ; @_ZL23rocblas_trmm_rNx_kernelILi16E19rocblas_complex_numIfES1_KPKS1_KPS1_Ev13rocblas_fill_17rocblas_diagonal_iiT1_lPT2_llSB_llPT3_lli
; %bb.0:
	s_load_b64 s[8:9], s[0:1], 0x10
	s_mov_b32 s37, 0
	s_waitcnt lgkmcnt(0)
	v_cmp_neq_f32_e64 s2, s8, 0
	v_cmp_neq_f32_e64 s3, s9, 0
	s_delay_alu instid0(VALU_DEP_1) | instskip(NEXT) | instid1(SALU_CYCLE_1)
	s_or_b32 s2, s2, s3
	s_and_not1_b32 vcc_lo, exec_lo, s2
	s_cbranch_vccnz .LBB175_15
; %bb.1:
	s_clause 0x1
	s_load_b512 s[16:31], s[0:1], 0x20
	s_load_b128 s[4:7], s[0:1], 0x0
	s_mov_b32 s36, s15
	v_bfe_u32 v1, v0, 10, 10
	s_lshl_b64 s[34:35], s[36:37], 3
	s_mov_b32 s36, s37
	s_delay_alu instid0(SALU_CYCLE_1) | instskip(NEXT) | instid1(VALU_DEP_2)
	v_dual_mov_b32 v5, s36 :: v_dual_and_b32 v4, 0x3ff, v0
	v_lshlrev_b32_e32 v2, 4, v1
	v_mov_b32_e32 v6, s37
	s_delay_alu instid0(VALU_DEP_3) | instskip(NEXT) | instid1(VALU_DEP_3)
	v_lshlrev_b32_e32 v0, 3, v4
	v_add_lshl_u32 v3, v2, v4, 3
	s_waitcnt lgkmcnt(0)
	s_add_u32 s2, s22, s34
	s_addc_u32 s3, s23, s35
	s_add_u32 s10, s28, s34
	s_addc_u32 s11, s29, s35
	s_load_b64 s[12:13], s[2:3], 0x0
	s_load_b64 s[10:11], s[10:11], 0x0
	v_cmp_gt_i32_e32 vcc_lo, s7, v1
	v_cmp_gt_i32_e64 s2, s7, v4
	ds_store_2addr_stride64_b64 v3, v[5:6], v[5:6] offset1:4
	s_and_b32 s2, vcc_lo, s2
	s_delay_alu instid0(SALU_CYCLE_1)
	s_and_saveexec_b32 s3, s2
	s_cbranch_execz .LBB175_3
; %bb.2:
	v_mad_u64_u32 v[5:6], null, v1, s18, 0
	s_add_u32 s16, s16, s34
	s_addc_u32 s17, s17, s35
	s_load_b64 s[16:17], s[16:17], 0x0
	s_delay_alu instid0(VALU_DEP_1) | instskip(SKIP_1) | instid1(VALU_DEP_1)
	v_mad_u64_u32 v[7:8], null, v1, s19, v[6:7]
	s_lshl_b64 s[18:19], s[20:21], 3
	v_mov_b32_e32 v6, v7
	s_delay_alu instid0(VALU_DEP_1) | instskip(SKIP_3) | instid1(VALU_DEP_1)
	v_lshlrev_b64 v[5:6], 3, v[5:6]
	s_waitcnt lgkmcnt(0)
	s_add_u32 s2, s16, s18
	s_addc_u32 s7, s17, s19
	v_add_co_u32 v5, s2, s2, v5
	s_delay_alu instid0(VALU_DEP_1) | instskip(NEXT) | instid1(VALU_DEP_2)
	v_add_co_ci_u32_e64 v6, s2, s7, v6, s2
	v_add_co_u32 v5, s2, v5, v0
	s_delay_alu instid0(VALU_DEP_1)
	v_add_co_ci_u32_e64 v6, s2, 0, v6, s2
	global_load_b64 v[5:6], v[5:6], off
	s_waitcnt vmcnt(0)
	ds_store_b64 v3, v[5:6]
.LBB175_3:
	s_or_b32 exec_lo, exec_lo, s3
	s_add_i32 s2, s6, -1
	s_delay_alu instid0(SALU_CYCLE_1) | instskip(NEXT) | instid1(SALU_CYCLE_1)
	s_ashr_i32 s3, s2, 31
	s_lshr_b32 s3, s3, 28
	s_delay_alu instid0(SALU_CYCLE_1) | instskip(NEXT) | instid1(SALU_CYCLE_1)
	s_add_i32 s2, s2, s3
	s_and_b32 s3, s2, -16
	s_ashr_i32 s2, s2, 4
	s_sub_i32 s3, s6, s3
	s_cmp_ge_i32 s14, s2
	s_cselect_b32 s2, s3, 16
	s_lshl_b32 s6, s14, 4
	v_cmp_gt_i32_e64 s2, s2, v4
	s_ashr_i32 s7, s6, 31
	s_delay_alu instid0(VALU_DEP_1) | instskip(NEXT) | instid1(SALU_CYCLE_1)
	s_and_b32 s2, vcc_lo, s2
	s_and_saveexec_b32 s3, s2
	s_cbranch_execz .LBB175_5
; %bb.4:
	v_mad_u64_u32 v[5:6], null, v1, s24, 0
	s_lshl_b64 s[14:15], s[26:27], 3
	s_waitcnt lgkmcnt(0)
	s_add_u32 s14, s12, s14
	s_addc_u32 s15, s13, s15
	s_lshl_b64 s[12:13], s[6:7], 3
	s_delay_alu instid0(SALU_CYCLE_1) | instskip(NEXT) | instid1(VALU_DEP_1)
	s_add_u32 s12, s14, s12
	v_mad_u64_u32 v[7:8], null, v1, s25, v[6:7]
	s_addc_u32 s13, s15, s13
	s_delay_alu instid0(VALU_DEP_1) | instskip(NEXT) | instid1(VALU_DEP_1)
	v_dual_mov_b32 v6, v7 :: v_dual_add_nc_u32 v7, 0x800, v3
	v_lshlrev_b64 v[5:6], 3, v[5:6]
	s_delay_alu instid0(VALU_DEP_1) | instskip(NEXT) | instid1(VALU_DEP_2)
	v_add_co_u32 v5, vcc_lo, s12, v5
	v_add_co_ci_u32_e32 v6, vcc_lo, s13, v6, vcc_lo
	s_delay_alu instid0(VALU_DEP_2) | instskip(NEXT) | instid1(VALU_DEP_2)
	v_add_co_u32 v5, vcc_lo, v5, v0
	v_add_co_ci_u32_e32 v6, vcc_lo, 0, v6, vcc_lo
	global_load_b64 v[5:6], v[5:6], off
	s_waitcnt vmcnt(0)
	ds_store_b64 v7, v[5:6]
.LBB175_5:
	s_or_b32 exec_lo, exec_lo, s3
	v_cmp_eq_u32_e32 vcc_lo, v1, v4
	s_cmpk_eq_i32 s5, 0x84
	s_cselect_b32 s3, -1, 0
	s_delay_alu instid0(SALU_CYCLE_1) | instskip(NEXT) | instid1(SALU_CYCLE_1)
	s_and_b32 s5, vcc_lo, s3
	s_and_saveexec_b32 s3, s5
	s_cbranch_execz .LBB175_7
; %bb.6:
	v_dual_mov_b32 v5, 1.0 :: v_dual_mov_b32 v6, 0
	ds_store_b64 v3, v[5:6]
.LBB175_7:
	s_or_b32 exec_lo, exec_lo, s3
	s_cmpk_lg_i32 s4, 0x79
	s_cbranch_scc0 .LBB175_9
; %bb.8:
	v_cmp_lt_u32_e32 vcc_lo, v4, v1
	s_and_b32 s3, vcc_lo, exec_lo
	s_cbranch_execz .LBB175_10
	s_branch .LBB175_11
.LBB175_9:
	s_mov_b32 s3, 0
.LBB175_10:
	v_cmp_gt_u32_e32 vcc_lo, v4, v1
	s_and_not1_b32 s3, s3, exec_lo
	s_and_b32 s4, vcc_lo, exec_lo
	s_delay_alu instid0(SALU_CYCLE_1)
	s_or_b32 s3, s3, s4
.LBB175_11:
	s_delay_alu instid0(SALU_CYCLE_1)
	s_and_saveexec_b32 s4, s3
	s_cbranch_execz .LBB175_13
; %bb.12:
	v_mov_b32_e32 v4, 0
	s_delay_alu instid0(VALU_DEP_1)
	v_mov_b32_e32 v5, v4
	ds_store_b64 v3, v[4:5]
.LBB175_13:
	s_or_b32 exec_lo, exec_lo, s4
	s_waitcnt lgkmcnt(0)
	s_barrier
	buffer_gl0_inv
	s_and_saveexec_b32 s3, s2
	s_cbranch_execz .LBB175_15
; %bb.14:
	v_add_nc_u32_e32 v62, 0x800, v0
	v_lshlrev_b32_e32 v58, 3, v2
	s_load_b64 s[0:1], s[0:1], 0x60
	ds_load_2addr_b64 v[2:5], v62 offset1:16
	ds_load_b128 v[6:9], v58
	ds_load_b128 v[10:13], v58 offset:16
	ds_load_2addr_b64 v[14:17], v62 offset0:32 offset1:48
	ds_load_2addr_b64 v[18:21], v62 offset0:64 offset1:80
	ds_load_b128 v[22:25], v58 offset:32
	ds_load_b128 v[26:29], v58 offset:48
	ds_load_2addr_b64 v[30:33], v62 offset0:96 offset1:112
	ds_load_2addr_b64 v[34:37], v62 offset0:128 offset1:144
	ds_load_b128 v[38:41], v58 offset:64
	;; [unrolled: 4-line block ×3, first 2 shown]
	s_waitcnt lgkmcnt(0)
	v_dual_mul_f32 v66, v6, v3 :: v_dual_mul_f32 v67, v8, v5
	v_mul_f32_e32 v3, v7, v3
	v_dual_mul_f32 v68, v10, v15 :: v_dual_mul_f32 v71, v24, v21
	s_delay_alu instid0(VALU_DEP_3) | instskip(SKIP_2) | instid1(VALU_DEP_3)
	v_dual_fmac_f32 v66, v7, v2 :: v_dual_mul_f32 v5, v9, v5
	v_dual_mul_f32 v69, v12, v17 :: v_dual_mul_f32 v74, v38, v35
	v_dual_fmac_f32 v67, v9, v4 :: v_dual_mul_f32 v76, v42, v47
	v_dual_add_f32 v7, 0, v66 :: v_dual_mul_f32 v66, v56, v53
	v_fma_f32 v2, v6, v2, -v3
	v_dual_mul_f32 v73, v28, v33 :: v_dual_fmac_f32 v68, v11, v14
	s_delay_alu instid0(VALU_DEP_3)
	v_add_f32_e32 v3, v7, v67
	v_dual_mul_f32 v6, v11, v15 :: v_dual_fmac_f32 v71, v25, v20
	v_fma_f32 v4, v8, v4, -v5
	v_add_f32_e32 v2, 0, v2
	v_dual_mul_f32 v70, v22, v19 :: v_dual_mul_f32 v75, v40, v37
	v_dual_mul_f32 v78, v54, v51 :: v_dual_fmac_f32 v69, v13, v16
	v_mul_f32_e32 v5, v13, v17
	v_fma_f32 v6, v10, v14, -v6
	v_add_f32_e32 v2, v2, v4
	v_add_f32_e32 v3, v3, v68
	v_dual_fmac_f32 v70, v23, v18 :: v_dual_fmac_f32 v73, v29, v32
	v_dual_mul_f32 v4, v23, v19 :: v_dual_fmac_f32 v75, v41, v36
	v_fma_f32 v5, v12, v16, -v5
	s_delay_alu instid0(VALU_DEP_4) | instskip(SKIP_1) | instid1(VALU_DEP_4)
	v_dual_add_f32 v2, v2, v6 :: v_dual_add_f32 v3, v3, v69
	v_mul_f32_e32 v6, v25, v21
	v_fma_f32 v4, v22, v18, -v4
	v_dual_mul_f32 v72, v26, v31 :: v_dual_mul_f32 v77, v44, v49
	s_delay_alu instid0(VALU_DEP_4) | instskip(NEXT) | instid1(VALU_DEP_4)
	v_dual_add_f32 v3, v3, v70 :: v_dual_add_f32 v2, v2, v5
	v_fma_f32 v6, v24, v20, -v6
	ds_load_b128 v[58:61], v58 offset:112
	ds_load_2addr_b64 v[62:65], v62 offset0:224 offset1:240
	v_fmac_f32_e32 v72, v27, v30
	v_add_f32_e32 v3, v3, v71
	v_dual_mul_f32 v5, v27, v31 :: v_dual_add_f32 v2, v2, v4
	v_mul_f32_e32 v4, v29, v33
	v_dual_fmac_f32 v74, v39, v34 :: v_dual_fmac_f32 v77, v45, v48
	s_delay_alu instid0(VALU_DEP_3) | instskip(NEXT) | instid1(VALU_DEP_4)
	v_fma_f32 v5, v26, v30, -v5
	v_add_f32_e32 v2, v2, v6
	v_dual_mul_f32 v6, v39, v35 :: v_dual_mul_f32 v7, v57, v53
	v_fma_f32 v4, v28, v32, -v4
	s_lshl_b64 s[0:1], s[0:1], 3
	s_delay_alu instid0(VALU_DEP_3)
	v_add_f32_e32 v2, v2, v5
	v_mul_f32_e32 v5, v41, v37
	v_add_f32_e32 v3, v3, v72
	v_fma_f32 v6, v38, v34, -v6
	s_add_u32 s2, s10, s0
	s_addc_u32 s3, s11, s1
	v_fma_f32 v5, v40, v36, -v5
	v_add_f32_e32 v3, v3, v73
	s_waitcnt lgkmcnt(0)
	v_dual_mul_f32 v9, v60, v65 :: v_dual_fmac_f32 v78, v55, v50
	v_mul_f32_e32 v10, v61, v65
	s_lshl_b64 s[0:1], s[6:7], 3
	v_add_f32_e32 v3, v3, v74
	s_delay_alu instid0(VALU_DEP_3)
	v_fmac_f32_e32 v9, v61, v64
	v_add_f32_e32 v2, v2, v4
	v_mul_f32_e32 v4, v43, v47
	s_add_u32 s0, s2, s0
	v_add_f32_e32 v3, v3, v75
	s_addc_u32 s1, s3, s1
	v_add_f32_e32 v2, v2, v6
	v_mul_f32_e32 v6, v45, v49
	v_fma_f32 v4, v42, v46, -v4
	v_fmac_f32_e32 v66, v57, v52
	s_delay_alu instid0(VALU_DEP_4) | instskip(NEXT) | instid1(VALU_DEP_4)
	v_dual_add_f32 v2, v2, v5 :: v_dual_mul_f32 v5, v55, v51
	v_fma_f32 v6, v44, v48, -v6
	s_delay_alu instid0(VALU_DEP_2) | instskip(NEXT) | instid1(VALU_DEP_3)
	v_add_f32_e32 v2, v2, v4
	v_fma_f32 v5, v54, v50, -v5
	v_mul_f32_e32 v4, v58, v63
	s_delay_alu instid0(VALU_DEP_3) | instskip(SKIP_1) | instid1(VALU_DEP_2)
	v_add_f32_e32 v6, v2, v6
	v_fmac_f32_e32 v76, v43, v46
	v_dual_fmac_f32 v4, v59, v62 :: v_dual_add_f32 v5, v6, v5
	s_delay_alu instid0(VALU_DEP_2) | instskip(SKIP_2) | instid1(VALU_DEP_2)
	v_add_f32_e32 v3, v3, v76
	v_fma_f32 v6, v56, v52, -v7
	v_mul_f32_e32 v7, v59, v63
	v_dual_add_f32 v3, v3, v77 :: v_dual_add_f32 v6, v5, v6
	s_delay_alu instid0(VALU_DEP_2) | instskip(NEXT) | instid1(VALU_DEP_2)
	v_fma_f32 v7, v58, v62, -v7
	v_add_f32_e32 v3, v3, v78
	s_delay_alu instid0(VALU_DEP_1) | instskip(SKIP_1) | instid1(VALU_DEP_2)
	v_add_f32_e32 v8, v3, v66
	v_mad_u64_u32 v[2:3], null, v1, s30, 0
	v_add_f32_e32 v8, v8, v4
	s_delay_alu instid0(VALU_DEP_2) | instskip(SKIP_2) | instid1(VALU_DEP_4)
	v_mad_u64_u32 v[4:5], null, v1, s31, v[3:4]
	v_add_f32_e32 v1, v6, v7
	v_fma_f32 v5, v60, v64, -v10
	v_add_f32_e32 v6, v8, v9
	s_delay_alu instid0(VALU_DEP_4) | instskip(NEXT) | instid1(VALU_DEP_2)
	v_mov_b32_e32 v3, v4
	v_dual_add_f32 v5, v1, v5 :: v_dual_mul_f32 v4, s8, v6
	s_delay_alu instid0(VALU_DEP_2) | instskip(NEXT) | instid1(VALU_DEP_2)
	v_lshlrev_b64 v[1:2], 3, v[2:3]
	v_dual_mul_f32 v3, s9, v6 :: v_dual_fmac_f32 v4, s9, v5
	s_delay_alu instid0(VALU_DEP_2) | instskip(NEXT) | instid1(VALU_DEP_3)
	v_add_co_u32 v1, vcc_lo, s0, v1
	v_add_co_ci_u32_e32 v2, vcc_lo, s1, v2, vcc_lo
	s_delay_alu instid0(VALU_DEP_3) | instskip(NEXT) | instid1(VALU_DEP_3)
	v_fma_f32 v3, s8, v5, -v3
	v_add_co_u32 v0, vcc_lo, v1, v0
	s_delay_alu instid0(VALU_DEP_3)
	v_add_co_ci_u32_e32 v1, vcc_lo, 0, v2, vcc_lo
	global_store_b64 v[0:1], v[3:4], off
.LBB175_15:
	s_nop 0
	s_sendmsg sendmsg(MSG_DEALLOC_VGPRS)
	s_endpgm
	.section	.rodata,"a",@progbits
	.p2align	6, 0x0
	.amdhsa_kernel _ZL23rocblas_trmm_rNx_kernelILi16E19rocblas_complex_numIfES1_KPKS1_KPS1_Ev13rocblas_fill_17rocblas_diagonal_iiT1_lPT2_llSB_llPT3_lli
		.amdhsa_group_segment_fixed_size 4096
		.amdhsa_private_segment_fixed_size 0
		.amdhsa_kernarg_size 108
		.amdhsa_user_sgpr_count 14
		.amdhsa_user_sgpr_dispatch_ptr 0
		.amdhsa_user_sgpr_queue_ptr 0
		.amdhsa_user_sgpr_kernarg_segment_ptr 1
		.amdhsa_user_sgpr_dispatch_id 0
		.amdhsa_user_sgpr_private_segment_size 0
		.amdhsa_wavefront_size32 1
		.amdhsa_uses_dynamic_stack 0
		.amdhsa_enable_private_segment 0
		.amdhsa_system_sgpr_workgroup_id_x 1
		.amdhsa_system_sgpr_workgroup_id_y 0
		.amdhsa_system_sgpr_workgroup_id_z 1
		.amdhsa_system_sgpr_workgroup_info 0
		.amdhsa_system_vgpr_workitem_id 1
		.amdhsa_next_free_vgpr 79
		.amdhsa_next_free_sgpr 38
		.amdhsa_reserve_vcc 1
		.amdhsa_float_round_mode_32 0
		.amdhsa_float_round_mode_16_64 0
		.amdhsa_float_denorm_mode_32 3
		.amdhsa_float_denorm_mode_16_64 3
		.amdhsa_dx10_clamp 1
		.amdhsa_ieee_mode 1
		.amdhsa_fp16_overflow 0
		.amdhsa_workgroup_processor_mode 1
		.amdhsa_memory_ordered 1
		.amdhsa_forward_progress 0
		.amdhsa_shared_vgpr_count 0
		.amdhsa_exception_fp_ieee_invalid_op 0
		.amdhsa_exception_fp_denorm_src 0
		.amdhsa_exception_fp_ieee_div_zero 0
		.amdhsa_exception_fp_ieee_overflow 0
		.amdhsa_exception_fp_ieee_underflow 0
		.amdhsa_exception_fp_ieee_inexact 0
		.amdhsa_exception_int_div_zero 0
	.end_amdhsa_kernel
	.section	.text._ZL23rocblas_trmm_rNx_kernelILi16E19rocblas_complex_numIfES1_KPKS1_KPS1_Ev13rocblas_fill_17rocblas_diagonal_iiT1_lPT2_llSB_llPT3_lli,"axG",@progbits,_ZL23rocblas_trmm_rNx_kernelILi16E19rocblas_complex_numIfES1_KPKS1_KPS1_Ev13rocblas_fill_17rocblas_diagonal_iiT1_lPT2_llSB_llPT3_lli,comdat
.Lfunc_end175:
	.size	_ZL23rocblas_trmm_rNx_kernelILi16E19rocblas_complex_numIfES1_KPKS1_KPS1_Ev13rocblas_fill_17rocblas_diagonal_iiT1_lPT2_llSB_llPT3_lli, .Lfunc_end175-_ZL23rocblas_trmm_rNx_kernelILi16E19rocblas_complex_numIfES1_KPKS1_KPS1_Ev13rocblas_fill_17rocblas_diagonal_iiT1_lPT2_llSB_llPT3_lli
                                        ; -- End function
	.section	.AMDGPU.csdata,"",@progbits
; Kernel info:
; codeLenInByte = 1488
; NumSgprs: 40
; NumVgprs: 79
; ScratchSize: 0
; MemoryBound: 0
; FloatMode: 240
; IeeeMode: 1
; LDSByteSize: 4096 bytes/workgroup (compile time only)
; SGPRBlocks: 4
; VGPRBlocks: 9
; NumSGPRsForWavesPerEU: 40
; NumVGPRsForWavesPerEU: 79
; Occupancy: 16
; WaveLimiterHint : 1
; COMPUTE_PGM_RSRC2:SCRATCH_EN: 0
; COMPUTE_PGM_RSRC2:USER_SGPR: 14
; COMPUTE_PGM_RSRC2:TRAP_HANDLER: 0
; COMPUTE_PGM_RSRC2:TGID_X_EN: 1
; COMPUTE_PGM_RSRC2:TGID_Y_EN: 0
; COMPUTE_PGM_RSRC2:TGID_Z_EN: 1
; COMPUTE_PGM_RSRC2:TIDIG_COMP_CNT: 1
	.section	.text._ZL23rocblas_trmm_rTx_kernelILi16ELb0E19rocblas_complex_numIfEPKS1_KS3_KPS1_Ev13rocblas_fill_17rocblas_diagonal_iiT2_lPT3_llSB_llPT4_lli,"axG",@progbits,_ZL23rocblas_trmm_rTx_kernelILi16ELb0E19rocblas_complex_numIfEPKS1_KS3_KPS1_Ev13rocblas_fill_17rocblas_diagonal_iiT2_lPT3_llSB_llPT4_lli,comdat
	.globl	_ZL23rocblas_trmm_rTx_kernelILi16ELb0E19rocblas_complex_numIfEPKS1_KS3_KPS1_Ev13rocblas_fill_17rocblas_diagonal_iiT2_lPT3_llSB_llPT4_lli ; -- Begin function _ZL23rocblas_trmm_rTx_kernelILi16ELb0E19rocblas_complex_numIfEPKS1_KS3_KPS1_Ev13rocblas_fill_17rocblas_diagonal_iiT2_lPT3_llSB_llPT4_lli
	.p2align	8
	.type	_ZL23rocblas_trmm_rTx_kernelILi16ELb0E19rocblas_complex_numIfEPKS1_KS3_KPS1_Ev13rocblas_fill_17rocblas_diagonal_iiT2_lPT3_llSB_llPT4_lli,@function
_ZL23rocblas_trmm_rTx_kernelILi16ELb0E19rocblas_complex_numIfEPKS1_KS3_KPS1_Ev13rocblas_fill_17rocblas_diagonal_iiT2_lPT3_llSB_llPT4_lli: ; @_ZL23rocblas_trmm_rTx_kernelILi16ELb0E19rocblas_complex_numIfEPKS1_KS3_KPS1_Ev13rocblas_fill_17rocblas_diagonal_iiT2_lPT3_llSB_llPT4_lli
; %bb.0:
	s_load_b512 s[16:31], s[0:1], 0x10
	s_mov_b32 s35, 0
	s_waitcnt lgkmcnt(0)
	s_mul_i32 s3, s15, s19
	s_mul_hi_u32 s4, s15, s18
	s_mul_i32 s2, s15, s18
	s_add_i32 s3, s4, s3
	s_delay_alu instid0(SALU_CYCLE_1) | instskip(NEXT) | instid1(SALU_CYCLE_1)
	s_lshl_b64 s[2:3], s[2:3], 3
	s_add_u32 s2, s16, s2
	s_addc_u32 s3, s17, s3
	s_load_b64 s[12:13], s[2:3], 0x0
	s_waitcnt lgkmcnt(0)
	v_cmp_neq_f32_e64 s2, s12, 0
	v_cmp_neq_f32_e64 s3, s13, 0
	s_delay_alu instid0(VALU_DEP_1) | instskip(NEXT) | instid1(SALU_CYCLE_1)
	s_or_b32 s2, s2, s3
	s_and_not1_b32 vcc_lo, exec_lo, s2
	s_cbranch_vccnz .LBB176_15
; %bb.1:
	s_clause 0x1
	s_load_b128 s[4:7], s[0:1], 0x50
	s_load_b128 s[8:11], s[0:1], 0x0
	s_mov_b32 s34, s15
	v_bfe_u32 v1, v0, 10, 10
	s_lshl_b64 s[18:19], s[34:35], 3
	s_mov_b32 s34, s35
	s_add_u32 s2, s26, s18
	s_addc_u32 s3, s27, s19
	v_dual_mov_b32 v4, s34 :: v_dual_and_b32 v3, 0x3ff, v0
	v_dual_mov_b32 v5, s35 :: v_dual_lshlrev_b32 v0, 4, v1
	s_delay_alu instid0(VALU_DEP_1)
	v_add_lshl_u32 v2, v0, v3, 3
	v_lshlrev_b32_e32 v0, 3, v3
	s_waitcnt lgkmcnt(0)
	s_add_u32 s4, s4, s18
	s_addc_u32 s5, s5, s19
	s_load_b64 s[16:17], s[2:3], 0x0
	s_load_b64 s[4:5], s[4:5], 0x0
	v_cmp_gt_i32_e32 vcc_lo, s11, v1
	v_cmp_gt_i32_e64 s2, s11, v3
	ds_store_2addr_stride64_b64 v2, v[4:5], v[4:5] offset1:4
	s_and_b32 s2, vcc_lo, s2
	s_delay_alu instid0(SALU_CYCLE_1)
	s_and_saveexec_b32 s3, s2
	s_cbranch_execz .LBB176_3
; %bb.2:
	v_mad_u64_u32 v[4:5], null, v1, s22, 0
	s_add_u32 s18, s20, s18
	s_addc_u32 s19, s21, s19
	s_lshl_b64 s[20:21], s[24:25], 3
	s_load_b64 s[18:19], s[18:19], 0x0
	s_delay_alu instid0(VALU_DEP_1) | instskip(NEXT) | instid1(VALU_DEP_1)
	v_mad_u64_u32 v[6:7], null, v1, s23, v[5:6]
	v_mov_b32_e32 v5, v6
	s_delay_alu instid0(VALU_DEP_1) | instskip(SKIP_3) | instid1(VALU_DEP_1)
	v_lshlrev_b64 v[4:5], 3, v[4:5]
	s_waitcnt lgkmcnt(0)
	s_add_u32 s2, s18, s20
	s_addc_u32 s11, s19, s21
	v_add_co_u32 v4, s2, s2, v4
	s_delay_alu instid0(VALU_DEP_1) | instskip(NEXT) | instid1(VALU_DEP_2)
	v_add_co_ci_u32_e64 v5, s2, s11, v5, s2
	v_add_co_u32 v4, s2, v4, v0
	s_delay_alu instid0(VALU_DEP_1)
	v_add_co_ci_u32_e64 v5, s2, 0, v5, s2
	global_load_b64 v[4:5], v[4:5], off
	s_waitcnt vmcnt(0)
	ds_store_b64 v2, v[4:5]
.LBB176_3:
	s_or_b32 exec_lo, exec_lo, s3
	s_add_i32 s2, s10, -1
	s_delay_alu instid0(SALU_CYCLE_1) | instskip(NEXT) | instid1(SALU_CYCLE_1)
	s_ashr_i32 s3, s2, 31
	s_lshr_b32 s3, s3, 28
	s_delay_alu instid0(SALU_CYCLE_1) | instskip(NEXT) | instid1(SALU_CYCLE_1)
	s_add_i32 s2, s2, s3
	s_and_b32 s3, s2, -16
	s_ashr_i32 s2, s2, 4
	s_sub_i32 s3, s10, s3
	s_cmp_ge_i32 s14, s2
	s_cselect_b32 s2, s3, 16
	s_lshl_b32 s10, s14, 4
	v_cmp_gt_i32_e64 s2, s2, v3
	s_ashr_i32 s11, s10, 31
	s_delay_alu instid0(VALU_DEP_1) | instskip(NEXT) | instid1(SALU_CYCLE_1)
	s_and_b32 s2, vcc_lo, s2
	s_and_saveexec_b32 s3, s2
	s_cbranch_execz .LBB176_5
; %bb.4:
	v_mad_u64_u32 v[4:5], null, v1, s28, 0
	s_lshl_b64 s[14:15], s[30:31], 3
	s_waitcnt lgkmcnt(0)
	s_add_u32 s16, s16, s14
	s_addc_u32 s17, s17, s15
	s_lshl_b64 s[14:15], s[10:11], 3
	s_delay_alu instid0(SALU_CYCLE_1) | instskip(NEXT) | instid1(VALU_DEP_1)
	s_add_u32 s14, s16, s14
	v_mad_u64_u32 v[6:7], null, v1, s29, v[5:6]
	s_addc_u32 s15, s17, s15
	s_delay_alu instid0(VALU_DEP_1) | instskip(NEXT) | instid1(VALU_DEP_1)
	v_dual_mov_b32 v5, v6 :: v_dual_add_nc_u32 v6, 0x800, v2
	v_lshlrev_b64 v[4:5], 3, v[4:5]
	s_delay_alu instid0(VALU_DEP_1) | instskip(NEXT) | instid1(VALU_DEP_2)
	v_add_co_u32 v4, vcc_lo, s14, v4
	v_add_co_ci_u32_e32 v5, vcc_lo, s15, v5, vcc_lo
	s_delay_alu instid0(VALU_DEP_2) | instskip(NEXT) | instid1(VALU_DEP_2)
	v_add_co_u32 v4, vcc_lo, v4, v0
	v_add_co_ci_u32_e32 v5, vcc_lo, 0, v5, vcc_lo
	global_load_b64 v[4:5], v[4:5], off
	s_waitcnt vmcnt(0)
	ds_store_b64 v6, v[4:5]
.LBB176_5:
	s_or_b32 exec_lo, exec_lo, s3
	v_cmp_eq_u32_e32 vcc_lo, v1, v3
	s_cmpk_eq_i32 s9, 0x84
	s_cselect_b32 s3, -1, 0
	s_delay_alu instid0(SALU_CYCLE_1) | instskip(NEXT) | instid1(SALU_CYCLE_1)
	s_and_b32 s9, vcc_lo, s3
	s_and_saveexec_b32 s3, s9
	s_cbranch_execz .LBB176_7
; %bb.6:
	v_dual_mov_b32 v4, 1.0 :: v_dual_mov_b32 v5, 0
	ds_store_b64 v2, v[4:5]
.LBB176_7:
	s_or_b32 exec_lo, exec_lo, s3
	s_cmpk_lg_i32 s8, 0x79
	s_cbranch_scc0 .LBB176_9
; %bb.8:
	v_cmp_lt_u32_e32 vcc_lo, v3, v1
	s_and_b32 s3, vcc_lo, exec_lo
	s_cbranch_execz .LBB176_10
	s_branch .LBB176_11
.LBB176_9:
	s_mov_b32 s3, 0
.LBB176_10:
	v_cmp_gt_u32_e32 vcc_lo, v3, v1
	s_and_not1_b32 s3, s3, exec_lo
	s_and_b32 s8, vcc_lo, exec_lo
	s_delay_alu instid0(SALU_CYCLE_1)
	s_or_b32 s3, s3, s8
.LBB176_11:
	s_delay_alu instid0(SALU_CYCLE_1)
	s_and_saveexec_b32 s8, s3
	s_cbranch_execz .LBB176_13
; %bb.12:
	v_mov_b32_e32 v3, 0
	s_delay_alu instid0(VALU_DEP_1)
	v_mov_b32_e32 v4, v3
	ds_store_b64 v2, v[3:4]
.LBB176_13:
	s_or_b32 exec_lo, exec_lo, s8
	s_waitcnt lgkmcnt(0)
	s_barrier
	buffer_gl0_inv
	s_and_saveexec_b32 s3, s2
	s_cbranch_execz .LBB176_15
; %bb.14:
	v_lshlrev_b32_e32 v58, 3, v1
	v_add_nc_u32_e32 v62, 0x800, v0
	s_load_b64 s[0:1], s[0:1], 0x60
	ds_load_2addr_b64 v[2:5], v58 offset1:16
	ds_load_2addr_b64 v[6:9], v62 offset1:16
	ds_load_2addr_b64 v[10:13], v58 offset0:32 offset1:48
	ds_load_2addr_b64 v[14:17], v62 offset0:32 offset1:48
	;; [unrolled: 1-line block ×12, first 2 shown]
	s_waitcnt lgkmcnt(0)
	v_dual_mul_f32 v67, v4, v9 :: v_dual_mul_f32 v66, v2, v7
	v_dual_mul_f32 v69, v12, v17 :: v_dual_mul_f32 v68, v10, v15
	;; [unrolled: 1-line block ×3, first 2 shown]
	s_delay_alu instid0(VALU_DEP_3) | instskip(SKIP_1) | instid1(VALU_DEP_4)
	v_dual_mul_f32 v73, v28, v33 :: v_dual_fmac_f32 v66, v3, v6
	v_mul_f32_e32 v3, v3, v7
	v_dual_fmac_f32 v68, v11, v14 :: v_dual_fmac_f32 v69, v13, v16
	v_dual_mul_f32 v76, v42, v47 :: v_dual_fmac_f32 v67, v5, v8
	v_dual_mul_f32 v5, v5, v9 :: v_dual_mul_f32 v78, v50, v55
	v_dual_add_f32 v7, 0, v66 :: v_dual_mul_f32 v66, v52, v57
	v_fma_f32 v2, v2, v6, -v3
	v_mul_f32_e32 v6, v11, v15
	s_delay_alu instid0(VALU_DEP_4) | instskip(SKIP_1) | instid1(VALU_DEP_4)
	v_fma_f32 v4, v4, v8, -v5
	v_mul_f32_e32 v5, v13, v17
	v_dual_add_f32 v3, v7, v67 :: v_dual_add_f32 v2, 0, v2
	v_dual_fmac_f32 v70, v19, v22 :: v_dual_fmac_f32 v71, v21, v24
	v_fma_f32 v6, v10, v14, -v6
	s_delay_alu instid0(VALU_DEP_3) | instskip(NEXT) | instid1(VALU_DEP_4)
	v_add_f32_e32 v3, v3, v68
	v_add_f32_e32 v2, v2, v4
	v_dual_mul_f32 v72, v26, v31 :: v_dual_mul_f32 v75, v36, v41
	v_dual_mul_f32 v4, v19, v23 :: v_dual_fmac_f32 v73, v29, v32
	s_delay_alu instid0(VALU_DEP_4) | instskip(SKIP_1) | instid1(VALU_DEP_4)
	v_add_f32_e32 v3, v3, v69
	v_fma_f32 v5, v12, v16, -v5
	v_dual_fmac_f32 v72, v27, v30 :: v_dual_fmac_f32 v75, v37, v40
	s_delay_alu instid0(VALU_DEP_4) | instskip(NEXT) | instid1(VALU_DEP_4)
	v_fma_f32 v4, v18, v22, -v4
	v_add_f32_e32 v3, v3, v70
	v_add_f32_e32 v2, v2, v6
	v_mul_f32_e32 v6, v21, v25
	v_dual_mul_f32 v74, v34, v39 :: v_dual_mul_f32 v77, v44, v49
	s_delay_alu instid0(VALU_DEP_3) | instskip(SKIP_1) | instid1(VALU_DEP_4)
	v_dual_add_f32 v3, v3, v71 :: v_dual_add_f32 v2, v2, v5
	v_mul_f32_e32 v5, v27, v31
	v_fma_f32 v6, v20, v24, -v6
	s_delay_alu instid0(VALU_DEP_4) | instskip(NEXT) | instid1(VALU_DEP_4)
	v_fmac_f32_e32 v74, v35, v38
	v_add_f32_e32 v3, v3, v72
	v_add_f32_e32 v2, v2, v4
	v_mul_f32_e32 v4, v29, v33
	v_fma_f32 v5, v26, v30, -v5
	ds_load_2addr_b64 v[58:61], v58 offset0:224 offset1:240
	ds_load_2addr_b64 v[62:65], v62 offset0:224 offset1:240
	v_dual_add_f32 v3, v3, v73 :: v_dual_add_f32 v2, v2, v6
	v_dual_mul_f32 v6, v35, v39 :: v_dual_fmac_f32 v77, v45, v48
	v_fma_f32 v4, v28, v32, -v4
	v_dual_fmac_f32 v76, v43, v46 :: v_dual_mul_f32 v7, v53, v57
	s_delay_alu instid0(VALU_DEP_4)
	v_add_f32_e32 v2, v2, v5
	v_mul_f32_e32 v5, v37, v41
	v_add_f32_e32 v3, v3, v74
	v_fma_f32 v6, v34, v38, -v6
	v_fmac_f32_e32 v78, v51, v54
	v_fmac_f32_e32 v66, v53, v56
	v_fma_f32 v5, v36, v40, -v5
	v_add_f32_e32 v3, v3, v75
	s_lshl_b64 s[0:1], s[0:1], 3
	s_delay_alu instid0(SALU_CYCLE_1) | instskip(SKIP_1) | instid1(VALU_DEP_1)
	s_add_u32 s2, s4, s0
	s_addc_u32 s3, s5, s1
	v_add_f32_e32 v3, v3, v76
	s_waitcnt lgkmcnt(0)
	v_dual_add_f32 v2, v2, v4 :: v_dual_mul_f32 v9, v60, v65
	v_mul_f32_e32 v10, v61, v65
	s_lshl_b64 s[0:1], s[10:11], 3
	s_delay_alu instid0(VALU_DEP_2) | instskip(SKIP_3) | instid1(VALU_DEP_2)
	v_dual_add_f32 v3, v3, v77 :: v_dual_add_f32 v2, v2, v6
	v_mul_f32_e32 v6, v45, v49
	s_add_u32 s0, s2, s0
	s_addc_u32 s1, s3, s1
	v_dual_add_f32 v3, v3, v78 :: v_dual_add_f32 v2, v2, v5
	v_mul_f32_e32 v5, v51, v55
	v_fma_f32 v6, v44, v48, -v6
	v_fmac_f32_e32 v9, v61, v64
	s_delay_alu instid0(VALU_DEP_3) | instskip(SKIP_1) | instid1(VALU_DEP_1)
	v_fma_f32 v5, v50, v54, -v5
	v_mul_f32_e32 v4, v43, v47
	v_fma_f32 v4, v42, v46, -v4
	s_delay_alu instid0(VALU_DEP_1) | instskip(SKIP_1) | instid1(VALU_DEP_2)
	v_add_f32_e32 v2, v2, v4
	v_mul_f32_e32 v4, v58, v63
	v_add_f32_e32 v6, v2, v6
	s_delay_alu instid0(VALU_DEP_1) | instskip(SKIP_1) | instid1(VALU_DEP_1)
	v_dual_fmac_f32 v4, v59, v62 :: v_dual_add_f32 v5, v6, v5
	v_fma_f32 v6, v52, v56, -v7
	v_dual_mul_f32 v7, v59, v63 :: v_dual_add_f32 v6, v5, v6
	s_delay_alu instid0(VALU_DEP_1) | instskip(SKIP_2) | instid1(VALU_DEP_2)
	v_fma_f32 v7, v58, v62, -v7
	v_add_f32_e32 v8, v3, v66
	v_mad_u64_u32 v[2:3], null, v1, s6, 0
	v_add_f32_e32 v8, v8, v4
	s_delay_alu instid0(VALU_DEP_2) | instskip(SKIP_2) | instid1(VALU_DEP_4)
	v_mad_u64_u32 v[4:5], null, v1, s7, v[3:4]
	v_add_f32_e32 v1, v6, v7
	v_fma_f32 v5, v60, v64, -v10
	v_add_f32_e32 v6, v8, v9
	s_delay_alu instid0(VALU_DEP_4) | instskip(NEXT) | instid1(VALU_DEP_2)
	v_mov_b32_e32 v3, v4
	v_dual_add_f32 v5, v1, v5 :: v_dual_mul_f32 v4, s12, v6
	s_delay_alu instid0(VALU_DEP_2) | instskip(NEXT) | instid1(VALU_DEP_2)
	v_lshlrev_b64 v[1:2], 3, v[2:3]
	v_dual_mul_f32 v3, s13, v6 :: v_dual_fmac_f32 v4, s13, v5
	s_delay_alu instid0(VALU_DEP_2) | instskip(NEXT) | instid1(VALU_DEP_3)
	v_add_co_u32 v1, vcc_lo, s0, v1
	v_add_co_ci_u32_e32 v2, vcc_lo, s1, v2, vcc_lo
	s_delay_alu instid0(VALU_DEP_3) | instskip(NEXT) | instid1(VALU_DEP_3)
	v_fma_f32 v3, s12, v5, -v3
	v_add_co_u32 v0, vcc_lo, v1, v0
	s_delay_alu instid0(VALU_DEP_3)
	v_add_co_ci_u32_e32 v1, vcc_lo, 0, v2, vcc_lo
	global_store_b64 v[0:1], v[3:4], off
.LBB176_15:
	s_nop 0
	s_sendmsg sendmsg(MSG_DEALLOC_VGPRS)
	s_endpgm
	.section	.rodata,"a",@progbits
	.p2align	6, 0x0
	.amdhsa_kernel _ZL23rocblas_trmm_rTx_kernelILi16ELb0E19rocblas_complex_numIfEPKS1_KS3_KPS1_Ev13rocblas_fill_17rocblas_diagonal_iiT2_lPT3_llSB_llPT4_lli
		.amdhsa_group_segment_fixed_size 4096
		.amdhsa_private_segment_fixed_size 0
		.amdhsa_kernarg_size 108
		.amdhsa_user_sgpr_count 14
		.amdhsa_user_sgpr_dispatch_ptr 0
		.amdhsa_user_sgpr_queue_ptr 0
		.amdhsa_user_sgpr_kernarg_segment_ptr 1
		.amdhsa_user_sgpr_dispatch_id 0
		.amdhsa_user_sgpr_private_segment_size 0
		.amdhsa_wavefront_size32 1
		.amdhsa_uses_dynamic_stack 0
		.amdhsa_enable_private_segment 0
		.amdhsa_system_sgpr_workgroup_id_x 1
		.amdhsa_system_sgpr_workgroup_id_y 0
		.amdhsa_system_sgpr_workgroup_id_z 1
		.amdhsa_system_sgpr_workgroup_info 0
		.amdhsa_system_vgpr_workitem_id 1
		.amdhsa_next_free_vgpr 79
		.amdhsa_next_free_sgpr 36
		.amdhsa_reserve_vcc 1
		.amdhsa_float_round_mode_32 0
		.amdhsa_float_round_mode_16_64 0
		.amdhsa_float_denorm_mode_32 3
		.amdhsa_float_denorm_mode_16_64 3
		.amdhsa_dx10_clamp 1
		.amdhsa_ieee_mode 1
		.amdhsa_fp16_overflow 0
		.amdhsa_workgroup_processor_mode 1
		.amdhsa_memory_ordered 1
		.amdhsa_forward_progress 0
		.amdhsa_shared_vgpr_count 0
		.amdhsa_exception_fp_ieee_invalid_op 0
		.amdhsa_exception_fp_denorm_src 0
		.amdhsa_exception_fp_ieee_div_zero 0
		.amdhsa_exception_fp_ieee_overflow 0
		.amdhsa_exception_fp_ieee_underflow 0
		.amdhsa_exception_fp_ieee_inexact 0
		.amdhsa_exception_int_div_zero 0
	.end_amdhsa_kernel
	.section	.text._ZL23rocblas_trmm_rTx_kernelILi16ELb0E19rocblas_complex_numIfEPKS1_KS3_KPS1_Ev13rocblas_fill_17rocblas_diagonal_iiT2_lPT3_llSB_llPT4_lli,"axG",@progbits,_ZL23rocblas_trmm_rTx_kernelILi16ELb0E19rocblas_complex_numIfEPKS1_KS3_KPS1_Ev13rocblas_fill_17rocblas_diagonal_iiT2_lPT3_llSB_llPT4_lli,comdat
.Lfunc_end176:
	.size	_ZL23rocblas_trmm_rTx_kernelILi16ELb0E19rocblas_complex_numIfEPKS1_KS3_KPS1_Ev13rocblas_fill_17rocblas_diagonal_iiT2_lPT3_llSB_llPT4_lli, .Lfunc_end176-_ZL23rocblas_trmm_rTx_kernelILi16ELb0E19rocblas_complex_numIfEPKS1_KS3_KPS1_Ev13rocblas_fill_17rocblas_diagonal_iiT2_lPT3_llSB_llPT4_lli
                                        ; -- End function
	.section	.AMDGPU.csdata,"",@progbits
; Kernel info:
; codeLenInByte = 1532
; NumSgprs: 38
; NumVgprs: 79
; ScratchSize: 0
; MemoryBound: 0
; FloatMode: 240
; IeeeMode: 1
; LDSByteSize: 4096 bytes/workgroup (compile time only)
; SGPRBlocks: 4
; VGPRBlocks: 9
; NumSGPRsForWavesPerEU: 38
; NumVGPRsForWavesPerEU: 79
; Occupancy: 16
; WaveLimiterHint : 1
; COMPUTE_PGM_RSRC2:SCRATCH_EN: 0
; COMPUTE_PGM_RSRC2:USER_SGPR: 14
; COMPUTE_PGM_RSRC2:TRAP_HANDLER: 0
; COMPUTE_PGM_RSRC2:TGID_X_EN: 1
; COMPUTE_PGM_RSRC2:TGID_Y_EN: 0
; COMPUTE_PGM_RSRC2:TGID_Z_EN: 1
; COMPUTE_PGM_RSRC2:TIDIG_COMP_CNT: 1
	.section	.text._ZL23rocblas_trmm_rTx_kernelILi16ELb0E19rocblas_complex_numIfES1_KPKS1_KPS1_Ev13rocblas_fill_17rocblas_diagonal_iiT2_lPT3_llSB_llPT4_lli,"axG",@progbits,_ZL23rocblas_trmm_rTx_kernelILi16ELb0E19rocblas_complex_numIfES1_KPKS1_KPS1_Ev13rocblas_fill_17rocblas_diagonal_iiT2_lPT3_llSB_llPT4_lli,comdat
	.globl	_ZL23rocblas_trmm_rTx_kernelILi16ELb0E19rocblas_complex_numIfES1_KPKS1_KPS1_Ev13rocblas_fill_17rocblas_diagonal_iiT2_lPT3_llSB_llPT4_lli ; -- Begin function _ZL23rocblas_trmm_rTx_kernelILi16ELb0E19rocblas_complex_numIfES1_KPKS1_KPS1_Ev13rocblas_fill_17rocblas_diagonal_iiT2_lPT3_llSB_llPT4_lli
	.p2align	8
	.type	_ZL23rocblas_trmm_rTx_kernelILi16ELb0E19rocblas_complex_numIfES1_KPKS1_KPS1_Ev13rocblas_fill_17rocblas_diagonal_iiT2_lPT3_llSB_llPT4_lli,@function
_ZL23rocblas_trmm_rTx_kernelILi16ELb0E19rocblas_complex_numIfES1_KPKS1_KPS1_Ev13rocblas_fill_17rocblas_diagonal_iiT2_lPT3_llSB_llPT4_lli: ; @_ZL23rocblas_trmm_rTx_kernelILi16ELb0E19rocblas_complex_numIfES1_KPKS1_KPS1_Ev13rocblas_fill_17rocblas_diagonal_iiT2_lPT3_llSB_llPT4_lli
; %bb.0:
	s_load_b64 s[8:9], s[0:1], 0x10
	s_mov_b32 s37, 0
	s_waitcnt lgkmcnt(0)
	v_cmp_neq_f32_e64 s2, s8, 0
	v_cmp_neq_f32_e64 s3, s9, 0
	s_delay_alu instid0(VALU_DEP_1) | instskip(NEXT) | instid1(SALU_CYCLE_1)
	s_or_b32 s2, s2, s3
	s_and_not1_b32 vcc_lo, exec_lo, s2
	s_cbranch_vccnz .LBB177_15
; %bb.1:
	s_clause 0x1
	s_load_b512 s[16:31], s[0:1], 0x20
	s_load_b128 s[4:7], s[0:1], 0x0
	s_mov_b32 s36, s15
	v_bfe_u32 v1, v0, 10, 10
	s_lshl_b64 s[34:35], s[36:37], 3
	s_mov_b32 s36, s37
	s_delay_alu instid0(SALU_CYCLE_1) | instskip(NEXT) | instid1(VALU_DEP_2)
	v_dual_mov_b32 v4, s36 :: v_dual_and_b32 v3, 0x3ff, v0
	v_dual_mov_b32 v5, s37 :: v_dual_lshlrev_b32 v0, 4, v1
	s_delay_alu instid0(VALU_DEP_1)
	v_add_lshl_u32 v2, v0, v3, 3
	v_lshlrev_b32_e32 v0, 3, v3
	s_waitcnt lgkmcnt(0)
	s_add_u32 s2, s22, s34
	s_addc_u32 s3, s23, s35
	s_add_u32 s10, s28, s34
	s_addc_u32 s11, s29, s35
	s_load_b64 s[12:13], s[2:3], 0x0
	s_load_b64 s[10:11], s[10:11], 0x0
	v_cmp_gt_i32_e32 vcc_lo, s7, v1
	v_cmp_gt_i32_e64 s2, s7, v3
	ds_store_2addr_stride64_b64 v2, v[4:5], v[4:5] offset1:4
	s_and_b32 s2, vcc_lo, s2
	s_delay_alu instid0(SALU_CYCLE_1)
	s_and_saveexec_b32 s3, s2
	s_cbranch_execz .LBB177_3
; %bb.2:
	v_mad_u64_u32 v[4:5], null, v1, s18, 0
	s_add_u32 s16, s16, s34
	s_addc_u32 s17, s17, s35
	s_load_b64 s[16:17], s[16:17], 0x0
	s_delay_alu instid0(VALU_DEP_1) | instskip(SKIP_1) | instid1(VALU_DEP_1)
	v_mad_u64_u32 v[6:7], null, v1, s19, v[5:6]
	s_lshl_b64 s[18:19], s[20:21], 3
	v_mov_b32_e32 v5, v6
	s_delay_alu instid0(VALU_DEP_1) | instskip(SKIP_3) | instid1(VALU_DEP_1)
	v_lshlrev_b64 v[4:5], 3, v[4:5]
	s_waitcnt lgkmcnt(0)
	s_add_u32 s2, s16, s18
	s_addc_u32 s7, s17, s19
	v_add_co_u32 v4, s2, s2, v4
	s_delay_alu instid0(VALU_DEP_1) | instskip(NEXT) | instid1(VALU_DEP_2)
	v_add_co_ci_u32_e64 v5, s2, s7, v5, s2
	v_add_co_u32 v4, s2, v4, v0
	s_delay_alu instid0(VALU_DEP_1)
	v_add_co_ci_u32_e64 v5, s2, 0, v5, s2
	global_load_b64 v[4:5], v[4:5], off
	s_waitcnt vmcnt(0)
	ds_store_b64 v2, v[4:5]
.LBB177_3:
	s_or_b32 exec_lo, exec_lo, s3
	s_add_i32 s2, s6, -1
	s_delay_alu instid0(SALU_CYCLE_1) | instskip(NEXT) | instid1(SALU_CYCLE_1)
	s_ashr_i32 s3, s2, 31
	s_lshr_b32 s3, s3, 28
	s_delay_alu instid0(SALU_CYCLE_1) | instskip(NEXT) | instid1(SALU_CYCLE_1)
	s_add_i32 s2, s2, s3
	s_and_b32 s3, s2, -16
	s_ashr_i32 s2, s2, 4
	s_sub_i32 s3, s6, s3
	s_cmp_ge_i32 s14, s2
	s_cselect_b32 s2, s3, 16
	s_lshl_b32 s6, s14, 4
	v_cmp_gt_i32_e64 s2, s2, v3
	s_ashr_i32 s7, s6, 31
	s_delay_alu instid0(VALU_DEP_1) | instskip(NEXT) | instid1(SALU_CYCLE_1)
	s_and_b32 s2, vcc_lo, s2
	s_and_saveexec_b32 s3, s2
	s_cbranch_execz .LBB177_5
; %bb.4:
	v_mad_u64_u32 v[4:5], null, v1, s24, 0
	s_lshl_b64 s[14:15], s[26:27], 3
	s_waitcnt lgkmcnt(0)
	s_add_u32 s14, s12, s14
	s_addc_u32 s15, s13, s15
	s_lshl_b64 s[12:13], s[6:7], 3
	s_delay_alu instid0(SALU_CYCLE_1) | instskip(NEXT) | instid1(VALU_DEP_1)
	s_add_u32 s12, s14, s12
	v_mad_u64_u32 v[6:7], null, v1, s25, v[5:6]
	s_addc_u32 s13, s15, s13
	s_delay_alu instid0(VALU_DEP_1) | instskip(NEXT) | instid1(VALU_DEP_1)
	v_dual_mov_b32 v5, v6 :: v_dual_add_nc_u32 v6, 0x800, v2
	v_lshlrev_b64 v[4:5], 3, v[4:5]
	s_delay_alu instid0(VALU_DEP_1) | instskip(NEXT) | instid1(VALU_DEP_2)
	v_add_co_u32 v4, vcc_lo, s12, v4
	v_add_co_ci_u32_e32 v5, vcc_lo, s13, v5, vcc_lo
	s_delay_alu instid0(VALU_DEP_2) | instskip(NEXT) | instid1(VALU_DEP_2)
	v_add_co_u32 v4, vcc_lo, v4, v0
	v_add_co_ci_u32_e32 v5, vcc_lo, 0, v5, vcc_lo
	global_load_b64 v[4:5], v[4:5], off
	s_waitcnt vmcnt(0)
	ds_store_b64 v6, v[4:5]
.LBB177_5:
	s_or_b32 exec_lo, exec_lo, s3
	v_cmp_eq_u32_e32 vcc_lo, v1, v3
	s_cmpk_eq_i32 s5, 0x84
	s_cselect_b32 s3, -1, 0
	s_delay_alu instid0(SALU_CYCLE_1) | instskip(NEXT) | instid1(SALU_CYCLE_1)
	s_and_b32 s5, vcc_lo, s3
	s_and_saveexec_b32 s3, s5
	s_cbranch_execz .LBB177_7
; %bb.6:
	v_dual_mov_b32 v4, 1.0 :: v_dual_mov_b32 v5, 0
	ds_store_b64 v2, v[4:5]
.LBB177_7:
	s_or_b32 exec_lo, exec_lo, s3
	s_cmpk_lg_i32 s4, 0x79
	s_cbranch_scc0 .LBB177_9
; %bb.8:
	v_cmp_lt_u32_e32 vcc_lo, v3, v1
	s_and_b32 s3, vcc_lo, exec_lo
	s_cbranch_execz .LBB177_10
	s_branch .LBB177_11
.LBB177_9:
	s_mov_b32 s3, 0
.LBB177_10:
	v_cmp_gt_u32_e32 vcc_lo, v3, v1
	s_and_not1_b32 s3, s3, exec_lo
	s_and_b32 s4, vcc_lo, exec_lo
	s_delay_alu instid0(SALU_CYCLE_1)
	s_or_b32 s3, s3, s4
.LBB177_11:
	s_delay_alu instid0(SALU_CYCLE_1)
	s_and_saveexec_b32 s4, s3
	s_cbranch_execz .LBB177_13
; %bb.12:
	v_mov_b32_e32 v3, 0
	s_delay_alu instid0(VALU_DEP_1)
	v_mov_b32_e32 v4, v3
	ds_store_b64 v2, v[3:4]
.LBB177_13:
	s_or_b32 exec_lo, exec_lo, s4
	s_waitcnt lgkmcnt(0)
	s_barrier
	buffer_gl0_inv
	s_and_saveexec_b32 s3, s2
	s_cbranch_execz .LBB177_15
; %bb.14:
	v_lshlrev_b32_e32 v58, 3, v1
	v_add_nc_u32_e32 v62, 0x800, v0
	s_load_b64 s[0:1], s[0:1], 0x60
	ds_load_2addr_b64 v[2:5], v58 offset1:16
	ds_load_2addr_b64 v[6:9], v62 offset1:16
	ds_load_2addr_b64 v[10:13], v58 offset0:32 offset1:48
	ds_load_2addr_b64 v[14:17], v62 offset0:32 offset1:48
	;; [unrolled: 1-line block ×12, first 2 shown]
	s_waitcnt lgkmcnt(0)
	v_dual_mul_f32 v67, v4, v9 :: v_dual_mul_f32 v66, v2, v7
	v_dual_mul_f32 v69, v12, v17 :: v_dual_mul_f32 v68, v10, v15
	v_dual_mul_f32 v71, v20, v25 :: v_dual_mul_f32 v70, v18, v23
	s_delay_alu instid0(VALU_DEP_3) | instskip(SKIP_1) | instid1(VALU_DEP_4)
	v_dual_mul_f32 v73, v28, v33 :: v_dual_fmac_f32 v66, v3, v6
	v_mul_f32_e32 v3, v3, v7
	v_dual_fmac_f32 v68, v11, v14 :: v_dual_fmac_f32 v69, v13, v16
	v_dual_mul_f32 v76, v42, v47 :: v_dual_fmac_f32 v67, v5, v8
	v_dual_mul_f32 v5, v5, v9 :: v_dual_mul_f32 v78, v50, v55
	v_dual_add_f32 v7, 0, v66 :: v_dual_mul_f32 v66, v52, v57
	v_fma_f32 v2, v2, v6, -v3
	v_mul_f32_e32 v6, v11, v15
	s_delay_alu instid0(VALU_DEP_4) | instskip(SKIP_1) | instid1(VALU_DEP_4)
	v_fma_f32 v4, v4, v8, -v5
	v_mul_f32_e32 v5, v13, v17
	v_dual_add_f32 v3, v7, v67 :: v_dual_add_f32 v2, 0, v2
	v_dual_fmac_f32 v70, v19, v22 :: v_dual_fmac_f32 v71, v21, v24
	v_fma_f32 v6, v10, v14, -v6
	s_delay_alu instid0(VALU_DEP_3) | instskip(NEXT) | instid1(VALU_DEP_4)
	v_add_f32_e32 v3, v3, v68
	v_add_f32_e32 v2, v2, v4
	v_dual_mul_f32 v72, v26, v31 :: v_dual_mul_f32 v75, v36, v41
	v_dual_mul_f32 v4, v19, v23 :: v_dual_fmac_f32 v73, v29, v32
	s_delay_alu instid0(VALU_DEP_4) | instskip(SKIP_1) | instid1(VALU_DEP_4)
	v_add_f32_e32 v3, v3, v69
	v_fma_f32 v5, v12, v16, -v5
	v_dual_fmac_f32 v72, v27, v30 :: v_dual_fmac_f32 v75, v37, v40
	s_delay_alu instid0(VALU_DEP_4) | instskip(NEXT) | instid1(VALU_DEP_4)
	v_fma_f32 v4, v18, v22, -v4
	v_add_f32_e32 v3, v3, v70
	v_add_f32_e32 v2, v2, v6
	v_mul_f32_e32 v6, v21, v25
	v_dual_mul_f32 v74, v34, v39 :: v_dual_mul_f32 v77, v44, v49
	s_delay_alu instid0(VALU_DEP_3) | instskip(SKIP_1) | instid1(VALU_DEP_4)
	v_dual_add_f32 v3, v3, v71 :: v_dual_add_f32 v2, v2, v5
	v_mul_f32_e32 v5, v27, v31
	v_fma_f32 v6, v20, v24, -v6
	s_delay_alu instid0(VALU_DEP_4) | instskip(NEXT) | instid1(VALU_DEP_4)
	v_fmac_f32_e32 v74, v35, v38
	v_add_f32_e32 v3, v3, v72
	v_add_f32_e32 v2, v2, v4
	v_mul_f32_e32 v4, v29, v33
	v_fma_f32 v5, v26, v30, -v5
	ds_load_2addr_b64 v[58:61], v58 offset0:224 offset1:240
	ds_load_2addr_b64 v[62:65], v62 offset0:224 offset1:240
	v_dual_add_f32 v3, v3, v73 :: v_dual_add_f32 v2, v2, v6
	v_dual_mul_f32 v6, v35, v39 :: v_dual_fmac_f32 v77, v45, v48
	v_fma_f32 v4, v28, v32, -v4
	v_dual_fmac_f32 v76, v43, v46 :: v_dual_mul_f32 v7, v53, v57
	s_delay_alu instid0(VALU_DEP_4)
	v_add_f32_e32 v2, v2, v5
	v_mul_f32_e32 v5, v37, v41
	v_add_f32_e32 v3, v3, v74
	v_fma_f32 v6, v34, v38, -v6
	v_fmac_f32_e32 v78, v51, v54
	v_fmac_f32_e32 v66, v53, v56
	v_fma_f32 v5, v36, v40, -v5
	v_add_f32_e32 v3, v3, v75
	s_lshl_b64 s[0:1], s[0:1], 3
	s_delay_alu instid0(SALU_CYCLE_1) | instskip(SKIP_1) | instid1(VALU_DEP_1)
	s_add_u32 s2, s10, s0
	s_addc_u32 s3, s11, s1
	v_add_f32_e32 v3, v3, v76
	s_waitcnt lgkmcnt(0)
	v_dual_add_f32 v2, v2, v4 :: v_dual_mul_f32 v9, v60, v65
	v_mul_f32_e32 v10, v61, v65
	s_lshl_b64 s[0:1], s[6:7], 3
	s_delay_alu instid0(VALU_DEP_2) | instskip(SKIP_3) | instid1(VALU_DEP_2)
	v_dual_add_f32 v3, v3, v77 :: v_dual_add_f32 v2, v2, v6
	v_mul_f32_e32 v6, v45, v49
	s_add_u32 s0, s2, s0
	s_addc_u32 s1, s3, s1
	v_dual_add_f32 v3, v3, v78 :: v_dual_add_f32 v2, v2, v5
	v_mul_f32_e32 v5, v51, v55
	v_fma_f32 v6, v44, v48, -v6
	v_fmac_f32_e32 v9, v61, v64
	s_delay_alu instid0(VALU_DEP_3) | instskip(SKIP_1) | instid1(VALU_DEP_1)
	v_fma_f32 v5, v50, v54, -v5
	v_mul_f32_e32 v4, v43, v47
	v_fma_f32 v4, v42, v46, -v4
	s_delay_alu instid0(VALU_DEP_1) | instskip(SKIP_1) | instid1(VALU_DEP_2)
	v_add_f32_e32 v2, v2, v4
	v_mul_f32_e32 v4, v58, v63
	v_add_f32_e32 v6, v2, v6
	s_delay_alu instid0(VALU_DEP_1) | instskip(SKIP_1) | instid1(VALU_DEP_1)
	v_dual_fmac_f32 v4, v59, v62 :: v_dual_add_f32 v5, v6, v5
	v_fma_f32 v6, v52, v56, -v7
	v_dual_mul_f32 v7, v59, v63 :: v_dual_add_f32 v6, v5, v6
	s_delay_alu instid0(VALU_DEP_1) | instskip(SKIP_2) | instid1(VALU_DEP_2)
	v_fma_f32 v7, v58, v62, -v7
	v_add_f32_e32 v8, v3, v66
	v_mad_u64_u32 v[2:3], null, v1, s30, 0
	v_add_f32_e32 v8, v8, v4
	s_delay_alu instid0(VALU_DEP_2) | instskip(SKIP_2) | instid1(VALU_DEP_4)
	v_mad_u64_u32 v[4:5], null, v1, s31, v[3:4]
	v_add_f32_e32 v1, v6, v7
	v_fma_f32 v5, v60, v64, -v10
	v_add_f32_e32 v6, v8, v9
	s_delay_alu instid0(VALU_DEP_4) | instskip(NEXT) | instid1(VALU_DEP_2)
	v_mov_b32_e32 v3, v4
	v_dual_add_f32 v5, v1, v5 :: v_dual_mul_f32 v4, s8, v6
	s_delay_alu instid0(VALU_DEP_2) | instskip(NEXT) | instid1(VALU_DEP_2)
	v_lshlrev_b64 v[1:2], 3, v[2:3]
	v_dual_mul_f32 v3, s9, v6 :: v_dual_fmac_f32 v4, s9, v5
	s_delay_alu instid0(VALU_DEP_2) | instskip(NEXT) | instid1(VALU_DEP_3)
	v_add_co_u32 v1, vcc_lo, s0, v1
	v_add_co_ci_u32_e32 v2, vcc_lo, s1, v2, vcc_lo
	s_delay_alu instid0(VALU_DEP_3) | instskip(NEXT) | instid1(VALU_DEP_3)
	v_fma_f32 v3, s8, v5, -v3
	v_add_co_u32 v0, vcc_lo, v1, v0
	s_delay_alu instid0(VALU_DEP_3)
	v_add_co_ci_u32_e32 v1, vcc_lo, 0, v2, vcc_lo
	global_store_b64 v[0:1], v[3:4], off
.LBB177_15:
	s_nop 0
	s_sendmsg sendmsg(MSG_DEALLOC_VGPRS)
	s_endpgm
	.section	.rodata,"a",@progbits
	.p2align	6, 0x0
	.amdhsa_kernel _ZL23rocblas_trmm_rTx_kernelILi16ELb0E19rocblas_complex_numIfES1_KPKS1_KPS1_Ev13rocblas_fill_17rocblas_diagonal_iiT2_lPT3_llSB_llPT4_lli
		.amdhsa_group_segment_fixed_size 4096
		.amdhsa_private_segment_fixed_size 0
		.amdhsa_kernarg_size 108
		.amdhsa_user_sgpr_count 14
		.amdhsa_user_sgpr_dispatch_ptr 0
		.amdhsa_user_sgpr_queue_ptr 0
		.amdhsa_user_sgpr_kernarg_segment_ptr 1
		.amdhsa_user_sgpr_dispatch_id 0
		.amdhsa_user_sgpr_private_segment_size 0
		.amdhsa_wavefront_size32 1
		.amdhsa_uses_dynamic_stack 0
		.amdhsa_enable_private_segment 0
		.amdhsa_system_sgpr_workgroup_id_x 1
		.amdhsa_system_sgpr_workgroup_id_y 0
		.amdhsa_system_sgpr_workgroup_id_z 1
		.amdhsa_system_sgpr_workgroup_info 0
		.amdhsa_system_vgpr_workitem_id 1
		.amdhsa_next_free_vgpr 79
		.amdhsa_next_free_sgpr 38
		.amdhsa_reserve_vcc 1
		.amdhsa_float_round_mode_32 0
		.amdhsa_float_round_mode_16_64 0
		.amdhsa_float_denorm_mode_32 3
		.amdhsa_float_denorm_mode_16_64 3
		.amdhsa_dx10_clamp 1
		.amdhsa_ieee_mode 1
		.amdhsa_fp16_overflow 0
		.amdhsa_workgroup_processor_mode 1
		.amdhsa_memory_ordered 1
		.amdhsa_forward_progress 0
		.amdhsa_shared_vgpr_count 0
		.amdhsa_exception_fp_ieee_invalid_op 0
		.amdhsa_exception_fp_denorm_src 0
		.amdhsa_exception_fp_ieee_div_zero 0
		.amdhsa_exception_fp_ieee_overflow 0
		.amdhsa_exception_fp_ieee_underflow 0
		.amdhsa_exception_fp_ieee_inexact 0
		.amdhsa_exception_int_div_zero 0
	.end_amdhsa_kernel
	.section	.text._ZL23rocblas_trmm_rTx_kernelILi16ELb0E19rocblas_complex_numIfES1_KPKS1_KPS1_Ev13rocblas_fill_17rocblas_diagonal_iiT2_lPT3_llSB_llPT4_lli,"axG",@progbits,_ZL23rocblas_trmm_rTx_kernelILi16ELb0E19rocblas_complex_numIfES1_KPKS1_KPS1_Ev13rocblas_fill_17rocblas_diagonal_iiT2_lPT3_llSB_llPT4_lli,comdat
.Lfunc_end177:
	.size	_ZL23rocblas_trmm_rTx_kernelILi16ELb0E19rocblas_complex_numIfES1_KPKS1_KPS1_Ev13rocblas_fill_17rocblas_diagonal_iiT2_lPT3_llSB_llPT4_lli, .Lfunc_end177-_ZL23rocblas_trmm_rTx_kernelILi16ELb0E19rocblas_complex_numIfES1_KPKS1_KPS1_Ev13rocblas_fill_17rocblas_diagonal_iiT2_lPT3_llSB_llPT4_lli
                                        ; -- End function
	.section	.AMDGPU.csdata,"",@progbits
; Kernel info:
; codeLenInByte = 1492
; NumSgprs: 40
; NumVgprs: 79
; ScratchSize: 0
; MemoryBound: 0
; FloatMode: 240
; IeeeMode: 1
; LDSByteSize: 4096 bytes/workgroup (compile time only)
; SGPRBlocks: 4
; VGPRBlocks: 9
; NumSGPRsForWavesPerEU: 40
; NumVGPRsForWavesPerEU: 79
; Occupancy: 16
; WaveLimiterHint : 1
; COMPUTE_PGM_RSRC2:SCRATCH_EN: 0
; COMPUTE_PGM_RSRC2:USER_SGPR: 14
; COMPUTE_PGM_RSRC2:TRAP_HANDLER: 0
; COMPUTE_PGM_RSRC2:TGID_X_EN: 1
; COMPUTE_PGM_RSRC2:TGID_Y_EN: 0
; COMPUTE_PGM_RSRC2:TGID_Z_EN: 1
; COMPUTE_PGM_RSRC2:TIDIG_COMP_CNT: 1
	.section	.text._ZL23rocblas_trmm_rTx_kernelILi16ELb1E19rocblas_complex_numIfEPKS1_KS3_KPS1_Ev13rocblas_fill_17rocblas_diagonal_iiT2_lPT3_llSB_llPT4_lli,"axG",@progbits,_ZL23rocblas_trmm_rTx_kernelILi16ELb1E19rocblas_complex_numIfEPKS1_KS3_KPS1_Ev13rocblas_fill_17rocblas_diagonal_iiT2_lPT3_llSB_llPT4_lli,comdat
	.globl	_ZL23rocblas_trmm_rTx_kernelILi16ELb1E19rocblas_complex_numIfEPKS1_KS3_KPS1_Ev13rocblas_fill_17rocblas_diagonal_iiT2_lPT3_llSB_llPT4_lli ; -- Begin function _ZL23rocblas_trmm_rTx_kernelILi16ELb1E19rocblas_complex_numIfEPKS1_KS3_KPS1_Ev13rocblas_fill_17rocblas_diagonal_iiT2_lPT3_llSB_llPT4_lli
	.p2align	8
	.type	_ZL23rocblas_trmm_rTx_kernelILi16ELb1E19rocblas_complex_numIfEPKS1_KS3_KPS1_Ev13rocblas_fill_17rocblas_diagonal_iiT2_lPT3_llSB_llPT4_lli,@function
_ZL23rocblas_trmm_rTx_kernelILi16ELb1E19rocblas_complex_numIfEPKS1_KS3_KPS1_Ev13rocblas_fill_17rocblas_diagonal_iiT2_lPT3_llSB_llPT4_lli: ; @_ZL23rocblas_trmm_rTx_kernelILi16ELb1E19rocblas_complex_numIfEPKS1_KS3_KPS1_Ev13rocblas_fill_17rocblas_diagonal_iiT2_lPT3_llSB_llPT4_lli
; %bb.0:
	s_load_b512 s[16:31], s[0:1], 0x10
	s_mov_b32 s35, 0
	s_waitcnt lgkmcnt(0)
	s_mul_i32 s3, s15, s19
	s_mul_hi_u32 s4, s15, s18
	s_mul_i32 s2, s15, s18
	s_add_i32 s3, s4, s3
	s_delay_alu instid0(SALU_CYCLE_1) | instskip(NEXT) | instid1(SALU_CYCLE_1)
	s_lshl_b64 s[2:3], s[2:3], 3
	s_add_u32 s2, s16, s2
	s_addc_u32 s3, s17, s3
	s_load_b64 s[12:13], s[2:3], 0x0
	s_waitcnt lgkmcnt(0)
	v_cmp_neq_f32_e64 s2, s12, 0
	v_cmp_neq_f32_e64 s3, s13, 0
	s_delay_alu instid0(VALU_DEP_1) | instskip(NEXT) | instid1(SALU_CYCLE_1)
	s_or_b32 s2, s2, s3
	s_and_not1_b32 vcc_lo, exec_lo, s2
	s_cbranch_vccnz .LBB178_15
; %bb.1:
	s_clause 0x1
	s_load_b128 s[4:7], s[0:1], 0x50
	s_load_b128 s[8:11], s[0:1], 0x0
	s_mov_b32 s34, s15
	v_bfe_u32 v1, v0, 10, 10
	s_lshl_b64 s[18:19], s[34:35], 3
	s_mov_b32 s34, s35
	s_add_u32 s2, s26, s18
	s_addc_u32 s3, s27, s19
	v_dual_mov_b32 v4, s34 :: v_dual_and_b32 v3, 0x3ff, v0
	v_dual_mov_b32 v5, s35 :: v_dual_lshlrev_b32 v0, 4, v1
	s_delay_alu instid0(VALU_DEP_1)
	v_add_lshl_u32 v2, v0, v3, 3
	v_lshlrev_b32_e32 v0, 3, v3
	s_waitcnt lgkmcnt(0)
	s_add_u32 s4, s4, s18
	s_addc_u32 s5, s5, s19
	s_load_b64 s[16:17], s[2:3], 0x0
	s_load_b64 s[4:5], s[4:5], 0x0
	v_cmp_gt_i32_e32 vcc_lo, s11, v1
	v_cmp_gt_i32_e64 s2, s11, v3
	ds_store_2addr_stride64_b64 v2, v[4:5], v[4:5] offset1:4
	s_and_b32 s2, vcc_lo, s2
	s_delay_alu instid0(SALU_CYCLE_1)
	s_and_saveexec_b32 s3, s2
	s_cbranch_execz .LBB178_3
; %bb.2:
	v_mad_u64_u32 v[4:5], null, v1, s22, 0
	s_add_u32 s18, s20, s18
	s_addc_u32 s19, s21, s19
	s_lshl_b64 s[20:21], s[24:25], 3
	s_load_b64 s[18:19], s[18:19], 0x0
	s_delay_alu instid0(VALU_DEP_1) | instskip(NEXT) | instid1(VALU_DEP_1)
	v_mad_u64_u32 v[6:7], null, v1, s23, v[5:6]
	v_mov_b32_e32 v5, v6
	s_delay_alu instid0(VALU_DEP_1) | instskip(SKIP_3) | instid1(VALU_DEP_1)
	v_lshlrev_b64 v[4:5], 3, v[4:5]
	s_waitcnt lgkmcnt(0)
	s_add_u32 s2, s18, s20
	s_addc_u32 s11, s19, s21
	v_add_co_u32 v4, s2, s2, v4
	s_delay_alu instid0(VALU_DEP_1) | instskip(NEXT) | instid1(VALU_DEP_2)
	v_add_co_ci_u32_e64 v5, s2, s11, v5, s2
	v_add_co_u32 v4, s2, v4, v0
	s_delay_alu instid0(VALU_DEP_1)
	v_add_co_ci_u32_e64 v5, s2, 0, v5, s2
	global_load_b64 v[4:5], v[4:5], off
	s_waitcnt vmcnt(0)
	v_xor_b32_e32 v5, 0x80000000, v5
	ds_store_b64 v2, v[4:5]
.LBB178_3:
	s_or_b32 exec_lo, exec_lo, s3
	s_add_i32 s2, s10, -1
	s_delay_alu instid0(SALU_CYCLE_1) | instskip(NEXT) | instid1(SALU_CYCLE_1)
	s_ashr_i32 s3, s2, 31
	s_lshr_b32 s3, s3, 28
	s_delay_alu instid0(SALU_CYCLE_1) | instskip(NEXT) | instid1(SALU_CYCLE_1)
	s_add_i32 s2, s2, s3
	s_and_b32 s3, s2, -16
	s_ashr_i32 s2, s2, 4
	s_sub_i32 s3, s10, s3
	s_cmp_ge_i32 s14, s2
	s_cselect_b32 s2, s3, 16
	s_lshl_b32 s10, s14, 4
	v_cmp_gt_i32_e64 s2, s2, v3
	s_ashr_i32 s11, s10, 31
	s_delay_alu instid0(VALU_DEP_1) | instskip(NEXT) | instid1(SALU_CYCLE_1)
	s_and_b32 s2, vcc_lo, s2
	s_and_saveexec_b32 s3, s2
	s_cbranch_execz .LBB178_5
; %bb.4:
	v_mad_u64_u32 v[4:5], null, v1, s28, 0
	s_lshl_b64 s[14:15], s[30:31], 3
	s_waitcnt lgkmcnt(0)
	s_add_u32 s16, s16, s14
	s_addc_u32 s17, s17, s15
	s_lshl_b64 s[14:15], s[10:11], 3
	s_delay_alu instid0(SALU_CYCLE_1) | instskip(NEXT) | instid1(VALU_DEP_1)
	s_add_u32 s14, s16, s14
	v_mad_u64_u32 v[6:7], null, v1, s29, v[5:6]
	s_addc_u32 s15, s17, s15
	s_delay_alu instid0(VALU_DEP_1) | instskip(NEXT) | instid1(VALU_DEP_1)
	v_dual_mov_b32 v5, v6 :: v_dual_add_nc_u32 v6, 0x800, v2
	v_lshlrev_b64 v[4:5], 3, v[4:5]
	s_delay_alu instid0(VALU_DEP_1) | instskip(NEXT) | instid1(VALU_DEP_2)
	v_add_co_u32 v4, vcc_lo, s14, v4
	v_add_co_ci_u32_e32 v5, vcc_lo, s15, v5, vcc_lo
	s_delay_alu instid0(VALU_DEP_2) | instskip(NEXT) | instid1(VALU_DEP_2)
	v_add_co_u32 v4, vcc_lo, v4, v0
	v_add_co_ci_u32_e32 v5, vcc_lo, 0, v5, vcc_lo
	global_load_b64 v[4:5], v[4:5], off
	s_waitcnt vmcnt(0)
	ds_store_b64 v6, v[4:5]
.LBB178_5:
	s_or_b32 exec_lo, exec_lo, s3
	v_cmp_eq_u32_e32 vcc_lo, v1, v3
	s_cmpk_eq_i32 s9, 0x84
	s_cselect_b32 s3, -1, 0
	s_delay_alu instid0(SALU_CYCLE_1) | instskip(NEXT) | instid1(SALU_CYCLE_1)
	s_and_b32 s9, vcc_lo, s3
	s_and_saveexec_b32 s3, s9
	s_cbranch_execz .LBB178_7
; %bb.6:
	v_dual_mov_b32 v4, 1.0 :: v_dual_mov_b32 v5, 0
	ds_store_b64 v2, v[4:5]
.LBB178_7:
	s_or_b32 exec_lo, exec_lo, s3
	s_cmpk_lg_i32 s8, 0x79
	s_cbranch_scc0 .LBB178_9
; %bb.8:
	v_cmp_lt_u32_e32 vcc_lo, v3, v1
	s_and_b32 s3, vcc_lo, exec_lo
	s_cbranch_execz .LBB178_10
	s_branch .LBB178_11
.LBB178_9:
	s_mov_b32 s3, 0
.LBB178_10:
	v_cmp_gt_u32_e32 vcc_lo, v3, v1
	s_and_not1_b32 s3, s3, exec_lo
	s_and_b32 s8, vcc_lo, exec_lo
	s_delay_alu instid0(SALU_CYCLE_1)
	s_or_b32 s3, s3, s8
.LBB178_11:
	s_delay_alu instid0(SALU_CYCLE_1)
	s_and_saveexec_b32 s8, s3
	s_cbranch_execz .LBB178_13
; %bb.12:
	v_mov_b32_e32 v3, 0
	s_delay_alu instid0(VALU_DEP_1)
	v_mov_b32_e32 v4, v3
	ds_store_b64 v2, v[3:4]
.LBB178_13:
	s_or_b32 exec_lo, exec_lo, s8
	s_waitcnt lgkmcnt(0)
	s_barrier
	buffer_gl0_inv
	s_and_saveexec_b32 s3, s2
	s_cbranch_execz .LBB178_15
; %bb.14:
	v_lshlrev_b32_e32 v58, 3, v1
	v_add_nc_u32_e32 v62, 0x800, v0
	s_load_b64 s[0:1], s[0:1], 0x60
	ds_load_2addr_b64 v[2:5], v58 offset1:16
	ds_load_2addr_b64 v[6:9], v62 offset1:16
	ds_load_2addr_b64 v[10:13], v58 offset0:32 offset1:48
	ds_load_2addr_b64 v[14:17], v62 offset0:32 offset1:48
	;; [unrolled: 1-line block ×12, first 2 shown]
	s_waitcnt lgkmcnt(0)
	v_dual_mul_f32 v67, v4, v9 :: v_dual_mul_f32 v66, v2, v7
	v_dual_mul_f32 v69, v12, v17 :: v_dual_mul_f32 v68, v10, v15
	;; [unrolled: 1-line block ×3, first 2 shown]
	s_delay_alu instid0(VALU_DEP_3) | instskip(SKIP_1) | instid1(VALU_DEP_4)
	v_dual_mul_f32 v73, v28, v33 :: v_dual_fmac_f32 v66, v3, v6
	v_mul_f32_e32 v3, v3, v7
	v_dual_fmac_f32 v68, v11, v14 :: v_dual_fmac_f32 v69, v13, v16
	v_dual_mul_f32 v76, v42, v47 :: v_dual_fmac_f32 v67, v5, v8
	v_dual_mul_f32 v5, v5, v9 :: v_dual_mul_f32 v78, v50, v55
	v_dual_add_f32 v7, 0, v66 :: v_dual_mul_f32 v66, v52, v57
	v_fma_f32 v2, v2, v6, -v3
	v_mul_f32_e32 v6, v11, v15
	s_delay_alu instid0(VALU_DEP_4) | instskip(SKIP_1) | instid1(VALU_DEP_4)
	v_fma_f32 v4, v4, v8, -v5
	v_mul_f32_e32 v5, v13, v17
	v_dual_add_f32 v3, v7, v67 :: v_dual_add_f32 v2, 0, v2
	v_dual_fmac_f32 v70, v19, v22 :: v_dual_fmac_f32 v71, v21, v24
	v_fma_f32 v6, v10, v14, -v6
	s_delay_alu instid0(VALU_DEP_3) | instskip(NEXT) | instid1(VALU_DEP_4)
	v_add_f32_e32 v3, v3, v68
	v_add_f32_e32 v2, v2, v4
	v_dual_mul_f32 v72, v26, v31 :: v_dual_mul_f32 v75, v36, v41
	v_dual_mul_f32 v4, v19, v23 :: v_dual_fmac_f32 v73, v29, v32
	s_delay_alu instid0(VALU_DEP_4) | instskip(SKIP_1) | instid1(VALU_DEP_4)
	v_add_f32_e32 v3, v3, v69
	v_fma_f32 v5, v12, v16, -v5
	v_dual_fmac_f32 v72, v27, v30 :: v_dual_fmac_f32 v75, v37, v40
	s_delay_alu instid0(VALU_DEP_4) | instskip(NEXT) | instid1(VALU_DEP_4)
	v_fma_f32 v4, v18, v22, -v4
	v_add_f32_e32 v3, v3, v70
	v_add_f32_e32 v2, v2, v6
	v_mul_f32_e32 v6, v21, v25
	v_dual_mul_f32 v74, v34, v39 :: v_dual_mul_f32 v77, v44, v49
	s_delay_alu instid0(VALU_DEP_3) | instskip(SKIP_1) | instid1(VALU_DEP_4)
	v_dual_add_f32 v3, v3, v71 :: v_dual_add_f32 v2, v2, v5
	v_mul_f32_e32 v5, v27, v31
	v_fma_f32 v6, v20, v24, -v6
	s_delay_alu instid0(VALU_DEP_4) | instskip(NEXT) | instid1(VALU_DEP_4)
	v_fmac_f32_e32 v74, v35, v38
	v_add_f32_e32 v3, v3, v72
	v_add_f32_e32 v2, v2, v4
	v_mul_f32_e32 v4, v29, v33
	v_fma_f32 v5, v26, v30, -v5
	ds_load_2addr_b64 v[58:61], v58 offset0:224 offset1:240
	ds_load_2addr_b64 v[62:65], v62 offset0:224 offset1:240
	v_dual_add_f32 v3, v3, v73 :: v_dual_add_f32 v2, v2, v6
	v_dual_mul_f32 v6, v35, v39 :: v_dual_fmac_f32 v77, v45, v48
	v_fma_f32 v4, v28, v32, -v4
	v_dual_fmac_f32 v76, v43, v46 :: v_dual_mul_f32 v7, v53, v57
	s_delay_alu instid0(VALU_DEP_4)
	v_add_f32_e32 v2, v2, v5
	v_mul_f32_e32 v5, v37, v41
	v_add_f32_e32 v3, v3, v74
	v_fma_f32 v6, v34, v38, -v6
	v_fmac_f32_e32 v78, v51, v54
	v_fmac_f32_e32 v66, v53, v56
	v_fma_f32 v5, v36, v40, -v5
	v_add_f32_e32 v3, v3, v75
	s_lshl_b64 s[0:1], s[0:1], 3
	s_delay_alu instid0(SALU_CYCLE_1) | instskip(SKIP_1) | instid1(VALU_DEP_1)
	s_add_u32 s2, s4, s0
	s_addc_u32 s3, s5, s1
	v_add_f32_e32 v3, v3, v76
	s_waitcnt lgkmcnt(0)
	v_dual_add_f32 v2, v2, v4 :: v_dual_mul_f32 v9, v60, v65
	v_mul_f32_e32 v10, v61, v65
	s_lshl_b64 s[0:1], s[10:11], 3
	s_delay_alu instid0(VALU_DEP_2) | instskip(SKIP_3) | instid1(VALU_DEP_2)
	v_dual_add_f32 v3, v3, v77 :: v_dual_add_f32 v2, v2, v6
	v_mul_f32_e32 v6, v45, v49
	s_add_u32 s0, s2, s0
	s_addc_u32 s1, s3, s1
	v_dual_add_f32 v3, v3, v78 :: v_dual_add_f32 v2, v2, v5
	v_mul_f32_e32 v5, v51, v55
	v_fma_f32 v6, v44, v48, -v6
	v_fmac_f32_e32 v9, v61, v64
	s_delay_alu instid0(VALU_DEP_3) | instskip(SKIP_1) | instid1(VALU_DEP_1)
	v_fma_f32 v5, v50, v54, -v5
	v_mul_f32_e32 v4, v43, v47
	v_fma_f32 v4, v42, v46, -v4
	s_delay_alu instid0(VALU_DEP_1) | instskip(SKIP_1) | instid1(VALU_DEP_2)
	v_add_f32_e32 v2, v2, v4
	v_mul_f32_e32 v4, v58, v63
	v_add_f32_e32 v6, v2, v6
	s_delay_alu instid0(VALU_DEP_1) | instskip(SKIP_1) | instid1(VALU_DEP_1)
	v_dual_fmac_f32 v4, v59, v62 :: v_dual_add_f32 v5, v6, v5
	v_fma_f32 v6, v52, v56, -v7
	v_dual_mul_f32 v7, v59, v63 :: v_dual_add_f32 v6, v5, v6
	s_delay_alu instid0(VALU_DEP_1) | instskip(SKIP_2) | instid1(VALU_DEP_2)
	v_fma_f32 v7, v58, v62, -v7
	v_add_f32_e32 v8, v3, v66
	v_mad_u64_u32 v[2:3], null, v1, s6, 0
	v_add_f32_e32 v8, v8, v4
	s_delay_alu instid0(VALU_DEP_2) | instskip(SKIP_2) | instid1(VALU_DEP_4)
	v_mad_u64_u32 v[4:5], null, v1, s7, v[3:4]
	v_add_f32_e32 v1, v6, v7
	v_fma_f32 v5, v60, v64, -v10
	v_add_f32_e32 v6, v8, v9
	s_delay_alu instid0(VALU_DEP_4) | instskip(NEXT) | instid1(VALU_DEP_2)
	v_mov_b32_e32 v3, v4
	v_dual_add_f32 v5, v1, v5 :: v_dual_mul_f32 v4, s12, v6
	s_delay_alu instid0(VALU_DEP_2) | instskip(NEXT) | instid1(VALU_DEP_2)
	v_lshlrev_b64 v[1:2], 3, v[2:3]
	v_dual_mul_f32 v3, s13, v6 :: v_dual_fmac_f32 v4, s13, v5
	s_delay_alu instid0(VALU_DEP_2) | instskip(NEXT) | instid1(VALU_DEP_3)
	v_add_co_u32 v1, vcc_lo, s0, v1
	v_add_co_ci_u32_e32 v2, vcc_lo, s1, v2, vcc_lo
	s_delay_alu instid0(VALU_DEP_3) | instskip(NEXT) | instid1(VALU_DEP_3)
	v_fma_f32 v3, s12, v5, -v3
	v_add_co_u32 v0, vcc_lo, v1, v0
	s_delay_alu instid0(VALU_DEP_3)
	v_add_co_ci_u32_e32 v1, vcc_lo, 0, v2, vcc_lo
	global_store_b64 v[0:1], v[3:4], off
.LBB178_15:
	s_nop 0
	s_sendmsg sendmsg(MSG_DEALLOC_VGPRS)
	s_endpgm
	.section	.rodata,"a",@progbits
	.p2align	6, 0x0
	.amdhsa_kernel _ZL23rocblas_trmm_rTx_kernelILi16ELb1E19rocblas_complex_numIfEPKS1_KS3_KPS1_Ev13rocblas_fill_17rocblas_diagonal_iiT2_lPT3_llSB_llPT4_lli
		.amdhsa_group_segment_fixed_size 4096
		.amdhsa_private_segment_fixed_size 0
		.amdhsa_kernarg_size 108
		.amdhsa_user_sgpr_count 14
		.amdhsa_user_sgpr_dispatch_ptr 0
		.amdhsa_user_sgpr_queue_ptr 0
		.amdhsa_user_sgpr_kernarg_segment_ptr 1
		.amdhsa_user_sgpr_dispatch_id 0
		.amdhsa_user_sgpr_private_segment_size 0
		.amdhsa_wavefront_size32 1
		.amdhsa_uses_dynamic_stack 0
		.amdhsa_enable_private_segment 0
		.amdhsa_system_sgpr_workgroup_id_x 1
		.amdhsa_system_sgpr_workgroup_id_y 0
		.amdhsa_system_sgpr_workgroup_id_z 1
		.amdhsa_system_sgpr_workgroup_info 0
		.amdhsa_system_vgpr_workitem_id 1
		.amdhsa_next_free_vgpr 79
		.amdhsa_next_free_sgpr 36
		.amdhsa_reserve_vcc 1
		.amdhsa_float_round_mode_32 0
		.amdhsa_float_round_mode_16_64 0
		.amdhsa_float_denorm_mode_32 3
		.amdhsa_float_denorm_mode_16_64 3
		.amdhsa_dx10_clamp 1
		.amdhsa_ieee_mode 1
		.amdhsa_fp16_overflow 0
		.amdhsa_workgroup_processor_mode 1
		.amdhsa_memory_ordered 1
		.amdhsa_forward_progress 0
		.amdhsa_shared_vgpr_count 0
		.amdhsa_exception_fp_ieee_invalid_op 0
		.amdhsa_exception_fp_denorm_src 0
		.amdhsa_exception_fp_ieee_div_zero 0
		.amdhsa_exception_fp_ieee_overflow 0
		.amdhsa_exception_fp_ieee_underflow 0
		.amdhsa_exception_fp_ieee_inexact 0
		.amdhsa_exception_int_div_zero 0
	.end_amdhsa_kernel
	.section	.text._ZL23rocblas_trmm_rTx_kernelILi16ELb1E19rocblas_complex_numIfEPKS1_KS3_KPS1_Ev13rocblas_fill_17rocblas_diagonal_iiT2_lPT3_llSB_llPT4_lli,"axG",@progbits,_ZL23rocblas_trmm_rTx_kernelILi16ELb1E19rocblas_complex_numIfEPKS1_KS3_KPS1_Ev13rocblas_fill_17rocblas_diagonal_iiT2_lPT3_llSB_llPT4_lli,comdat
.Lfunc_end178:
	.size	_ZL23rocblas_trmm_rTx_kernelILi16ELb1E19rocblas_complex_numIfEPKS1_KS3_KPS1_Ev13rocblas_fill_17rocblas_diagonal_iiT2_lPT3_llSB_llPT4_lli, .Lfunc_end178-_ZL23rocblas_trmm_rTx_kernelILi16ELb1E19rocblas_complex_numIfEPKS1_KS3_KPS1_Ev13rocblas_fill_17rocblas_diagonal_iiT2_lPT3_llSB_llPT4_lli
                                        ; -- End function
	.section	.AMDGPU.csdata,"",@progbits
; Kernel info:
; codeLenInByte = 1540
; NumSgprs: 38
; NumVgprs: 79
; ScratchSize: 0
; MemoryBound: 0
; FloatMode: 240
; IeeeMode: 1
; LDSByteSize: 4096 bytes/workgroup (compile time only)
; SGPRBlocks: 4
; VGPRBlocks: 9
; NumSGPRsForWavesPerEU: 38
; NumVGPRsForWavesPerEU: 79
; Occupancy: 16
; WaveLimiterHint : 1
; COMPUTE_PGM_RSRC2:SCRATCH_EN: 0
; COMPUTE_PGM_RSRC2:USER_SGPR: 14
; COMPUTE_PGM_RSRC2:TRAP_HANDLER: 0
; COMPUTE_PGM_RSRC2:TGID_X_EN: 1
; COMPUTE_PGM_RSRC2:TGID_Y_EN: 0
; COMPUTE_PGM_RSRC2:TGID_Z_EN: 1
; COMPUTE_PGM_RSRC2:TIDIG_COMP_CNT: 1
	.section	.text._ZL23rocblas_trmm_rTx_kernelILi16ELb1E19rocblas_complex_numIfES1_KPKS1_KPS1_Ev13rocblas_fill_17rocblas_diagonal_iiT2_lPT3_llSB_llPT4_lli,"axG",@progbits,_ZL23rocblas_trmm_rTx_kernelILi16ELb1E19rocblas_complex_numIfES1_KPKS1_KPS1_Ev13rocblas_fill_17rocblas_diagonal_iiT2_lPT3_llSB_llPT4_lli,comdat
	.globl	_ZL23rocblas_trmm_rTx_kernelILi16ELb1E19rocblas_complex_numIfES1_KPKS1_KPS1_Ev13rocblas_fill_17rocblas_diagonal_iiT2_lPT3_llSB_llPT4_lli ; -- Begin function _ZL23rocblas_trmm_rTx_kernelILi16ELb1E19rocblas_complex_numIfES1_KPKS1_KPS1_Ev13rocblas_fill_17rocblas_diagonal_iiT2_lPT3_llSB_llPT4_lli
	.p2align	8
	.type	_ZL23rocblas_trmm_rTx_kernelILi16ELb1E19rocblas_complex_numIfES1_KPKS1_KPS1_Ev13rocblas_fill_17rocblas_diagonal_iiT2_lPT3_llSB_llPT4_lli,@function
_ZL23rocblas_trmm_rTx_kernelILi16ELb1E19rocblas_complex_numIfES1_KPKS1_KPS1_Ev13rocblas_fill_17rocblas_diagonal_iiT2_lPT3_llSB_llPT4_lli: ; @_ZL23rocblas_trmm_rTx_kernelILi16ELb1E19rocblas_complex_numIfES1_KPKS1_KPS1_Ev13rocblas_fill_17rocblas_diagonal_iiT2_lPT3_llSB_llPT4_lli
; %bb.0:
	s_load_b64 s[8:9], s[0:1], 0x10
	s_mov_b32 s37, 0
	s_waitcnt lgkmcnt(0)
	v_cmp_neq_f32_e64 s2, s8, 0
	v_cmp_neq_f32_e64 s3, s9, 0
	s_delay_alu instid0(VALU_DEP_1) | instskip(NEXT) | instid1(SALU_CYCLE_1)
	s_or_b32 s2, s2, s3
	s_and_not1_b32 vcc_lo, exec_lo, s2
	s_cbranch_vccnz .LBB179_15
; %bb.1:
	s_clause 0x1
	s_load_b512 s[16:31], s[0:1], 0x20
	s_load_b128 s[4:7], s[0:1], 0x0
	s_mov_b32 s36, s15
	v_bfe_u32 v1, v0, 10, 10
	s_lshl_b64 s[34:35], s[36:37], 3
	s_mov_b32 s36, s37
	s_delay_alu instid0(SALU_CYCLE_1) | instskip(NEXT) | instid1(VALU_DEP_2)
	v_dual_mov_b32 v4, s36 :: v_dual_and_b32 v3, 0x3ff, v0
	v_dual_mov_b32 v5, s37 :: v_dual_lshlrev_b32 v0, 4, v1
	s_delay_alu instid0(VALU_DEP_1)
	v_add_lshl_u32 v2, v0, v3, 3
	v_lshlrev_b32_e32 v0, 3, v3
	s_waitcnt lgkmcnt(0)
	s_add_u32 s2, s22, s34
	s_addc_u32 s3, s23, s35
	s_add_u32 s10, s28, s34
	s_addc_u32 s11, s29, s35
	s_load_b64 s[12:13], s[2:3], 0x0
	s_load_b64 s[10:11], s[10:11], 0x0
	v_cmp_gt_i32_e32 vcc_lo, s7, v1
	v_cmp_gt_i32_e64 s2, s7, v3
	ds_store_2addr_stride64_b64 v2, v[4:5], v[4:5] offset1:4
	s_and_b32 s2, vcc_lo, s2
	s_delay_alu instid0(SALU_CYCLE_1)
	s_and_saveexec_b32 s3, s2
	s_cbranch_execz .LBB179_3
; %bb.2:
	v_mad_u64_u32 v[4:5], null, v1, s18, 0
	s_add_u32 s16, s16, s34
	s_addc_u32 s17, s17, s35
	s_load_b64 s[16:17], s[16:17], 0x0
	s_delay_alu instid0(VALU_DEP_1) | instskip(SKIP_1) | instid1(VALU_DEP_1)
	v_mad_u64_u32 v[6:7], null, v1, s19, v[5:6]
	s_lshl_b64 s[18:19], s[20:21], 3
	v_mov_b32_e32 v5, v6
	s_delay_alu instid0(VALU_DEP_1) | instskip(SKIP_3) | instid1(VALU_DEP_1)
	v_lshlrev_b64 v[4:5], 3, v[4:5]
	s_waitcnt lgkmcnt(0)
	s_add_u32 s2, s16, s18
	s_addc_u32 s7, s17, s19
	v_add_co_u32 v4, s2, s2, v4
	s_delay_alu instid0(VALU_DEP_1) | instskip(NEXT) | instid1(VALU_DEP_2)
	v_add_co_ci_u32_e64 v5, s2, s7, v5, s2
	v_add_co_u32 v4, s2, v4, v0
	s_delay_alu instid0(VALU_DEP_1)
	v_add_co_ci_u32_e64 v5, s2, 0, v5, s2
	global_load_b64 v[4:5], v[4:5], off
	s_waitcnt vmcnt(0)
	v_xor_b32_e32 v5, 0x80000000, v5
	ds_store_b64 v2, v[4:5]
.LBB179_3:
	s_or_b32 exec_lo, exec_lo, s3
	s_add_i32 s2, s6, -1
	s_delay_alu instid0(SALU_CYCLE_1) | instskip(NEXT) | instid1(SALU_CYCLE_1)
	s_ashr_i32 s3, s2, 31
	s_lshr_b32 s3, s3, 28
	s_delay_alu instid0(SALU_CYCLE_1) | instskip(NEXT) | instid1(SALU_CYCLE_1)
	s_add_i32 s2, s2, s3
	s_and_b32 s3, s2, -16
	s_ashr_i32 s2, s2, 4
	s_sub_i32 s3, s6, s3
	s_cmp_ge_i32 s14, s2
	s_cselect_b32 s2, s3, 16
	s_lshl_b32 s6, s14, 4
	v_cmp_gt_i32_e64 s2, s2, v3
	s_ashr_i32 s7, s6, 31
	s_delay_alu instid0(VALU_DEP_1) | instskip(NEXT) | instid1(SALU_CYCLE_1)
	s_and_b32 s2, vcc_lo, s2
	s_and_saveexec_b32 s3, s2
	s_cbranch_execz .LBB179_5
; %bb.4:
	v_mad_u64_u32 v[4:5], null, v1, s24, 0
	s_lshl_b64 s[14:15], s[26:27], 3
	s_waitcnt lgkmcnt(0)
	s_add_u32 s14, s12, s14
	s_addc_u32 s15, s13, s15
	s_lshl_b64 s[12:13], s[6:7], 3
	s_delay_alu instid0(SALU_CYCLE_1) | instskip(NEXT) | instid1(VALU_DEP_1)
	s_add_u32 s12, s14, s12
	v_mad_u64_u32 v[6:7], null, v1, s25, v[5:6]
	s_addc_u32 s13, s15, s13
	s_delay_alu instid0(VALU_DEP_1) | instskip(NEXT) | instid1(VALU_DEP_1)
	v_dual_mov_b32 v5, v6 :: v_dual_add_nc_u32 v6, 0x800, v2
	v_lshlrev_b64 v[4:5], 3, v[4:5]
	s_delay_alu instid0(VALU_DEP_1) | instskip(NEXT) | instid1(VALU_DEP_2)
	v_add_co_u32 v4, vcc_lo, s12, v4
	v_add_co_ci_u32_e32 v5, vcc_lo, s13, v5, vcc_lo
	s_delay_alu instid0(VALU_DEP_2) | instskip(NEXT) | instid1(VALU_DEP_2)
	v_add_co_u32 v4, vcc_lo, v4, v0
	v_add_co_ci_u32_e32 v5, vcc_lo, 0, v5, vcc_lo
	global_load_b64 v[4:5], v[4:5], off
	s_waitcnt vmcnt(0)
	ds_store_b64 v6, v[4:5]
.LBB179_5:
	s_or_b32 exec_lo, exec_lo, s3
	v_cmp_eq_u32_e32 vcc_lo, v1, v3
	s_cmpk_eq_i32 s5, 0x84
	s_cselect_b32 s3, -1, 0
	s_delay_alu instid0(SALU_CYCLE_1) | instskip(NEXT) | instid1(SALU_CYCLE_1)
	s_and_b32 s5, vcc_lo, s3
	s_and_saveexec_b32 s3, s5
	s_cbranch_execz .LBB179_7
; %bb.6:
	v_dual_mov_b32 v4, 1.0 :: v_dual_mov_b32 v5, 0
	ds_store_b64 v2, v[4:5]
.LBB179_7:
	s_or_b32 exec_lo, exec_lo, s3
	s_cmpk_lg_i32 s4, 0x79
	s_cbranch_scc0 .LBB179_9
; %bb.8:
	v_cmp_lt_u32_e32 vcc_lo, v3, v1
	s_and_b32 s3, vcc_lo, exec_lo
	s_cbranch_execz .LBB179_10
	s_branch .LBB179_11
.LBB179_9:
	s_mov_b32 s3, 0
.LBB179_10:
	v_cmp_gt_u32_e32 vcc_lo, v3, v1
	s_and_not1_b32 s3, s3, exec_lo
	s_and_b32 s4, vcc_lo, exec_lo
	s_delay_alu instid0(SALU_CYCLE_1)
	s_or_b32 s3, s3, s4
.LBB179_11:
	s_delay_alu instid0(SALU_CYCLE_1)
	s_and_saveexec_b32 s4, s3
	s_cbranch_execz .LBB179_13
; %bb.12:
	v_mov_b32_e32 v3, 0
	s_delay_alu instid0(VALU_DEP_1)
	v_mov_b32_e32 v4, v3
	ds_store_b64 v2, v[3:4]
.LBB179_13:
	s_or_b32 exec_lo, exec_lo, s4
	s_waitcnt lgkmcnt(0)
	s_barrier
	buffer_gl0_inv
	s_and_saveexec_b32 s3, s2
	s_cbranch_execz .LBB179_15
; %bb.14:
	v_lshlrev_b32_e32 v58, 3, v1
	v_add_nc_u32_e32 v62, 0x800, v0
	s_load_b64 s[0:1], s[0:1], 0x60
	ds_load_2addr_b64 v[2:5], v58 offset1:16
	ds_load_2addr_b64 v[6:9], v62 offset1:16
	ds_load_2addr_b64 v[10:13], v58 offset0:32 offset1:48
	ds_load_2addr_b64 v[14:17], v62 offset0:32 offset1:48
	;; [unrolled: 1-line block ×12, first 2 shown]
	s_waitcnt lgkmcnt(0)
	v_dual_mul_f32 v67, v4, v9 :: v_dual_mul_f32 v66, v2, v7
	v_dual_mul_f32 v69, v12, v17 :: v_dual_mul_f32 v68, v10, v15
	;; [unrolled: 1-line block ×3, first 2 shown]
	s_delay_alu instid0(VALU_DEP_3) | instskip(SKIP_1) | instid1(VALU_DEP_4)
	v_dual_mul_f32 v73, v28, v33 :: v_dual_fmac_f32 v66, v3, v6
	v_mul_f32_e32 v3, v3, v7
	v_dual_fmac_f32 v68, v11, v14 :: v_dual_fmac_f32 v69, v13, v16
	v_dual_mul_f32 v76, v42, v47 :: v_dual_fmac_f32 v67, v5, v8
	v_dual_mul_f32 v5, v5, v9 :: v_dual_mul_f32 v78, v50, v55
	v_dual_add_f32 v7, 0, v66 :: v_dual_mul_f32 v66, v52, v57
	v_fma_f32 v2, v2, v6, -v3
	v_mul_f32_e32 v6, v11, v15
	s_delay_alu instid0(VALU_DEP_4) | instskip(SKIP_1) | instid1(VALU_DEP_4)
	v_fma_f32 v4, v4, v8, -v5
	v_mul_f32_e32 v5, v13, v17
	v_dual_add_f32 v3, v7, v67 :: v_dual_add_f32 v2, 0, v2
	v_dual_fmac_f32 v70, v19, v22 :: v_dual_fmac_f32 v71, v21, v24
	v_fma_f32 v6, v10, v14, -v6
	s_delay_alu instid0(VALU_DEP_3) | instskip(NEXT) | instid1(VALU_DEP_4)
	v_add_f32_e32 v3, v3, v68
	v_add_f32_e32 v2, v2, v4
	v_dual_mul_f32 v72, v26, v31 :: v_dual_mul_f32 v75, v36, v41
	v_dual_mul_f32 v4, v19, v23 :: v_dual_fmac_f32 v73, v29, v32
	s_delay_alu instid0(VALU_DEP_4) | instskip(SKIP_1) | instid1(VALU_DEP_4)
	v_add_f32_e32 v3, v3, v69
	v_fma_f32 v5, v12, v16, -v5
	v_dual_fmac_f32 v72, v27, v30 :: v_dual_fmac_f32 v75, v37, v40
	s_delay_alu instid0(VALU_DEP_4) | instskip(NEXT) | instid1(VALU_DEP_4)
	v_fma_f32 v4, v18, v22, -v4
	v_add_f32_e32 v3, v3, v70
	v_add_f32_e32 v2, v2, v6
	v_mul_f32_e32 v6, v21, v25
	v_dual_mul_f32 v74, v34, v39 :: v_dual_mul_f32 v77, v44, v49
	s_delay_alu instid0(VALU_DEP_3) | instskip(SKIP_1) | instid1(VALU_DEP_4)
	v_dual_add_f32 v3, v3, v71 :: v_dual_add_f32 v2, v2, v5
	v_mul_f32_e32 v5, v27, v31
	v_fma_f32 v6, v20, v24, -v6
	s_delay_alu instid0(VALU_DEP_4) | instskip(NEXT) | instid1(VALU_DEP_4)
	v_fmac_f32_e32 v74, v35, v38
	v_add_f32_e32 v3, v3, v72
	v_add_f32_e32 v2, v2, v4
	v_mul_f32_e32 v4, v29, v33
	v_fma_f32 v5, v26, v30, -v5
	ds_load_2addr_b64 v[58:61], v58 offset0:224 offset1:240
	ds_load_2addr_b64 v[62:65], v62 offset0:224 offset1:240
	v_dual_add_f32 v3, v3, v73 :: v_dual_add_f32 v2, v2, v6
	v_dual_mul_f32 v6, v35, v39 :: v_dual_fmac_f32 v77, v45, v48
	v_fma_f32 v4, v28, v32, -v4
	v_dual_fmac_f32 v76, v43, v46 :: v_dual_mul_f32 v7, v53, v57
	s_delay_alu instid0(VALU_DEP_4)
	v_add_f32_e32 v2, v2, v5
	v_mul_f32_e32 v5, v37, v41
	v_add_f32_e32 v3, v3, v74
	v_fma_f32 v6, v34, v38, -v6
	v_fmac_f32_e32 v78, v51, v54
	v_fmac_f32_e32 v66, v53, v56
	v_fma_f32 v5, v36, v40, -v5
	v_add_f32_e32 v3, v3, v75
	s_lshl_b64 s[0:1], s[0:1], 3
	s_delay_alu instid0(SALU_CYCLE_1) | instskip(SKIP_1) | instid1(VALU_DEP_1)
	s_add_u32 s2, s10, s0
	s_addc_u32 s3, s11, s1
	v_add_f32_e32 v3, v3, v76
	s_waitcnt lgkmcnt(0)
	v_dual_add_f32 v2, v2, v4 :: v_dual_mul_f32 v9, v60, v65
	v_mul_f32_e32 v10, v61, v65
	s_lshl_b64 s[0:1], s[6:7], 3
	s_delay_alu instid0(VALU_DEP_2) | instskip(SKIP_3) | instid1(VALU_DEP_2)
	v_dual_add_f32 v3, v3, v77 :: v_dual_add_f32 v2, v2, v6
	v_mul_f32_e32 v6, v45, v49
	s_add_u32 s0, s2, s0
	s_addc_u32 s1, s3, s1
	v_dual_add_f32 v3, v3, v78 :: v_dual_add_f32 v2, v2, v5
	v_mul_f32_e32 v5, v51, v55
	v_fma_f32 v6, v44, v48, -v6
	v_fmac_f32_e32 v9, v61, v64
	s_delay_alu instid0(VALU_DEP_3) | instskip(SKIP_1) | instid1(VALU_DEP_1)
	v_fma_f32 v5, v50, v54, -v5
	v_mul_f32_e32 v4, v43, v47
	v_fma_f32 v4, v42, v46, -v4
	s_delay_alu instid0(VALU_DEP_1) | instskip(SKIP_1) | instid1(VALU_DEP_2)
	v_add_f32_e32 v2, v2, v4
	v_mul_f32_e32 v4, v58, v63
	v_add_f32_e32 v6, v2, v6
	s_delay_alu instid0(VALU_DEP_1) | instskip(SKIP_1) | instid1(VALU_DEP_1)
	v_dual_fmac_f32 v4, v59, v62 :: v_dual_add_f32 v5, v6, v5
	v_fma_f32 v6, v52, v56, -v7
	v_dual_mul_f32 v7, v59, v63 :: v_dual_add_f32 v6, v5, v6
	s_delay_alu instid0(VALU_DEP_1) | instskip(SKIP_2) | instid1(VALU_DEP_2)
	v_fma_f32 v7, v58, v62, -v7
	v_add_f32_e32 v8, v3, v66
	v_mad_u64_u32 v[2:3], null, v1, s30, 0
	v_add_f32_e32 v8, v8, v4
	s_delay_alu instid0(VALU_DEP_2) | instskip(SKIP_2) | instid1(VALU_DEP_4)
	v_mad_u64_u32 v[4:5], null, v1, s31, v[3:4]
	v_add_f32_e32 v1, v6, v7
	v_fma_f32 v5, v60, v64, -v10
	v_add_f32_e32 v6, v8, v9
	s_delay_alu instid0(VALU_DEP_4) | instskip(NEXT) | instid1(VALU_DEP_2)
	v_mov_b32_e32 v3, v4
	v_dual_add_f32 v5, v1, v5 :: v_dual_mul_f32 v4, s8, v6
	s_delay_alu instid0(VALU_DEP_2) | instskip(NEXT) | instid1(VALU_DEP_2)
	v_lshlrev_b64 v[1:2], 3, v[2:3]
	v_dual_mul_f32 v3, s9, v6 :: v_dual_fmac_f32 v4, s9, v5
	s_delay_alu instid0(VALU_DEP_2) | instskip(NEXT) | instid1(VALU_DEP_3)
	v_add_co_u32 v1, vcc_lo, s0, v1
	v_add_co_ci_u32_e32 v2, vcc_lo, s1, v2, vcc_lo
	s_delay_alu instid0(VALU_DEP_3) | instskip(NEXT) | instid1(VALU_DEP_3)
	v_fma_f32 v3, s8, v5, -v3
	v_add_co_u32 v0, vcc_lo, v1, v0
	s_delay_alu instid0(VALU_DEP_3)
	v_add_co_ci_u32_e32 v1, vcc_lo, 0, v2, vcc_lo
	global_store_b64 v[0:1], v[3:4], off
.LBB179_15:
	s_nop 0
	s_sendmsg sendmsg(MSG_DEALLOC_VGPRS)
	s_endpgm
	.section	.rodata,"a",@progbits
	.p2align	6, 0x0
	.amdhsa_kernel _ZL23rocblas_trmm_rTx_kernelILi16ELb1E19rocblas_complex_numIfES1_KPKS1_KPS1_Ev13rocblas_fill_17rocblas_diagonal_iiT2_lPT3_llSB_llPT4_lli
		.amdhsa_group_segment_fixed_size 4096
		.amdhsa_private_segment_fixed_size 0
		.amdhsa_kernarg_size 108
		.amdhsa_user_sgpr_count 14
		.amdhsa_user_sgpr_dispatch_ptr 0
		.amdhsa_user_sgpr_queue_ptr 0
		.amdhsa_user_sgpr_kernarg_segment_ptr 1
		.amdhsa_user_sgpr_dispatch_id 0
		.amdhsa_user_sgpr_private_segment_size 0
		.amdhsa_wavefront_size32 1
		.amdhsa_uses_dynamic_stack 0
		.amdhsa_enable_private_segment 0
		.amdhsa_system_sgpr_workgroup_id_x 1
		.amdhsa_system_sgpr_workgroup_id_y 0
		.amdhsa_system_sgpr_workgroup_id_z 1
		.amdhsa_system_sgpr_workgroup_info 0
		.amdhsa_system_vgpr_workitem_id 1
		.amdhsa_next_free_vgpr 79
		.amdhsa_next_free_sgpr 38
		.amdhsa_reserve_vcc 1
		.amdhsa_float_round_mode_32 0
		.amdhsa_float_round_mode_16_64 0
		.amdhsa_float_denorm_mode_32 3
		.amdhsa_float_denorm_mode_16_64 3
		.amdhsa_dx10_clamp 1
		.amdhsa_ieee_mode 1
		.amdhsa_fp16_overflow 0
		.amdhsa_workgroup_processor_mode 1
		.amdhsa_memory_ordered 1
		.amdhsa_forward_progress 0
		.amdhsa_shared_vgpr_count 0
		.amdhsa_exception_fp_ieee_invalid_op 0
		.amdhsa_exception_fp_denorm_src 0
		.amdhsa_exception_fp_ieee_div_zero 0
		.amdhsa_exception_fp_ieee_overflow 0
		.amdhsa_exception_fp_ieee_underflow 0
		.amdhsa_exception_fp_ieee_inexact 0
		.amdhsa_exception_int_div_zero 0
	.end_amdhsa_kernel
	.section	.text._ZL23rocblas_trmm_rTx_kernelILi16ELb1E19rocblas_complex_numIfES1_KPKS1_KPS1_Ev13rocblas_fill_17rocblas_diagonal_iiT2_lPT3_llSB_llPT4_lli,"axG",@progbits,_ZL23rocblas_trmm_rTx_kernelILi16ELb1E19rocblas_complex_numIfES1_KPKS1_KPS1_Ev13rocblas_fill_17rocblas_diagonal_iiT2_lPT3_llSB_llPT4_lli,comdat
.Lfunc_end179:
	.size	_ZL23rocblas_trmm_rTx_kernelILi16ELb1E19rocblas_complex_numIfES1_KPKS1_KPS1_Ev13rocblas_fill_17rocblas_diagonal_iiT2_lPT3_llSB_llPT4_lli, .Lfunc_end179-_ZL23rocblas_trmm_rTx_kernelILi16ELb1E19rocblas_complex_numIfES1_KPKS1_KPS1_Ev13rocblas_fill_17rocblas_diagonal_iiT2_lPT3_llSB_llPT4_lli
                                        ; -- End function
	.section	.AMDGPU.csdata,"",@progbits
; Kernel info:
; codeLenInByte = 1500
; NumSgprs: 40
; NumVgprs: 79
; ScratchSize: 0
; MemoryBound: 0
; FloatMode: 240
; IeeeMode: 1
; LDSByteSize: 4096 bytes/workgroup (compile time only)
; SGPRBlocks: 4
; VGPRBlocks: 9
; NumSGPRsForWavesPerEU: 40
; NumVGPRsForWavesPerEU: 79
; Occupancy: 16
; WaveLimiterHint : 1
; COMPUTE_PGM_RSRC2:SCRATCH_EN: 0
; COMPUTE_PGM_RSRC2:USER_SGPR: 14
; COMPUTE_PGM_RSRC2:TRAP_HANDLER: 0
; COMPUTE_PGM_RSRC2:TGID_X_EN: 1
; COMPUTE_PGM_RSRC2:TGID_Y_EN: 0
; COMPUTE_PGM_RSRC2:TGID_Z_EN: 1
; COMPUTE_PGM_RSRC2:TIDIG_COMP_CNT: 1
	.section	.text._ZL23rocblas_trmm_lNx_kernelILi16E19rocblas_complex_numIdEPKS1_KS3_KPS1_Ev13rocblas_fill_17rocblas_diagonal_iiT1_lPT2_llSB_llPT3_lli,"axG",@progbits,_ZL23rocblas_trmm_lNx_kernelILi16E19rocblas_complex_numIdEPKS1_KS3_KPS1_Ev13rocblas_fill_17rocblas_diagonal_iiT1_lPT2_llSB_llPT3_lli,comdat
	.globl	_ZL23rocblas_trmm_lNx_kernelILi16E19rocblas_complex_numIdEPKS1_KS3_KPS1_Ev13rocblas_fill_17rocblas_diagonal_iiT1_lPT2_llSB_llPT3_lli ; -- Begin function _ZL23rocblas_trmm_lNx_kernelILi16E19rocblas_complex_numIdEPKS1_KS3_KPS1_Ev13rocblas_fill_17rocblas_diagonal_iiT1_lPT2_llSB_llPT3_lli
	.p2align	8
	.type	_ZL23rocblas_trmm_lNx_kernelILi16E19rocblas_complex_numIdEPKS1_KS3_KPS1_Ev13rocblas_fill_17rocblas_diagonal_iiT1_lPT2_llSB_llPT3_lli,@function
_ZL23rocblas_trmm_lNx_kernelILi16E19rocblas_complex_numIdEPKS1_KS3_KPS1_Ev13rocblas_fill_17rocblas_diagonal_iiT1_lPT2_llSB_llPT3_lli: ; @_ZL23rocblas_trmm_lNx_kernelILi16E19rocblas_complex_numIdEPKS1_KS3_KPS1_Ev13rocblas_fill_17rocblas_diagonal_iiT1_lPT2_llSB_llPT3_lli
; %bb.0:
	s_load_b512 s[16:31], s[0:1], 0x10
	s_waitcnt lgkmcnt(0)
	s_mul_i32 s3, s15, s19
	s_mul_hi_u32 s4, s15, s18
	s_mul_i32 s2, s15, s18
	s_add_i32 s3, s4, s3
	s_delay_alu instid0(SALU_CYCLE_1) | instskip(NEXT) | instid1(SALU_CYCLE_1)
	s_lshl_b64 s[2:3], s[2:3], 4
	s_add_u32 s2, s16, s2
	s_addc_u32 s3, s17, s3
	s_load_b128 s[4:7], s[2:3], 0x0
	s_waitcnt lgkmcnt(0)
	v_cmp_neq_f64_e64 s2, s[4:5], 0
	v_cmp_neq_f64_e64 s3, s[6:7], 0
	s_delay_alu instid0(VALU_DEP_1) | instskip(NEXT) | instid1(SALU_CYCLE_1)
	s_or_b32 s2, s2, s3
	s_and_not1_b32 vcc_lo, exec_lo, s2
	s_cbranch_vccnz .LBB180_15
; %bb.1:
	s_clause 0x1
	s_load_b128 s[8:11], s[0:1], 0x50
	s_load_b128 s[16:19], s[0:1], 0x0
	s_mov_b32 s36, s15
	s_mov_b32 s37, 0
	v_bfe_u32 v1, v0, 10, 10
	s_lshl_b64 s[34:35], s[36:37], 3
	s_mov_b32 s36, s37
	s_add_u32 s2, s26, s34
	s_addc_u32 s3, s27, s35
	s_mov_b32 s38, s37
	s_mov_b32 s39, s37
	v_dual_mov_b32 v5, s36 :: v_dual_and_b32 v4, 0x3ff, v0
	v_dual_mov_b32 v7, s38 :: v_dual_lshlrev_b32 v2, 4, v1
	v_mov_b32_e32 v6, s37
	v_mov_b32_e32 v8, s39
	s_delay_alu instid0(VALU_DEP_4) | instskip(NEXT) | instid1(VALU_DEP_4)
	v_lshlrev_b32_e32 v0, 4, v4
	v_add_lshl_u32 v3, v2, v4, 4
	s_waitcnt lgkmcnt(0)
	s_add_u32 s8, s8, s34
	s_addc_u32 s9, s9, s35
	s_load_b64 s[12:13], s[2:3], 0x0
	s_load_b64 s[8:9], s[8:9], 0x0
	v_cmp_gt_i32_e64 s2, s18, v1
	v_cmp_gt_i32_e32 vcc_lo, s18, v4
	ds_store_b128 v3, v[5:8]
	ds_store_b128 v3, v[5:8] offset:4096
	s_and_b32 s2, s2, vcc_lo
	s_delay_alu instid0(SALU_CYCLE_1)
	s_and_saveexec_b32 s3, s2
	s_cbranch_execz .LBB180_3
; %bb.2:
	v_mad_u64_u32 v[5:6], null, v1, s22, 0
	s_add_u32 s20, s20, s34
	s_addc_u32 s21, s21, s35
	s_load_b64 s[20:21], s[20:21], 0x0
	s_delay_alu instid0(VALU_DEP_1) | instskip(SKIP_1) | instid1(VALU_DEP_1)
	v_mad_u64_u32 v[7:8], null, v1, s23, v[6:7]
	s_lshl_b64 s[22:23], s[24:25], 4
	v_mov_b32_e32 v6, v7
	s_delay_alu instid0(VALU_DEP_1) | instskip(SKIP_3) | instid1(VALU_DEP_1)
	v_lshlrev_b64 v[5:6], 4, v[5:6]
	s_waitcnt lgkmcnt(0)
	s_add_u32 s2, s20, s22
	s_addc_u32 s15, s21, s23
	v_add_co_u32 v5, s2, s2, v5
	s_delay_alu instid0(VALU_DEP_1) | instskip(NEXT) | instid1(VALU_DEP_2)
	v_add_co_ci_u32_e64 v6, s2, s15, v6, s2
	v_add_co_u32 v5, s2, v5, v0
	s_delay_alu instid0(VALU_DEP_1)
	v_add_co_ci_u32_e64 v6, s2, 0, v6, s2
	global_load_b128 v[5:8], v[5:6], off
	s_waitcnt vmcnt(0)
	ds_store_2addr_b64 v3, v[5:6], v[7:8] offset1:1
.LBB180_3:
	s_or_b32 exec_lo, exec_lo, s3
	s_add_i32 s2, s19, -1
	s_delay_alu instid0(SALU_CYCLE_1) | instskip(NEXT) | instid1(SALU_CYCLE_1)
	s_ashr_i32 s3, s2, 31
	s_lshr_b32 s3, s3, 28
	s_delay_alu instid0(SALU_CYCLE_1) | instskip(NEXT) | instid1(SALU_CYCLE_1)
	s_add_i32 s2, s2, s3
	s_and_b32 s3, s2, -16
	s_ashr_i32 s2, s2, 4
	s_sub_i32 s3, s19, s3
	s_cmp_ge_i32 s14, s2
	s_cselect_b32 s2, s3, 16
	s_lshl_b32 s3, s14, 4
	v_cmp_gt_i32_e64 s2, s2, v1
	s_ashr_i32 s14, s3, 31
	s_delay_alu instid0(VALU_DEP_1) | instskip(NEXT) | instid1(SALU_CYCLE_1)
	s_and_b32 s2, vcc_lo, s2
	s_and_saveexec_b32 s15, s2
	s_cbranch_execz .LBB180_5
; %bb.4:
	v_mad_u64_u32 v[5:6], null, v1, s28, 0
	s_lshl_b64 s[18:19], s[30:31], 4
	s_mul_i32 s20, s3, s29
	s_mul_hi_u32 s21, s3, s28
	s_waitcnt lgkmcnt(0)
	s_add_u32 s18, s12, s18
	s_mul_i32 s22, s14, s28
	s_addc_u32 s19, s13, s19
	v_mad_u64_u32 v[7:8], null, v1, s29, v[6:7]
	s_add_i32 s13, s21, s20
	s_mul_i32 s12, s3, s28
	s_add_i32 s13, s13, s22
	v_add_nc_u32_e32 v9, 0x1000, v3
	s_lshl_b64 s[12:13], s[12:13], 4
	s_delay_alu instid0(VALU_DEP_2) | instskip(SKIP_2) | instid1(VALU_DEP_1)
	v_mov_b32_e32 v6, v7
	s_add_u32 s12, s18, s12
	s_addc_u32 s13, s19, s13
	v_lshlrev_b64 v[5:6], 4, v[5:6]
	s_delay_alu instid0(VALU_DEP_1) | instskip(NEXT) | instid1(VALU_DEP_2)
	v_add_co_u32 v5, vcc_lo, s12, v5
	v_add_co_ci_u32_e32 v6, vcc_lo, s13, v6, vcc_lo
	s_delay_alu instid0(VALU_DEP_2) | instskip(NEXT) | instid1(VALU_DEP_2)
	v_add_co_u32 v5, vcc_lo, v5, v0
	v_add_co_ci_u32_e32 v6, vcc_lo, 0, v6, vcc_lo
	global_load_b128 v[5:8], v[5:6], off
	s_waitcnt vmcnt(0)
	ds_store_2addr_b64 v9, v[5:6], v[7:8] offset1:1
.LBB180_5:
	s_or_b32 exec_lo, exec_lo, s15
	v_cmp_eq_u32_e32 vcc_lo, v1, v4
	s_cmpk_eq_i32 s17, 0x84
	s_waitcnt lgkmcnt(0)
	s_cselect_b32 s12, -1, 0
	s_delay_alu instid0(SALU_CYCLE_1) | instskip(NEXT) | instid1(SALU_CYCLE_1)
	s_and_b32 s13, vcc_lo, s12
	s_and_saveexec_b32 s12, s13
	s_cbranch_execz .LBB180_7
; %bb.6:
	v_dual_mov_b32 v5, 0 :: v_dual_mov_b32 v6, 0x3ff00000
	s_delay_alu instid0(VALU_DEP_1)
	v_mov_b32_e32 v7, v5
	v_mov_b32_e32 v8, v5
	ds_store_b128 v3, v[5:8]
.LBB180_7:
	s_or_b32 exec_lo, exec_lo, s12
	s_cmpk_lg_i32 s16, 0x79
	s_cbranch_scc0 .LBB180_9
; %bb.8:
	v_cmp_lt_u32_e32 vcc_lo, v4, v1
	s_and_b32 s12, vcc_lo, exec_lo
	s_cbranch_execz .LBB180_10
	s_branch .LBB180_11
.LBB180_9:
	s_mov_b32 s12, 0
.LBB180_10:
	v_cmp_gt_u32_e32 vcc_lo, v4, v1
	s_and_not1_b32 s12, s12, exec_lo
	s_and_b32 s13, vcc_lo, exec_lo
	s_delay_alu instid0(SALU_CYCLE_1)
	s_or_b32 s12, s12, s13
.LBB180_11:
	s_delay_alu instid0(SALU_CYCLE_1)
	s_and_saveexec_b32 s13, s12
	s_cbranch_execz .LBB180_13
; %bb.12:
	v_mov_b32_e32 v4, 0
	s_delay_alu instid0(VALU_DEP_1)
	v_mov_b32_e32 v5, v4
	v_mov_b32_e32 v6, v4
	v_mov_b32_e32 v7, v4
	ds_store_b128 v3, v[4:7]
.LBB180_13:
	s_or_b32 exec_lo, exec_lo, s13
	s_waitcnt lgkmcnt(0)
	s_barrier
	buffer_gl0_inv
	s_and_saveexec_b32 s12, s2
	s_cbranch_execz .LBB180_15
; %bb.14:
	v_lshlrev_b32_e32 v44, 4, v2
	s_load_b64 s[0:1], s[0:1], 0x60
	s_mul_i32 s14, s14, s10
	ds_load_b128 v[2:5], v44 offset:4096
	ds_load_b128 v[6:9], v0
	ds_load_b128 v[10:13], v0 offset:256
	ds_load_b128 v[14:17], v44 offset:4112
	s_waitcnt lgkmcnt(0)
	s_lshl_b64 s[0:1], s[0:1], 4
	s_delay_alu instid0(SALU_CYCLE_1)
	s_add_u32 s2, s8, s0
	v_mul_f64 v[18:19], v[2:3], v[8:9]
	v_mul_f64 v[34:35], v[14:15], v[12:13]
	;; [unrolled: 1-line block ×4, first 2 shown]
	s_mul_i32 s0, s3, s11
	s_delay_alu instid0(VALU_DEP_4)
	v_fma_f64 v[4:5], v[4:5], v[6:7], v[18:19]
	ds_load_b128 v[18:21], v44 offset:4128
	ds_load_b128 v[22:25], v0 offset:512
	;; [unrolled: 1-line block ×4, first 2 shown]
	v_fma_f64 v[16:17], v[16:17], v[10:11], v[34:35]
	v_fma_f64 v[2:3], v[2:3], v[6:7], -v[8:9]
	s_waitcnt lgkmcnt(2)
	v_mul_f64 v[36:37], v[18:19], v[24:25]
	v_mul_f64 v[24:25], v[20:21], v[24:25]
	s_waitcnt lgkmcnt(0)
	v_mul_f64 v[34:35], v[30:31], v[28:29]
	v_mul_f64 v[28:29], v[32:33], v[28:29]
	v_add_f64 v[4:5], v[4:5], 0
	v_add_f64 v[38:39], v[2:3], 0
	v_fma_f64 v[20:21], v[20:21], v[22:23], v[36:37]
	v_fma_f64 v[36:37], v[14:15], v[10:11], -v[12:13]
	v_fma_f64 v[32:33], v[32:33], v[26:27], v[34:35]
	v_fma_f64 v[18:19], v[18:19], v[22:23], -v[24:25]
	v_add_f64 v[40:41], v[4:5], v[16:17]
	ds_load_b128 v[2:5], v44 offset:4160
	ds_load_b128 v[6:9], v0 offset:1024
	ds_load_b128 v[10:13], v0 offset:1280
	ds_load_b128 v[14:17], v44 offset:4176
	s_waitcnt lgkmcnt(2)
	v_mul_f64 v[42:43], v[2:3], v[8:9]
	v_add_f64 v[22:23], v[38:39], v[36:37]
	s_waitcnt lgkmcnt(0)
	v_mul_f64 v[34:35], v[14:15], v[12:13]
	v_mul_f64 v[8:9], v[4:5], v[8:9]
	v_fma_f64 v[36:37], v[30:31], v[26:27], -v[28:29]
	v_mul_f64 v[12:13], v[16:17], v[12:13]
	v_add_f64 v[20:21], v[40:41], v[20:21]
	v_fma_f64 v[4:5], v[4:5], v[6:7], v[42:43]
	v_add_f64 v[38:39], v[22:23], v[18:19]
	v_fma_f64 v[16:17], v[16:17], v[10:11], v[34:35]
	v_fma_f64 v[2:3], v[2:3], v[6:7], -v[8:9]
	v_add_f64 v[40:41], v[20:21], v[32:33]
	ds_load_b128 v[18:21], v44 offset:4192
	ds_load_b128 v[22:25], v0 offset:1536
	ds_load_b128 v[26:29], v0 offset:1792
	ds_load_b128 v[30:33], v44 offset:4208
	s_waitcnt lgkmcnt(2)
	v_mul_f64 v[42:43], v[18:19], v[24:25]
	v_add_f64 v[6:7], v[38:39], v[36:37]
	s_waitcnt lgkmcnt(0)
	v_mul_f64 v[34:35], v[30:31], v[28:29]
	v_mul_f64 v[24:25], v[20:21], v[24:25]
	v_fma_f64 v[36:37], v[14:15], v[10:11], -v[12:13]
	v_mul_f64 v[28:29], v[32:33], v[28:29]
	v_add_f64 v[4:5], v[40:41], v[4:5]
	v_fma_f64 v[20:21], v[20:21], v[22:23], v[42:43]
	v_add_f64 v[38:39], v[6:7], v[2:3]
	v_fma_f64 v[32:33], v[32:33], v[26:27], v[34:35]
	v_fma_f64 v[18:19], v[18:19], v[22:23], -v[24:25]
	v_add_f64 v[40:41], v[4:5], v[16:17]
	ds_load_b128 v[2:5], v44 offset:4224
	ds_load_b128 v[6:9], v0 offset:2048
	ds_load_b128 v[10:13], v0 offset:2304
	ds_load_b128 v[14:17], v44 offset:4240
	s_waitcnt lgkmcnt(2)
	v_mul_f64 v[42:43], v[2:3], v[8:9]
	v_add_f64 v[22:23], v[38:39], v[36:37]
	s_waitcnt lgkmcnt(0)
	v_mul_f64 v[34:35], v[14:15], v[12:13]
	v_mul_f64 v[8:9], v[4:5], v[8:9]
	v_fma_f64 v[36:37], v[30:31], v[26:27], -v[28:29]
	v_mul_f64 v[12:13], v[16:17], v[12:13]
	v_add_f64 v[20:21], v[40:41], v[20:21]
	v_fma_f64 v[4:5], v[4:5], v[6:7], v[42:43]
	v_add_f64 v[38:39], v[22:23], v[18:19]
	v_fma_f64 v[16:17], v[16:17], v[10:11], v[34:35]
	v_fma_f64 v[2:3], v[2:3], v[6:7], -v[8:9]
	v_add_f64 v[40:41], v[20:21], v[32:33]
	ds_load_b128 v[18:21], v44 offset:4256
	ds_load_b128 v[22:25], v0 offset:2560
	ds_load_b128 v[26:29], v0 offset:2816
	ds_load_b128 v[30:33], v44 offset:4272
	s_waitcnt lgkmcnt(2)
	v_mul_f64 v[42:43], v[18:19], v[24:25]
	v_add_f64 v[6:7], v[38:39], v[36:37]
	s_waitcnt lgkmcnt(0)
	v_mul_f64 v[34:35], v[30:31], v[28:29]
	v_mul_f64 v[24:25], v[20:21], v[24:25]
	v_fma_f64 v[36:37], v[14:15], v[10:11], -v[12:13]
	v_mul_f64 v[28:29], v[32:33], v[28:29]
	v_add_f64 v[4:5], v[40:41], v[4:5]
	v_fma_f64 v[20:21], v[20:21], v[22:23], v[42:43]
	v_add_f64 v[38:39], v[6:7], v[2:3]
	v_fma_f64 v[32:33], v[32:33], v[26:27], v[34:35]
	v_fma_f64 v[18:19], v[18:19], v[22:23], -v[24:25]
	v_add_f64 v[40:41], v[4:5], v[16:17]
	ds_load_b128 v[2:5], v44 offset:4288
	ds_load_b128 v[6:9], v0 offset:3072
	ds_load_b128 v[10:13], v0 offset:3328
	ds_load_b128 v[14:17], v44 offset:4304
	s_waitcnt lgkmcnt(2)
	v_mul_f64 v[42:43], v[2:3], v[8:9]
	v_add_f64 v[22:23], v[38:39], v[36:37]
	s_waitcnt lgkmcnt(0)
	v_mul_f64 v[34:35], v[14:15], v[12:13]
	v_mul_f64 v[8:9], v[4:5], v[8:9]
	v_fma_f64 v[36:37], v[30:31], v[26:27], -v[28:29]
	v_mul_f64 v[12:13], v[16:17], v[12:13]
	v_add_f64 v[20:21], v[40:41], v[20:21]
	v_fma_f64 v[4:5], v[4:5], v[6:7], v[42:43]
	v_add_f64 v[38:39], v[22:23], v[18:19]
	v_fma_f64 v[16:17], v[16:17], v[10:11], v[34:35]
	v_fma_f64 v[2:3], v[2:3], v[6:7], -v[8:9]
	v_fma_f64 v[10:11], v[14:15], v[10:11], -v[12:13]
	v_add_f64 v[40:41], v[20:21], v[32:33]
	ds_load_b128 v[18:21], v44 offset:4320
	ds_load_b128 v[22:25], v0 offset:3584
	;; [unrolled: 1-line block ×4, first 2 shown]
	s_waitcnt lgkmcnt(2)
	v_mul_f64 v[42:43], v[18:19], v[24:25]
	v_add_f64 v[6:7], v[38:39], v[36:37]
	s_waitcnt lgkmcnt(0)
	v_mul_f64 v[8:9], v[30:31], v[28:29]
	v_mul_f64 v[24:25], v[20:21], v[24:25]
	v_add_f64 v[4:5], v[40:41], v[4:5]
	v_fma_f64 v[20:21], v[20:21], v[22:23], v[42:43]
	v_add_f64 v[2:3], v[6:7], v[2:3]
	v_mul_f64 v[6:7], v[32:33], v[28:29]
	v_fma_f64 v[8:9], v[32:33], v[26:27], v[8:9]
	v_fma_f64 v[12:13], v[18:19], v[22:23], -v[24:25]
	v_add_f64 v[4:5], v[4:5], v[16:17]
	v_add_f64 v[2:3], v[2:3], v[10:11]
	v_fma_f64 v[6:7], v[30:31], v[26:27], -v[6:7]
	v_mad_u64_u32 v[10:11], null, v1, s10, 0
	s_delay_alu instid0(VALU_DEP_4) | instskip(NEXT) | instid1(VALU_DEP_4)
	v_add_f64 v[4:5], v[4:5], v[20:21]
	v_add_f64 v[2:3], v[2:3], v[12:13]
	s_delay_alu instid0(VALU_DEP_2) | instskip(NEXT) | instid1(VALU_DEP_2)
	v_add_f64 v[4:5], v[4:5], v[8:9]
	v_add_f64 v[2:3], v[2:3], v[6:7]
	s_delay_alu instid0(VALU_DEP_2) | instskip(SKIP_1) | instid1(VALU_DEP_2)
	v_mul_f64 v[6:7], s[4:5], v[4:5]
	v_mul_f64 v[8:9], s[6:7], v[4:5]
	v_fma_f64 v[4:5], s[6:7], v[2:3], v[6:7]
	s_delay_alu instid0(VALU_DEP_2) | instskip(SKIP_4) | instid1(VALU_DEP_1)
	v_fma_f64 v[2:3], s[4:5], v[2:3], -v[8:9]
	v_mov_b32_e32 v6, v11
	s_mul_hi_u32 s4, s3, s10
	s_addc_u32 s5, s9, s1
	s_add_i32 s0, s4, s0
	v_mad_u64_u32 v[7:8], null, v1, s11, v[6:7]
	s_add_i32 s1, s0, s14
	s_mul_i32 s0, s3, s10
	s_delay_alu instid0(SALU_CYCLE_1) | instskip(NEXT) | instid1(SALU_CYCLE_1)
	s_lshl_b64 s[0:1], s[0:1], 4
	s_add_u32 s0, s2, s0
	s_delay_alu instid0(VALU_DEP_1) | instskip(SKIP_1) | instid1(VALU_DEP_1)
	v_mov_b32_e32 v11, v7
	s_addc_u32 s1, s5, s1
	v_lshlrev_b64 v[6:7], 4, v[10:11]
	s_delay_alu instid0(VALU_DEP_1) | instskip(NEXT) | instid1(VALU_DEP_2)
	v_add_co_u32 v1, vcc_lo, s0, v6
	v_add_co_ci_u32_e32 v6, vcc_lo, s1, v7, vcc_lo
	s_delay_alu instid0(VALU_DEP_2) | instskip(NEXT) | instid1(VALU_DEP_2)
	v_add_co_u32 v0, vcc_lo, v1, v0
	v_add_co_ci_u32_e32 v1, vcc_lo, 0, v6, vcc_lo
	global_store_b128 v[0:1], v[2:5], off
.LBB180_15:
	s_nop 0
	s_sendmsg sendmsg(MSG_DEALLOC_VGPRS)
	s_endpgm
	.section	.rodata,"a",@progbits
	.p2align	6, 0x0
	.amdhsa_kernel _ZL23rocblas_trmm_lNx_kernelILi16E19rocblas_complex_numIdEPKS1_KS3_KPS1_Ev13rocblas_fill_17rocblas_diagonal_iiT1_lPT2_llSB_llPT3_lli
		.amdhsa_group_segment_fixed_size 8192
		.amdhsa_private_segment_fixed_size 0
		.amdhsa_kernarg_size 108
		.amdhsa_user_sgpr_count 14
		.amdhsa_user_sgpr_dispatch_ptr 0
		.amdhsa_user_sgpr_queue_ptr 0
		.amdhsa_user_sgpr_kernarg_segment_ptr 1
		.amdhsa_user_sgpr_dispatch_id 0
		.amdhsa_user_sgpr_private_segment_size 0
		.amdhsa_wavefront_size32 1
		.amdhsa_uses_dynamic_stack 0
		.amdhsa_enable_private_segment 0
		.amdhsa_system_sgpr_workgroup_id_x 1
		.amdhsa_system_sgpr_workgroup_id_y 0
		.amdhsa_system_sgpr_workgroup_id_z 1
		.amdhsa_system_sgpr_workgroup_info 0
		.amdhsa_system_vgpr_workitem_id 1
		.amdhsa_next_free_vgpr 45
		.amdhsa_next_free_sgpr 40
		.amdhsa_reserve_vcc 1
		.amdhsa_float_round_mode_32 0
		.amdhsa_float_round_mode_16_64 0
		.amdhsa_float_denorm_mode_32 3
		.amdhsa_float_denorm_mode_16_64 3
		.amdhsa_dx10_clamp 1
		.amdhsa_ieee_mode 1
		.amdhsa_fp16_overflow 0
		.amdhsa_workgroup_processor_mode 1
		.amdhsa_memory_ordered 1
		.amdhsa_forward_progress 0
		.amdhsa_shared_vgpr_count 0
		.amdhsa_exception_fp_ieee_invalid_op 0
		.amdhsa_exception_fp_denorm_src 0
		.amdhsa_exception_fp_ieee_div_zero 0
		.amdhsa_exception_fp_ieee_overflow 0
		.amdhsa_exception_fp_ieee_underflow 0
		.amdhsa_exception_fp_ieee_inexact 0
		.amdhsa_exception_int_div_zero 0
	.end_amdhsa_kernel
	.section	.text._ZL23rocblas_trmm_lNx_kernelILi16E19rocblas_complex_numIdEPKS1_KS3_KPS1_Ev13rocblas_fill_17rocblas_diagonal_iiT1_lPT2_llSB_llPT3_lli,"axG",@progbits,_ZL23rocblas_trmm_lNx_kernelILi16E19rocblas_complex_numIdEPKS1_KS3_KPS1_Ev13rocblas_fill_17rocblas_diagonal_iiT1_lPT2_llSB_llPT3_lli,comdat
.Lfunc_end180:
	.size	_ZL23rocblas_trmm_lNx_kernelILi16E19rocblas_complex_numIdEPKS1_KS3_KPS1_Ev13rocblas_fill_17rocblas_diagonal_iiT1_lPT2_llSB_llPT3_lli, .Lfunc_end180-_ZL23rocblas_trmm_lNx_kernelILi16E19rocblas_complex_numIdEPKS1_KS3_KPS1_Ev13rocblas_fill_17rocblas_diagonal_iiT1_lPT2_llSB_llPT3_lli
                                        ; -- End function
	.section	.AMDGPU.csdata,"",@progbits
; Kernel info:
; codeLenInByte = 2096
; NumSgprs: 42
; NumVgprs: 45
; ScratchSize: 0
; MemoryBound: 0
; FloatMode: 240
; IeeeMode: 1
; LDSByteSize: 8192 bytes/workgroup (compile time only)
; SGPRBlocks: 5
; VGPRBlocks: 5
; NumSGPRsForWavesPerEU: 42
; NumVGPRsForWavesPerEU: 45
; Occupancy: 16
; WaveLimiterHint : 1
; COMPUTE_PGM_RSRC2:SCRATCH_EN: 0
; COMPUTE_PGM_RSRC2:USER_SGPR: 14
; COMPUTE_PGM_RSRC2:TRAP_HANDLER: 0
; COMPUTE_PGM_RSRC2:TGID_X_EN: 1
; COMPUTE_PGM_RSRC2:TGID_Y_EN: 0
; COMPUTE_PGM_RSRC2:TGID_Z_EN: 1
; COMPUTE_PGM_RSRC2:TIDIG_COMP_CNT: 1
	.section	.text._ZL23rocblas_trmm_lNx_kernelILi16E19rocblas_complex_numIdES1_KPKS1_KPS1_Ev13rocblas_fill_17rocblas_diagonal_iiT1_lPT2_llSB_llPT3_lli,"axG",@progbits,_ZL23rocblas_trmm_lNx_kernelILi16E19rocblas_complex_numIdES1_KPKS1_KPS1_Ev13rocblas_fill_17rocblas_diagonal_iiT1_lPT2_llSB_llPT3_lli,comdat
	.globl	_ZL23rocblas_trmm_lNx_kernelILi16E19rocblas_complex_numIdES1_KPKS1_KPS1_Ev13rocblas_fill_17rocblas_diagonal_iiT1_lPT2_llSB_llPT3_lli ; -- Begin function _ZL23rocblas_trmm_lNx_kernelILi16E19rocblas_complex_numIdES1_KPKS1_KPS1_Ev13rocblas_fill_17rocblas_diagonal_iiT1_lPT2_llSB_llPT3_lli
	.p2align	8
	.type	_ZL23rocblas_trmm_lNx_kernelILi16E19rocblas_complex_numIdES1_KPKS1_KPS1_Ev13rocblas_fill_17rocblas_diagonal_iiT1_lPT2_llSB_llPT3_lli,@function
_ZL23rocblas_trmm_lNx_kernelILi16E19rocblas_complex_numIdES1_KPKS1_KPS1_Ev13rocblas_fill_17rocblas_diagonal_iiT1_lPT2_llSB_llPT3_lli: ; @_ZL23rocblas_trmm_lNx_kernelILi16E19rocblas_complex_numIdES1_KPKS1_KPS1_Ev13rocblas_fill_17rocblas_diagonal_iiT1_lPT2_llSB_llPT3_lli
; %bb.0:
	s_load_b128 s[4:7], s[0:1], 0x10
	s_waitcnt lgkmcnt(0)
	v_cmp_neq_f64_e64 s2, s[4:5], 0
	v_cmp_neq_f64_e64 s3, s[6:7], 0
	s_delay_alu instid0(VALU_DEP_1) | instskip(NEXT) | instid1(SALU_CYCLE_1)
	s_or_b32 s2, s2, s3
	s_and_not1_b32 vcc_lo, exec_lo, s2
	s_cbranch_vccnz .LBB181_15
; %bb.1:
	s_clause 0x1
	s_load_b512 s[16:31], s[0:1], 0x28
	s_load_b128 s[8:11], s[0:1], 0x0
	s_mov_b32 s36, s15
	s_mov_b32 s37, 0
	v_bfe_u32 v1, v0, 10, 10
	s_lshl_b64 s[34:35], s[36:37], 3
	s_mov_b32 s36, s37
	s_mov_b32 s38, s37
	;; [unrolled: 1-line block ×3, first 2 shown]
	v_dual_mov_b32 v5, s36 :: v_dual_and_b32 v4, 0x3ff, v0
	v_dual_mov_b32 v7, s38 :: v_dual_lshlrev_b32 v2, 4, v1
	v_mov_b32_e32 v6, s37
	v_mov_b32_e32 v8, s39
	s_delay_alu instid0(VALU_DEP_4) | instskip(NEXT) | instid1(VALU_DEP_4)
	v_lshlrev_b32_e32 v0, 4, v4
	v_add_lshl_u32 v3, v2, v4, 4
	s_waitcnt lgkmcnt(0)
	s_add_u32 s2, s22, s34
	s_addc_u32 s3, s23, s35
	s_add_u32 s12, s28, s34
	s_addc_u32 s13, s29, s35
	s_load_b64 s[22:23], s[2:3], 0x0
	s_load_b64 s[12:13], s[12:13], 0x0
	v_cmp_gt_i32_e64 s2, s10, v1
	v_cmp_gt_i32_e32 vcc_lo, s10, v4
	ds_store_b128 v3, v[5:8]
	ds_store_b128 v3, v[5:8] offset:4096
	s_and_b32 s2, s2, vcc_lo
	s_delay_alu instid0(SALU_CYCLE_1)
	s_and_saveexec_b32 s3, s2
	s_cbranch_execz .LBB181_3
; %bb.2:
	v_mad_u64_u32 v[5:6], null, v1, s18, 0
	s_add_u32 s16, s16, s34
	s_addc_u32 s17, s17, s35
	s_load_b64 s[16:17], s[16:17], 0x0
	s_delay_alu instid0(VALU_DEP_1) | instskip(SKIP_1) | instid1(VALU_DEP_1)
	v_mad_u64_u32 v[7:8], null, v1, s19, v[6:7]
	s_lshl_b64 s[18:19], s[20:21], 4
	v_mov_b32_e32 v6, v7
	s_delay_alu instid0(VALU_DEP_1) | instskip(SKIP_3) | instid1(VALU_DEP_1)
	v_lshlrev_b64 v[5:6], 4, v[5:6]
	s_waitcnt lgkmcnt(0)
	s_add_u32 s2, s16, s18
	s_addc_u32 s10, s17, s19
	v_add_co_u32 v5, s2, s2, v5
	s_delay_alu instid0(VALU_DEP_1) | instskip(NEXT) | instid1(VALU_DEP_2)
	v_add_co_ci_u32_e64 v6, s2, s10, v6, s2
	v_add_co_u32 v5, s2, v5, v0
	s_delay_alu instid0(VALU_DEP_1)
	v_add_co_ci_u32_e64 v6, s2, 0, v6, s2
	global_load_b128 v[5:8], v[5:6], off
	s_waitcnt vmcnt(0)
	ds_store_2addr_b64 v3, v[5:6], v[7:8] offset1:1
.LBB181_3:
	s_or_b32 exec_lo, exec_lo, s3
	s_add_i32 s2, s11, -1
	s_delay_alu instid0(SALU_CYCLE_1) | instskip(NEXT) | instid1(SALU_CYCLE_1)
	s_ashr_i32 s3, s2, 31
	s_lshr_b32 s3, s3, 28
	s_delay_alu instid0(SALU_CYCLE_1) | instskip(NEXT) | instid1(SALU_CYCLE_1)
	s_add_i32 s2, s2, s3
	s_and_b32 s3, s2, -16
	s_ashr_i32 s2, s2, 4
	s_sub_i32 s3, s11, s3
	s_cmp_ge_i32 s14, s2
	s_cselect_b32 s2, s3, 16
	s_lshl_b32 s3, s14, 4
	v_cmp_gt_i32_e64 s2, s2, v1
	s_ashr_i32 s10, s3, 31
	s_delay_alu instid0(VALU_DEP_1) | instskip(NEXT) | instid1(SALU_CYCLE_1)
	s_and_b32 s2, vcc_lo, s2
	s_and_saveexec_b32 s11, s2
	s_cbranch_execz .LBB181_5
; %bb.4:
	v_mad_u64_u32 v[5:6], null, v1, s24, 0
	s_lshl_b64 s[14:15], s[26:27], 4
	s_mul_i32 s16, s3, s25
	s_mul_hi_u32 s17, s3, s24
	s_waitcnt lgkmcnt(0)
	s_add_u32 s19, s22, s14
	s_mul_i32 s18, s10, s24
	s_addc_u32 s20, s23, s15
	v_mad_u64_u32 v[7:8], null, v1, s25, v[6:7]
	s_add_i32 s15, s17, s16
	s_mul_i32 s14, s3, s24
	s_add_i32 s15, s15, s18
	v_add_nc_u32_e32 v9, 0x1000, v3
	s_lshl_b64 s[14:15], s[14:15], 4
	s_delay_alu instid0(VALU_DEP_2) | instskip(SKIP_2) | instid1(VALU_DEP_1)
	v_mov_b32_e32 v6, v7
	s_add_u32 s14, s19, s14
	s_addc_u32 s15, s20, s15
	v_lshlrev_b64 v[5:6], 4, v[5:6]
	s_delay_alu instid0(VALU_DEP_1) | instskip(NEXT) | instid1(VALU_DEP_2)
	v_add_co_u32 v5, vcc_lo, s14, v5
	v_add_co_ci_u32_e32 v6, vcc_lo, s15, v6, vcc_lo
	s_delay_alu instid0(VALU_DEP_2) | instskip(NEXT) | instid1(VALU_DEP_2)
	v_add_co_u32 v5, vcc_lo, v5, v0
	v_add_co_ci_u32_e32 v6, vcc_lo, 0, v6, vcc_lo
	global_load_b128 v[5:8], v[5:6], off
	s_waitcnt vmcnt(0)
	ds_store_2addr_b64 v9, v[5:6], v[7:8] offset1:1
.LBB181_5:
	s_or_b32 exec_lo, exec_lo, s11
	v_cmp_eq_u32_e32 vcc_lo, v1, v4
	s_cmpk_eq_i32 s9, 0x84
	s_cselect_b32 s9, -1, 0
	s_delay_alu instid0(SALU_CYCLE_1) | instskip(NEXT) | instid1(SALU_CYCLE_1)
	s_and_b32 s11, vcc_lo, s9
	s_and_saveexec_b32 s9, s11
	s_cbranch_execz .LBB181_7
; %bb.6:
	v_dual_mov_b32 v5, 0 :: v_dual_mov_b32 v6, 0x3ff00000
	s_delay_alu instid0(VALU_DEP_1)
	v_mov_b32_e32 v7, v5
	v_mov_b32_e32 v8, v5
	ds_store_b128 v3, v[5:8]
.LBB181_7:
	s_or_b32 exec_lo, exec_lo, s9
	s_cmpk_lg_i32 s8, 0x79
	s_cbranch_scc0 .LBB181_9
; %bb.8:
	v_cmp_lt_u32_e32 vcc_lo, v4, v1
	s_and_b32 s8, vcc_lo, exec_lo
	s_cbranch_execz .LBB181_10
	s_branch .LBB181_11
.LBB181_9:
	s_mov_b32 s8, 0
.LBB181_10:
	v_cmp_gt_u32_e32 vcc_lo, v4, v1
	s_and_not1_b32 s8, s8, exec_lo
	s_and_b32 s9, vcc_lo, exec_lo
	s_delay_alu instid0(SALU_CYCLE_1)
	s_or_b32 s8, s8, s9
.LBB181_11:
	s_delay_alu instid0(SALU_CYCLE_1)
	s_and_saveexec_b32 s9, s8
	s_cbranch_execz .LBB181_13
; %bb.12:
	v_mov_b32_e32 v4, 0
	s_delay_alu instid0(VALU_DEP_1)
	v_mov_b32_e32 v5, v4
	v_mov_b32_e32 v6, v4
	;; [unrolled: 1-line block ×3, first 2 shown]
	ds_store_b128 v3, v[4:7]
.LBB181_13:
	s_or_b32 exec_lo, exec_lo, s9
	s_waitcnt lgkmcnt(0)
	s_barrier
	buffer_gl0_inv
	s_and_saveexec_b32 s8, s2
	s_cbranch_execz .LBB181_15
; %bb.14:
	v_lshlrev_b32_e32 v44, 4, v2
	s_load_b64 s[0:1], s[0:1], 0x68
	s_mul_i32 s10, s10, s30
	ds_load_b128 v[2:5], v44 offset:4096
	ds_load_b128 v[6:9], v0
	ds_load_b128 v[10:13], v0 offset:256
	ds_load_b128 v[14:17], v44 offset:4112
	s_waitcnt lgkmcnt(0)
	s_lshl_b64 s[0:1], s[0:1], 4
	s_delay_alu instid0(SALU_CYCLE_1)
	s_add_u32 s2, s12, s0
	v_mul_f64 v[18:19], v[2:3], v[8:9]
	v_mul_f64 v[34:35], v[14:15], v[12:13]
	;; [unrolled: 1-line block ×4, first 2 shown]
	s_mul_i32 s0, s3, s31
	s_delay_alu instid0(VALU_DEP_4)
	v_fma_f64 v[4:5], v[4:5], v[6:7], v[18:19]
	ds_load_b128 v[18:21], v44 offset:4128
	ds_load_b128 v[22:25], v0 offset:512
	ds_load_b128 v[26:29], v0 offset:768
	ds_load_b128 v[30:33], v44 offset:4144
	v_fma_f64 v[16:17], v[16:17], v[10:11], v[34:35]
	v_fma_f64 v[2:3], v[2:3], v[6:7], -v[8:9]
	s_waitcnt lgkmcnt(2)
	v_mul_f64 v[36:37], v[18:19], v[24:25]
	v_mul_f64 v[24:25], v[20:21], v[24:25]
	s_waitcnt lgkmcnt(0)
	v_mul_f64 v[34:35], v[30:31], v[28:29]
	v_mul_f64 v[28:29], v[32:33], v[28:29]
	v_add_f64 v[4:5], v[4:5], 0
	v_add_f64 v[38:39], v[2:3], 0
	v_fma_f64 v[20:21], v[20:21], v[22:23], v[36:37]
	v_fma_f64 v[36:37], v[14:15], v[10:11], -v[12:13]
	v_fma_f64 v[32:33], v[32:33], v[26:27], v[34:35]
	v_fma_f64 v[18:19], v[18:19], v[22:23], -v[24:25]
	v_add_f64 v[40:41], v[4:5], v[16:17]
	ds_load_b128 v[2:5], v44 offset:4160
	ds_load_b128 v[6:9], v0 offset:1024
	ds_load_b128 v[10:13], v0 offset:1280
	ds_load_b128 v[14:17], v44 offset:4176
	s_waitcnt lgkmcnt(2)
	v_mul_f64 v[42:43], v[2:3], v[8:9]
	v_add_f64 v[22:23], v[38:39], v[36:37]
	s_waitcnt lgkmcnt(0)
	v_mul_f64 v[34:35], v[14:15], v[12:13]
	v_mul_f64 v[8:9], v[4:5], v[8:9]
	v_fma_f64 v[36:37], v[30:31], v[26:27], -v[28:29]
	v_mul_f64 v[12:13], v[16:17], v[12:13]
	v_add_f64 v[20:21], v[40:41], v[20:21]
	v_fma_f64 v[4:5], v[4:5], v[6:7], v[42:43]
	v_add_f64 v[38:39], v[22:23], v[18:19]
	v_fma_f64 v[16:17], v[16:17], v[10:11], v[34:35]
	v_fma_f64 v[2:3], v[2:3], v[6:7], -v[8:9]
	v_add_f64 v[40:41], v[20:21], v[32:33]
	ds_load_b128 v[18:21], v44 offset:4192
	ds_load_b128 v[22:25], v0 offset:1536
	ds_load_b128 v[26:29], v0 offset:1792
	ds_load_b128 v[30:33], v44 offset:4208
	s_waitcnt lgkmcnt(2)
	v_mul_f64 v[42:43], v[18:19], v[24:25]
	v_add_f64 v[6:7], v[38:39], v[36:37]
	s_waitcnt lgkmcnt(0)
	v_mul_f64 v[34:35], v[30:31], v[28:29]
	v_mul_f64 v[24:25], v[20:21], v[24:25]
	v_fma_f64 v[36:37], v[14:15], v[10:11], -v[12:13]
	v_mul_f64 v[28:29], v[32:33], v[28:29]
	v_add_f64 v[4:5], v[40:41], v[4:5]
	v_fma_f64 v[20:21], v[20:21], v[22:23], v[42:43]
	v_add_f64 v[38:39], v[6:7], v[2:3]
	;; [unrolled: 18-line block ×5, first 2 shown]
	v_fma_f64 v[16:17], v[16:17], v[10:11], v[34:35]
	v_fma_f64 v[2:3], v[2:3], v[6:7], -v[8:9]
	v_fma_f64 v[10:11], v[14:15], v[10:11], -v[12:13]
	v_add_f64 v[40:41], v[20:21], v[32:33]
	ds_load_b128 v[18:21], v44 offset:4320
	ds_load_b128 v[22:25], v0 offset:3584
	;; [unrolled: 1-line block ×4, first 2 shown]
	s_waitcnt lgkmcnt(2)
	v_mul_f64 v[42:43], v[18:19], v[24:25]
	v_add_f64 v[6:7], v[38:39], v[36:37]
	s_waitcnt lgkmcnt(0)
	v_mul_f64 v[8:9], v[30:31], v[28:29]
	v_mul_f64 v[24:25], v[20:21], v[24:25]
	v_add_f64 v[4:5], v[40:41], v[4:5]
	v_fma_f64 v[20:21], v[20:21], v[22:23], v[42:43]
	v_add_f64 v[2:3], v[6:7], v[2:3]
	v_mul_f64 v[6:7], v[32:33], v[28:29]
	v_fma_f64 v[8:9], v[32:33], v[26:27], v[8:9]
	v_fma_f64 v[12:13], v[18:19], v[22:23], -v[24:25]
	v_add_f64 v[4:5], v[4:5], v[16:17]
	v_add_f64 v[2:3], v[2:3], v[10:11]
	v_fma_f64 v[6:7], v[30:31], v[26:27], -v[6:7]
	v_mad_u64_u32 v[10:11], null, v1, s30, 0
	s_delay_alu instid0(VALU_DEP_4) | instskip(NEXT) | instid1(VALU_DEP_4)
	v_add_f64 v[4:5], v[4:5], v[20:21]
	v_add_f64 v[2:3], v[2:3], v[12:13]
	s_delay_alu instid0(VALU_DEP_2) | instskip(NEXT) | instid1(VALU_DEP_2)
	v_add_f64 v[4:5], v[4:5], v[8:9]
	v_add_f64 v[2:3], v[2:3], v[6:7]
	s_delay_alu instid0(VALU_DEP_2) | instskip(SKIP_1) | instid1(VALU_DEP_2)
	v_mul_f64 v[6:7], s[4:5], v[4:5]
	v_mul_f64 v[8:9], s[6:7], v[4:5]
	v_fma_f64 v[4:5], s[6:7], v[2:3], v[6:7]
	s_delay_alu instid0(VALU_DEP_2) | instskip(SKIP_4) | instid1(VALU_DEP_1)
	v_fma_f64 v[2:3], s[4:5], v[2:3], -v[8:9]
	v_mov_b32_e32 v6, v11
	s_mul_hi_u32 s4, s3, s30
	s_addc_u32 s5, s13, s1
	s_add_i32 s0, s4, s0
	v_mad_u64_u32 v[7:8], null, v1, s31, v[6:7]
	s_add_i32 s1, s0, s10
	s_mul_i32 s0, s3, s30
	s_delay_alu instid0(SALU_CYCLE_1) | instskip(NEXT) | instid1(SALU_CYCLE_1)
	s_lshl_b64 s[0:1], s[0:1], 4
	s_add_u32 s0, s2, s0
	s_delay_alu instid0(VALU_DEP_1) | instskip(SKIP_1) | instid1(VALU_DEP_1)
	v_mov_b32_e32 v11, v7
	s_addc_u32 s1, s5, s1
	v_lshlrev_b64 v[6:7], 4, v[10:11]
	s_delay_alu instid0(VALU_DEP_1) | instskip(NEXT) | instid1(VALU_DEP_2)
	v_add_co_u32 v1, vcc_lo, s0, v6
	v_add_co_ci_u32_e32 v6, vcc_lo, s1, v7, vcc_lo
	s_delay_alu instid0(VALU_DEP_2) | instskip(NEXT) | instid1(VALU_DEP_2)
	v_add_co_u32 v0, vcc_lo, v1, v0
	v_add_co_ci_u32_e32 v1, vcc_lo, 0, v6, vcc_lo
	global_store_b128 v[0:1], v[2:5], off
.LBB181_15:
	s_nop 0
	s_sendmsg sendmsg(MSG_DEALLOC_VGPRS)
	s_endpgm
	.section	.rodata,"a",@progbits
	.p2align	6, 0x0
	.amdhsa_kernel _ZL23rocblas_trmm_lNx_kernelILi16E19rocblas_complex_numIdES1_KPKS1_KPS1_Ev13rocblas_fill_17rocblas_diagonal_iiT1_lPT2_llSB_llPT3_lli
		.amdhsa_group_segment_fixed_size 8192
		.amdhsa_private_segment_fixed_size 0
		.amdhsa_kernarg_size 116
		.amdhsa_user_sgpr_count 14
		.amdhsa_user_sgpr_dispatch_ptr 0
		.amdhsa_user_sgpr_queue_ptr 0
		.amdhsa_user_sgpr_kernarg_segment_ptr 1
		.amdhsa_user_sgpr_dispatch_id 0
		.amdhsa_user_sgpr_private_segment_size 0
		.amdhsa_wavefront_size32 1
		.amdhsa_uses_dynamic_stack 0
		.amdhsa_enable_private_segment 0
		.amdhsa_system_sgpr_workgroup_id_x 1
		.amdhsa_system_sgpr_workgroup_id_y 0
		.amdhsa_system_sgpr_workgroup_id_z 1
		.amdhsa_system_sgpr_workgroup_info 0
		.amdhsa_system_vgpr_workitem_id 1
		.amdhsa_next_free_vgpr 45
		.amdhsa_next_free_sgpr 40
		.amdhsa_reserve_vcc 1
		.amdhsa_float_round_mode_32 0
		.amdhsa_float_round_mode_16_64 0
		.amdhsa_float_denorm_mode_32 3
		.amdhsa_float_denorm_mode_16_64 3
		.amdhsa_dx10_clamp 1
		.amdhsa_ieee_mode 1
		.amdhsa_fp16_overflow 0
		.amdhsa_workgroup_processor_mode 1
		.amdhsa_memory_ordered 1
		.amdhsa_forward_progress 0
		.amdhsa_shared_vgpr_count 0
		.amdhsa_exception_fp_ieee_invalid_op 0
		.amdhsa_exception_fp_denorm_src 0
		.amdhsa_exception_fp_ieee_div_zero 0
		.amdhsa_exception_fp_ieee_overflow 0
		.amdhsa_exception_fp_ieee_underflow 0
		.amdhsa_exception_fp_ieee_inexact 0
		.amdhsa_exception_int_div_zero 0
	.end_amdhsa_kernel
	.section	.text._ZL23rocblas_trmm_lNx_kernelILi16E19rocblas_complex_numIdES1_KPKS1_KPS1_Ev13rocblas_fill_17rocblas_diagonal_iiT1_lPT2_llSB_llPT3_lli,"axG",@progbits,_ZL23rocblas_trmm_lNx_kernelILi16E19rocblas_complex_numIdES1_KPKS1_KPS1_Ev13rocblas_fill_17rocblas_diagonal_iiT1_lPT2_llSB_llPT3_lli,comdat
.Lfunc_end181:
	.size	_ZL23rocblas_trmm_lNx_kernelILi16E19rocblas_complex_numIdES1_KPKS1_KPS1_Ev13rocblas_fill_17rocblas_diagonal_iiT1_lPT2_llSB_llPT3_lli, .Lfunc_end181-_ZL23rocblas_trmm_lNx_kernelILi16E19rocblas_complex_numIdES1_KPKS1_KPS1_Ev13rocblas_fill_17rocblas_diagonal_iiT1_lPT2_llSB_llPT3_lli
                                        ; -- End function
	.section	.AMDGPU.csdata,"",@progbits
; Kernel info:
; codeLenInByte = 2048
; NumSgprs: 42
; NumVgprs: 45
; ScratchSize: 0
; MemoryBound: 0
; FloatMode: 240
; IeeeMode: 1
; LDSByteSize: 8192 bytes/workgroup (compile time only)
; SGPRBlocks: 5
; VGPRBlocks: 5
; NumSGPRsForWavesPerEU: 42
; NumVGPRsForWavesPerEU: 45
; Occupancy: 16
; WaveLimiterHint : 1
; COMPUTE_PGM_RSRC2:SCRATCH_EN: 0
; COMPUTE_PGM_RSRC2:USER_SGPR: 14
; COMPUTE_PGM_RSRC2:TRAP_HANDLER: 0
; COMPUTE_PGM_RSRC2:TGID_X_EN: 1
; COMPUTE_PGM_RSRC2:TGID_Y_EN: 0
; COMPUTE_PGM_RSRC2:TGID_Z_EN: 1
; COMPUTE_PGM_RSRC2:TIDIG_COMP_CNT: 1
	.section	.text._ZL23rocblas_trmm_lTx_kernelILi16ELb0E19rocblas_complex_numIdEPKS1_KS3_KPS1_Ev13rocblas_fill_17rocblas_diagonal_iiT2_lPT3_llSB_llPT4_lli,"axG",@progbits,_ZL23rocblas_trmm_lTx_kernelILi16ELb0E19rocblas_complex_numIdEPKS1_KS3_KPS1_Ev13rocblas_fill_17rocblas_diagonal_iiT2_lPT3_llSB_llPT4_lli,comdat
	.globl	_ZL23rocblas_trmm_lTx_kernelILi16ELb0E19rocblas_complex_numIdEPKS1_KS3_KPS1_Ev13rocblas_fill_17rocblas_diagonal_iiT2_lPT3_llSB_llPT4_lli ; -- Begin function _ZL23rocblas_trmm_lTx_kernelILi16ELb0E19rocblas_complex_numIdEPKS1_KS3_KPS1_Ev13rocblas_fill_17rocblas_diagonal_iiT2_lPT3_llSB_llPT4_lli
	.p2align	8
	.type	_ZL23rocblas_trmm_lTx_kernelILi16ELb0E19rocblas_complex_numIdEPKS1_KS3_KPS1_Ev13rocblas_fill_17rocblas_diagonal_iiT2_lPT3_llSB_llPT4_lli,@function
_ZL23rocblas_trmm_lTx_kernelILi16ELb0E19rocblas_complex_numIdEPKS1_KS3_KPS1_Ev13rocblas_fill_17rocblas_diagonal_iiT2_lPT3_llSB_llPT4_lli: ; @_ZL23rocblas_trmm_lTx_kernelILi16ELb0E19rocblas_complex_numIdEPKS1_KS3_KPS1_Ev13rocblas_fill_17rocblas_diagonal_iiT2_lPT3_llSB_llPT4_lli
; %bb.0:
	s_load_b512 s[16:31], s[0:1], 0x10
	s_waitcnt lgkmcnt(0)
	s_mul_i32 s3, s15, s19
	s_mul_hi_u32 s4, s15, s18
	s_mul_i32 s2, s15, s18
	s_add_i32 s3, s4, s3
	s_delay_alu instid0(SALU_CYCLE_1) | instskip(NEXT) | instid1(SALU_CYCLE_1)
	s_lshl_b64 s[2:3], s[2:3], 4
	s_add_u32 s2, s16, s2
	s_addc_u32 s3, s17, s3
	s_load_b128 s[4:7], s[2:3], 0x0
	s_waitcnt lgkmcnt(0)
	v_cmp_neq_f64_e64 s2, s[4:5], 0
	v_cmp_neq_f64_e64 s3, s[6:7], 0
	s_delay_alu instid0(VALU_DEP_1) | instskip(NEXT) | instid1(SALU_CYCLE_1)
	s_or_b32 s2, s2, s3
	s_and_not1_b32 vcc_lo, exec_lo, s2
	s_cbranch_vccnz .LBB182_15
; %bb.1:
	s_clause 0x1
	s_load_b128 s[8:11], s[0:1], 0x50
	s_load_b128 s[16:19], s[0:1], 0x0
	s_mov_b32 s36, s15
	s_mov_b32 s37, 0
	v_bfe_u32 v1, v0, 10, 10
	s_lshl_b64 s[2:3], s[36:37], 3
	s_mov_b32 s36, s37
	s_add_u32 s12, s20, s2
	s_addc_u32 s13, s21, s3
	s_mov_b32 s38, s37
	s_load_b64 s[20:21], s[12:13], 0x0
	s_add_u32 s12, s26, s2
	s_addc_u32 s13, s27, s3
	s_mov_b32 s39, s37
	v_dual_mov_b32 v5, s36 :: v_dual_and_b32 v4, 0x3ff, v0
	v_dual_mov_b32 v7, s38 :: v_dual_lshlrev_b32 v2, 4, v1
	v_mov_b32_e32 v6, s37
	v_mov_b32_e32 v8, s39
	s_waitcnt lgkmcnt(0)
	s_add_u32 s2, s8, s2
	s_addc_u32 s3, s9, s3
	s_load_b64 s[12:13], s[12:13], 0x0
	s_load_b64 s[8:9], s[2:3], 0x0
	v_cmp_gt_i32_e64 s2, s18, v1
	v_cmp_gt_i32_e32 vcc_lo, s18, v4
	v_add_lshl_u32 v3, v2, v4, 4
	v_lshlrev_b32_e32 v0, 4, v4
	ds_store_b128 v3, v[5:8]
	ds_store_b128 v3, v[5:8] offset:4096
	s_and_b32 s2, s2, vcc_lo
	s_waitcnt lgkmcnt(0)
	s_barrier
	buffer_gl0_inv
	s_and_saveexec_b32 s3, s2
	s_cbranch_execz .LBB182_3
; %bb.2:
	v_mad_u64_u32 v[5:6], null, v1, s22, 0
	v_add_lshl_u32 v9, v0, v1, 4
	s_delay_alu instid0(VALU_DEP_2) | instskip(SKIP_1) | instid1(SALU_CYCLE_1)
	v_mad_u64_u32 v[7:8], null, v1, s23, v[6:7]
	s_lshl_b64 s[22:23], s[24:25], 4
	s_add_u32 s2, s20, s22
	s_addc_u32 s15, s21, s23
	s_delay_alu instid0(VALU_DEP_1) | instskip(NEXT) | instid1(VALU_DEP_1)
	v_mov_b32_e32 v6, v7
	v_lshlrev_b64 v[5:6], 4, v[5:6]
	s_delay_alu instid0(VALU_DEP_1) | instskip(NEXT) | instid1(VALU_DEP_1)
	v_add_co_u32 v5, s2, s2, v5
	v_add_co_ci_u32_e64 v6, s2, s15, v6, s2
	s_delay_alu instid0(VALU_DEP_2) | instskip(NEXT) | instid1(VALU_DEP_1)
	v_add_co_u32 v5, s2, v5, v0
	v_add_co_ci_u32_e64 v6, s2, 0, v6, s2
	global_load_b128 v[5:8], v[5:6], off
	s_waitcnt vmcnt(0)
	ds_store_2addr_b64 v9, v[5:6], v[7:8] offset1:1
.LBB182_3:
	s_or_b32 exec_lo, exec_lo, s3
	s_add_i32 s2, s19, -1
	s_delay_alu instid0(SALU_CYCLE_1) | instskip(NEXT) | instid1(SALU_CYCLE_1)
	s_ashr_i32 s3, s2, 31
	s_lshr_b32 s3, s3, 28
	s_delay_alu instid0(SALU_CYCLE_1) | instskip(NEXT) | instid1(SALU_CYCLE_1)
	s_add_i32 s2, s2, s3
	s_and_b32 s3, s2, -16
	s_ashr_i32 s2, s2, 4
	s_sub_i32 s3, s19, s3
	s_cmp_ge_i32 s14, s2
	s_cselect_b32 s2, s3, 16
	s_lshl_b32 s3, s14, 4
	v_cmp_gt_i32_e64 s2, s2, v1
	s_ashr_i32 s14, s3, 31
	s_delay_alu instid0(VALU_DEP_1) | instskip(NEXT) | instid1(SALU_CYCLE_1)
	s_and_b32 s2, vcc_lo, s2
	s_and_saveexec_b32 s15, s2
	s_cbranch_execz .LBB182_5
; %bb.4:
	v_mad_u64_u32 v[5:6], null, v1, s28, 0
	s_lshl_b64 s[18:19], s[30:31], 4
	s_mul_i32 s20, s3, s29
	s_mul_hi_u32 s21, s3, s28
	s_add_u32 s18, s12, s18
	s_mul_i32 s22, s14, s28
	s_addc_u32 s19, s13, s19
	s_delay_alu instid0(VALU_DEP_1)
	v_mad_u64_u32 v[7:8], null, v1, s29, v[6:7]
	s_add_i32 s13, s21, s20
	s_mul_i32 s12, s3, s28
	s_add_i32 s13, s13, s22
	v_add_nc_u32_e32 v9, 0x1000, v3
	s_lshl_b64 s[12:13], s[12:13], 4
	s_delay_alu instid0(VALU_DEP_2) | instskip(SKIP_2) | instid1(VALU_DEP_1)
	v_mov_b32_e32 v6, v7
	s_add_u32 s12, s18, s12
	s_addc_u32 s13, s19, s13
	v_lshlrev_b64 v[5:6], 4, v[5:6]
	s_delay_alu instid0(VALU_DEP_1) | instskip(NEXT) | instid1(VALU_DEP_2)
	v_add_co_u32 v5, vcc_lo, s12, v5
	v_add_co_ci_u32_e32 v6, vcc_lo, s13, v6, vcc_lo
	s_delay_alu instid0(VALU_DEP_2) | instskip(NEXT) | instid1(VALU_DEP_2)
	v_add_co_u32 v5, vcc_lo, v5, v0
	v_add_co_ci_u32_e32 v6, vcc_lo, 0, v6, vcc_lo
	global_load_b128 v[5:8], v[5:6], off
	s_waitcnt vmcnt(0)
	ds_store_2addr_b64 v9, v[5:6], v[7:8] offset1:1
.LBB182_5:
	s_or_b32 exec_lo, exec_lo, s15
	v_cmp_eq_u32_e32 vcc_lo, v1, v4
	s_cmpk_eq_i32 s17, 0x84
	s_cselect_b32 s12, -1, 0
	s_delay_alu instid0(SALU_CYCLE_1) | instskip(NEXT) | instid1(SALU_CYCLE_1)
	s_and_b32 s13, vcc_lo, s12
	s_and_saveexec_b32 s12, s13
	s_cbranch_execz .LBB182_7
; %bb.6:
	v_dual_mov_b32 v5, 0 :: v_dual_mov_b32 v6, 0x3ff00000
	s_delay_alu instid0(VALU_DEP_1)
	v_mov_b32_e32 v7, v5
	v_mov_b32_e32 v8, v5
	ds_store_b128 v3, v[5:8]
.LBB182_7:
	s_or_b32 exec_lo, exec_lo, s12
	s_cmpk_lg_i32 s16, 0x7a
	s_waitcnt lgkmcnt(0)
	s_barrier
	buffer_gl0_inv
	s_cbranch_scc0 .LBB182_9
; %bb.8:
	v_cmp_lt_u32_e32 vcc_lo, v4, v1
	s_and_b32 s12, vcc_lo, exec_lo
	s_cbranch_execz .LBB182_10
	s_branch .LBB182_11
.LBB182_9:
	s_mov_b32 s12, 0
.LBB182_10:
	v_cmp_gt_u32_e32 vcc_lo, v4, v1
	s_and_not1_b32 s12, s12, exec_lo
	s_and_b32 s13, vcc_lo, exec_lo
	s_delay_alu instid0(SALU_CYCLE_1)
	s_or_b32 s12, s12, s13
.LBB182_11:
	s_delay_alu instid0(SALU_CYCLE_1)
	s_and_saveexec_b32 s13, s12
	s_cbranch_execz .LBB182_13
; %bb.12:
	v_mov_b32_e32 v4, 0
	s_delay_alu instid0(VALU_DEP_1)
	v_mov_b32_e32 v5, v4
	v_mov_b32_e32 v6, v4
	;; [unrolled: 1-line block ×3, first 2 shown]
	ds_store_b128 v3, v[4:7]
.LBB182_13:
	s_or_b32 exec_lo, exec_lo, s13
	s_waitcnt lgkmcnt(0)
	s_barrier
	buffer_gl0_inv
	s_and_saveexec_b32 s12, s2
	s_cbranch_execz .LBB182_15
; %bb.14:
	v_lshlrev_b32_e32 v44, 4, v2
	s_load_b64 s[0:1], s[0:1], 0x60
	s_mul_i32 s14, s14, s10
	ds_load_b128 v[2:5], v44 offset:4096
	ds_load_b128 v[6:9], v0
	ds_load_b128 v[10:13], v0 offset:256
	ds_load_b128 v[14:17], v44 offset:4112
	s_waitcnt lgkmcnt(0)
	s_lshl_b64 s[0:1], s[0:1], 4
	s_delay_alu instid0(SALU_CYCLE_1)
	s_add_u32 s2, s8, s0
	v_mul_f64 v[18:19], v[2:3], v[8:9]
	v_mul_f64 v[34:35], v[14:15], v[12:13]
	;; [unrolled: 1-line block ×4, first 2 shown]
	s_mul_i32 s0, s3, s11
	s_delay_alu instid0(VALU_DEP_4)
	v_fma_f64 v[4:5], v[4:5], v[6:7], v[18:19]
	ds_load_b128 v[18:21], v44 offset:4128
	ds_load_b128 v[22:25], v0 offset:512
	;; [unrolled: 1-line block ×4, first 2 shown]
	v_fma_f64 v[16:17], v[16:17], v[10:11], v[34:35]
	v_fma_f64 v[2:3], v[2:3], v[6:7], -v[8:9]
	s_waitcnt lgkmcnt(2)
	v_mul_f64 v[36:37], v[18:19], v[24:25]
	v_mul_f64 v[24:25], v[20:21], v[24:25]
	s_waitcnt lgkmcnt(0)
	v_mul_f64 v[34:35], v[30:31], v[28:29]
	v_mul_f64 v[28:29], v[32:33], v[28:29]
	v_add_f64 v[4:5], v[4:5], 0
	v_add_f64 v[38:39], v[2:3], 0
	v_fma_f64 v[20:21], v[20:21], v[22:23], v[36:37]
	v_fma_f64 v[36:37], v[14:15], v[10:11], -v[12:13]
	v_fma_f64 v[32:33], v[32:33], v[26:27], v[34:35]
	v_fma_f64 v[18:19], v[18:19], v[22:23], -v[24:25]
	v_add_f64 v[40:41], v[4:5], v[16:17]
	ds_load_b128 v[2:5], v44 offset:4160
	ds_load_b128 v[6:9], v0 offset:1024
	ds_load_b128 v[10:13], v0 offset:1280
	ds_load_b128 v[14:17], v44 offset:4176
	s_waitcnt lgkmcnt(2)
	v_mul_f64 v[42:43], v[2:3], v[8:9]
	v_add_f64 v[22:23], v[38:39], v[36:37]
	s_waitcnt lgkmcnt(0)
	v_mul_f64 v[34:35], v[14:15], v[12:13]
	v_mul_f64 v[8:9], v[4:5], v[8:9]
	v_fma_f64 v[36:37], v[30:31], v[26:27], -v[28:29]
	v_mul_f64 v[12:13], v[16:17], v[12:13]
	v_add_f64 v[20:21], v[40:41], v[20:21]
	v_fma_f64 v[4:5], v[4:5], v[6:7], v[42:43]
	v_add_f64 v[38:39], v[22:23], v[18:19]
	v_fma_f64 v[16:17], v[16:17], v[10:11], v[34:35]
	v_fma_f64 v[2:3], v[2:3], v[6:7], -v[8:9]
	v_add_f64 v[40:41], v[20:21], v[32:33]
	ds_load_b128 v[18:21], v44 offset:4192
	ds_load_b128 v[22:25], v0 offset:1536
	ds_load_b128 v[26:29], v0 offset:1792
	ds_load_b128 v[30:33], v44 offset:4208
	s_waitcnt lgkmcnt(2)
	v_mul_f64 v[42:43], v[18:19], v[24:25]
	v_add_f64 v[6:7], v[38:39], v[36:37]
	s_waitcnt lgkmcnt(0)
	v_mul_f64 v[34:35], v[30:31], v[28:29]
	v_mul_f64 v[24:25], v[20:21], v[24:25]
	v_fma_f64 v[36:37], v[14:15], v[10:11], -v[12:13]
	v_mul_f64 v[28:29], v[32:33], v[28:29]
	v_add_f64 v[4:5], v[40:41], v[4:5]
	v_fma_f64 v[20:21], v[20:21], v[22:23], v[42:43]
	v_add_f64 v[38:39], v[6:7], v[2:3]
	;; [unrolled: 18-line block ×5, first 2 shown]
	v_fma_f64 v[16:17], v[16:17], v[10:11], v[34:35]
	v_fma_f64 v[2:3], v[2:3], v[6:7], -v[8:9]
	v_fma_f64 v[10:11], v[14:15], v[10:11], -v[12:13]
	v_add_f64 v[40:41], v[20:21], v[32:33]
	ds_load_b128 v[18:21], v44 offset:4320
	ds_load_b128 v[22:25], v0 offset:3584
	;; [unrolled: 1-line block ×4, first 2 shown]
	s_waitcnt lgkmcnt(2)
	v_mul_f64 v[42:43], v[18:19], v[24:25]
	v_add_f64 v[6:7], v[38:39], v[36:37]
	s_waitcnt lgkmcnt(0)
	v_mul_f64 v[8:9], v[30:31], v[28:29]
	v_mul_f64 v[24:25], v[20:21], v[24:25]
	v_add_f64 v[4:5], v[40:41], v[4:5]
	v_fma_f64 v[20:21], v[20:21], v[22:23], v[42:43]
	v_add_f64 v[2:3], v[6:7], v[2:3]
	v_mul_f64 v[6:7], v[32:33], v[28:29]
	v_fma_f64 v[8:9], v[32:33], v[26:27], v[8:9]
	v_fma_f64 v[12:13], v[18:19], v[22:23], -v[24:25]
	v_add_f64 v[4:5], v[4:5], v[16:17]
	v_add_f64 v[2:3], v[2:3], v[10:11]
	v_fma_f64 v[6:7], v[30:31], v[26:27], -v[6:7]
	v_mad_u64_u32 v[10:11], null, v1, s10, 0
	s_delay_alu instid0(VALU_DEP_4) | instskip(NEXT) | instid1(VALU_DEP_4)
	v_add_f64 v[4:5], v[4:5], v[20:21]
	v_add_f64 v[2:3], v[2:3], v[12:13]
	s_delay_alu instid0(VALU_DEP_2) | instskip(NEXT) | instid1(VALU_DEP_2)
	v_add_f64 v[4:5], v[4:5], v[8:9]
	v_add_f64 v[2:3], v[2:3], v[6:7]
	s_delay_alu instid0(VALU_DEP_2) | instskip(SKIP_1) | instid1(VALU_DEP_2)
	v_mul_f64 v[6:7], s[4:5], v[4:5]
	v_mul_f64 v[8:9], s[6:7], v[4:5]
	v_fma_f64 v[4:5], s[6:7], v[2:3], v[6:7]
	s_delay_alu instid0(VALU_DEP_2) | instskip(SKIP_4) | instid1(VALU_DEP_1)
	v_fma_f64 v[2:3], s[4:5], v[2:3], -v[8:9]
	v_mov_b32_e32 v6, v11
	s_mul_hi_u32 s4, s3, s10
	s_addc_u32 s5, s9, s1
	s_add_i32 s0, s4, s0
	v_mad_u64_u32 v[7:8], null, v1, s11, v[6:7]
	s_add_i32 s1, s0, s14
	s_mul_i32 s0, s3, s10
	s_delay_alu instid0(SALU_CYCLE_1) | instskip(NEXT) | instid1(SALU_CYCLE_1)
	s_lshl_b64 s[0:1], s[0:1], 4
	s_add_u32 s0, s2, s0
	s_delay_alu instid0(VALU_DEP_1) | instskip(SKIP_1) | instid1(VALU_DEP_1)
	v_mov_b32_e32 v11, v7
	s_addc_u32 s1, s5, s1
	v_lshlrev_b64 v[6:7], 4, v[10:11]
	s_delay_alu instid0(VALU_DEP_1) | instskip(NEXT) | instid1(VALU_DEP_2)
	v_add_co_u32 v1, vcc_lo, s0, v6
	v_add_co_ci_u32_e32 v6, vcc_lo, s1, v7, vcc_lo
	s_delay_alu instid0(VALU_DEP_2) | instskip(NEXT) | instid1(VALU_DEP_2)
	v_add_co_u32 v0, vcc_lo, v1, v0
	v_add_co_ci_u32_e32 v1, vcc_lo, 0, v6, vcc_lo
	global_store_b128 v[0:1], v[2:5], off
.LBB182_15:
	s_nop 0
	s_sendmsg sendmsg(MSG_DEALLOC_VGPRS)
	s_endpgm
	.section	.rodata,"a",@progbits
	.p2align	6, 0x0
	.amdhsa_kernel _ZL23rocblas_trmm_lTx_kernelILi16ELb0E19rocblas_complex_numIdEPKS1_KS3_KPS1_Ev13rocblas_fill_17rocblas_diagonal_iiT2_lPT3_llSB_llPT4_lli
		.amdhsa_group_segment_fixed_size 8192
		.amdhsa_private_segment_fixed_size 0
		.amdhsa_kernarg_size 108
		.amdhsa_user_sgpr_count 14
		.amdhsa_user_sgpr_dispatch_ptr 0
		.amdhsa_user_sgpr_queue_ptr 0
		.amdhsa_user_sgpr_kernarg_segment_ptr 1
		.amdhsa_user_sgpr_dispatch_id 0
		.amdhsa_user_sgpr_private_segment_size 0
		.amdhsa_wavefront_size32 1
		.amdhsa_uses_dynamic_stack 0
		.amdhsa_enable_private_segment 0
		.amdhsa_system_sgpr_workgroup_id_x 1
		.amdhsa_system_sgpr_workgroup_id_y 0
		.amdhsa_system_sgpr_workgroup_id_z 1
		.amdhsa_system_sgpr_workgroup_info 0
		.amdhsa_system_vgpr_workitem_id 1
		.amdhsa_next_free_vgpr 45
		.amdhsa_next_free_sgpr 40
		.amdhsa_reserve_vcc 1
		.amdhsa_float_round_mode_32 0
		.amdhsa_float_round_mode_16_64 0
		.amdhsa_float_denorm_mode_32 3
		.amdhsa_float_denorm_mode_16_64 3
		.amdhsa_dx10_clamp 1
		.amdhsa_ieee_mode 1
		.amdhsa_fp16_overflow 0
		.amdhsa_workgroup_processor_mode 1
		.amdhsa_memory_ordered 1
		.amdhsa_forward_progress 0
		.amdhsa_shared_vgpr_count 0
		.amdhsa_exception_fp_ieee_invalid_op 0
		.amdhsa_exception_fp_denorm_src 0
		.amdhsa_exception_fp_ieee_div_zero 0
		.amdhsa_exception_fp_ieee_overflow 0
		.amdhsa_exception_fp_ieee_underflow 0
		.amdhsa_exception_fp_ieee_inexact 0
		.amdhsa_exception_int_div_zero 0
	.end_amdhsa_kernel
	.section	.text._ZL23rocblas_trmm_lTx_kernelILi16ELb0E19rocblas_complex_numIdEPKS1_KS3_KPS1_Ev13rocblas_fill_17rocblas_diagonal_iiT2_lPT3_llSB_llPT4_lli,"axG",@progbits,_ZL23rocblas_trmm_lTx_kernelILi16ELb0E19rocblas_complex_numIdEPKS1_KS3_KPS1_Ev13rocblas_fill_17rocblas_diagonal_iiT2_lPT3_llSB_llPT4_lli,comdat
.Lfunc_end182:
	.size	_ZL23rocblas_trmm_lTx_kernelILi16ELb0E19rocblas_complex_numIdEPKS1_KS3_KPS1_Ev13rocblas_fill_17rocblas_diagonal_iiT2_lPT3_llSB_llPT4_lli, .Lfunc_end182-_ZL23rocblas_trmm_lTx_kernelILi16ELb0E19rocblas_complex_numIdEPKS1_KS3_KPS1_Ev13rocblas_fill_17rocblas_diagonal_iiT2_lPT3_llSB_llPT4_lli
                                        ; -- End function
	.section	.AMDGPU.csdata,"",@progbits
; Kernel info:
; codeLenInByte = 2120
; NumSgprs: 42
; NumVgprs: 45
; ScratchSize: 0
; MemoryBound: 0
; FloatMode: 240
; IeeeMode: 1
; LDSByteSize: 8192 bytes/workgroup (compile time only)
; SGPRBlocks: 5
; VGPRBlocks: 5
; NumSGPRsForWavesPerEU: 42
; NumVGPRsForWavesPerEU: 45
; Occupancy: 16
; WaveLimiterHint : 1
; COMPUTE_PGM_RSRC2:SCRATCH_EN: 0
; COMPUTE_PGM_RSRC2:USER_SGPR: 14
; COMPUTE_PGM_RSRC2:TRAP_HANDLER: 0
; COMPUTE_PGM_RSRC2:TGID_X_EN: 1
; COMPUTE_PGM_RSRC2:TGID_Y_EN: 0
; COMPUTE_PGM_RSRC2:TGID_Z_EN: 1
; COMPUTE_PGM_RSRC2:TIDIG_COMP_CNT: 1
	.section	.text._ZL23rocblas_trmm_lTx_kernelILi16ELb0E19rocblas_complex_numIdES1_KPKS1_KPS1_Ev13rocblas_fill_17rocblas_diagonal_iiT2_lPT3_llSB_llPT4_lli,"axG",@progbits,_ZL23rocblas_trmm_lTx_kernelILi16ELb0E19rocblas_complex_numIdES1_KPKS1_KPS1_Ev13rocblas_fill_17rocblas_diagonal_iiT2_lPT3_llSB_llPT4_lli,comdat
	.globl	_ZL23rocblas_trmm_lTx_kernelILi16ELb0E19rocblas_complex_numIdES1_KPKS1_KPS1_Ev13rocblas_fill_17rocblas_diagonal_iiT2_lPT3_llSB_llPT4_lli ; -- Begin function _ZL23rocblas_trmm_lTx_kernelILi16ELb0E19rocblas_complex_numIdES1_KPKS1_KPS1_Ev13rocblas_fill_17rocblas_diagonal_iiT2_lPT3_llSB_llPT4_lli
	.p2align	8
	.type	_ZL23rocblas_trmm_lTx_kernelILi16ELb0E19rocblas_complex_numIdES1_KPKS1_KPS1_Ev13rocblas_fill_17rocblas_diagonal_iiT2_lPT3_llSB_llPT4_lli,@function
_ZL23rocblas_trmm_lTx_kernelILi16ELb0E19rocblas_complex_numIdES1_KPKS1_KPS1_Ev13rocblas_fill_17rocblas_diagonal_iiT2_lPT3_llSB_llPT4_lli: ; @_ZL23rocblas_trmm_lTx_kernelILi16ELb0E19rocblas_complex_numIdES1_KPKS1_KPS1_Ev13rocblas_fill_17rocblas_diagonal_iiT2_lPT3_llSB_llPT4_lli
; %bb.0:
	s_load_b128 s[4:7], s[0:1], 0x10
	s_waitcnt lgkmcnt(0)
	v_cmp_neq_f64_e64 s2, s[4:5], 0
	v_cmp_neq_f64_e64 s3, s[6:7], 0
	s_delay_alu instid0(VALU_DEP_1) | instskip(NEXT) | instid1(SALU_CYCLE_1)
	s_or_b32 s2, s2, s3
	s_and_not1_b32 vcc_lo, exec_lo, s2
	s_cbranch_vccnz .LBB183_15
; %bb.1:
	s_load_b512 s[16:31], s[0:1], 0x28
	s_mov_b32 s36, s15
	s_mov_b32 s37, 0
	s_load_b128 s[8:11], s[0:1], 0x0
	s_lshl_b64 s[2:3], s[36:37], 3
	v_bfe_u32 v1, v0, 10, 10
	s_mov_b32 s36, s37
	s_mov_b32 s38, s37
	;; [unrolled: 1-line block ×3, first 2 shown]
	v_dual_mov_b32 v5, s36 :: v_dual_and_b32 v4, 0x3ff, v0
	v_dual_mov_b32 v7, s38 :: v_dual_lshlrev_b32 v2, 4, v1
	v_mov_b32_e32 v6, s37
	v_mov_b32_e32 v8, s39
	s_delay_alu instid0(VALU_DEP_4) | instskip(NEXT) | instid1(VALU_DEP_4)
	v_lshlrev_b32_e32 v0, 4, v4
	v_add_lshl_u32 v3, v2, v4, 4
	s_waitcnt lgkmcnt(0)
	s_add_u32 s12, s16, s2
	s_addc_u32 s13, s17, s3
	s_add_u32 s16, s22, s2
	s_addc_u32 s17, s23, s3
	;; [unrolled: 2-line block ×3, first 2 shown]
	s_load_b64 s[34:35], s[12:13], 0x0
	s_load_b64 s[16:17], s[16:17], 0x0
	;; [unrolled: 1-line block ×3, first 2 shown]
	v_cmp_gt_i32_e64 s2, s10, v1
	v_cmp_gt_i32_e32 vcc_lo, s10, v4
	ds_store_b128 v3, v[5:8]
	ds_store_b128 v3, v[5:8] offset:4096
	s_waitcnt lgkmcnt(0)
	s_barrier
	buffer_gl0_inv
	s_and_b32 s2, s2, vcc_lo
	s_delay_alu instid0(SALU_CYCLE_1)
	s_and_saveexec_b32 s3, s2
	s_cbranch_execz .LBB183_3
; %bb.2:
	v_mad_u64_u32 v[5:6], null, v1, s18, 0
	v_add_lshl_u32 v9, v0, v1, 4
	s_delay_alu instid0(VALU_DEP_2) | instskip(SKIP_1) | instid1(SALU_CYCLE_1)
	v_mad_u64_u32 v[7:8], null, v1, s19, v[6:7]
	s_lshl_b64 s[18:19], s[20:21], 4
	s_add_u32 s2, s34, s18
	s_addc_u32 s10, s35, s19
	s_delay_alu instid0(VALU_DEP_1) | instskip(NEXT) | instid1(VALU_DEP_1)
	v_mov_b32_e32 v6, v7
	v_lshlrev_b64 v[5:6], 4, v[5:6]
	s_delay_alu instid0(VALU_DEP_1) | instskip(NEXT) | instid1(VALU_DEP_1)
	v_add_co_u32 v5, s2, s2, v5
	v_add_co_ci_u32_e64 v6, s2, s10, v6, s2
	s_delay_alu instid0(VALU_DEP_2) | instskip(NEXT) | instid1(VALU_DEP_1)
	v_add_co_u32 v5, s2, v5, v0
	v_add_co_ci_u32_e64 v6, s2, 0, v6, s2
	global_load_b128 v[5:8], v[5:6], off
	s_waitcnt vmcnt(0)
	ds_store_2addr_b64 v9, v[5:6], v[7:8] offset1:1
.LBB183_3:
	s_or_b32 exec_lo, exec_lo, s3
	s_add_i32 s2, s11, -1
	s_delay_alu instid0(SALU_CYCLE_1) | instskip(NEXT) | instid1(SALU_CYCLE_1)
	s_ashr_i32 s3, s2, 31
	s_lshr_b32 s3, s3, 28
	s_delay_alu instid0(SALU_CYCLE_1) | instskip(NEXT) | instid1(SALU_CYCLE_1)
	s_add_i32 s2, s2, s3
	s_and_b32 s3, s2, -16
	s_ashr_i32 s2, s2, 4
	s_sub_i32 s3, s11, s3
	s_cmp_ge_i32 s14, s2
	s_cselect_b32 s2, s3, 16
	s_lshl_b32 s3, s14, 4
	v_cmp_gt_i32_e64 s2, s2, v1
	s_ashr_i32 s10, s3, 31
	s_delay_alu instid0(VALU_DEP_1) | instskip(NEXT) | instid1(SALU_CYCLE_1)
	s_and_b32 s2, vcc_lo, s2
	s_and_saveexec_b32 s11, s2
	s_cbranch_execz .LBB183_5
; %bb.4:
	v_mad_u64_u32 v[5:6], null, v1, s24, 0
	s_lshl_b64 s[14:15], s[26:27], 4
	s_mul_i32 s18, s3, s25
	s_mul_hi_u32 s19, s3, s24
	s_add_u32 s16, s16, s14
	s_mul_i32 s20, s10, s24
	s_addc_u32 s17, s17, s15
	s_delay_alu instid0(VALU_DEP_1)
	v_mad_u64_u32 v[7:8], null, v1, s25, v[6:7]
	s_add_i32 s15, s19, s18
	s_mul_i32 s14, s3, s24
	s_add_i32 s15, s15, s20
	v_add_nc_u32_e32 v9, 0x1000, v3
	s_lshl_b64 s[14:15], s[14:15], 4
	s_delay_alu instid0(VALU_DEP_2) | instskip(SKIP_2) | instid1(VALU_DEP_1)
	v_mov_b32_e32 v6, v7
	s_add_u32 s14, s16, s14
	s_addc_u32 s15, s17, s15
	v_lshlrev_b64 v[5:6], 4, v[5:6]
	s_delay_alu instid0(VALU_DEP_1) | instskip(NEXT) | instid1(VALU_DEP_2)
	v_add_co_u32 v5, vcc_lo, s14, v5
	v_add_co_ci_u32_e32 v6, vcc_lo, s15, v6, vcc_lo
	s_delay_alu instid0(VALU_DEP_2) | instskip(NEXT) | instid1(VALU_DEP_2)
	v_add_co_u32 v5, vcc_lo, v5, v0
	v_add_co_ci_u32_e32 v6, vcc_lo, 0, v6, vcc_lo
	global_load_b128 v[5:8], v[5:6], off
	s_waitcnt vmcnt(0)
	ds_store_2addr_b64 v9, v[5:6], v[7:8] offset1:1
.LBB183_5:
	s_or_b32 exec_lo, exec_lo, s11
	v_cmp_eq_u32_e32 vcc_lo, v1, v4
	s_cmpk_eq_i32 s9, 0x84
	s_cselect_b32 s9, -1, 0
	s_delay_alu instid0(SALU_CYCLE_1) | instskip(NEXT) | instid1(SALU_CYCLE_1)
	s_and_b32 s11, vcc_lo, s9
	s_and_saveexec_b32 s9, s11
	s_cbranch_execz .LBB183_7
; %bb.6:
	v_dual_mov_b32 v5, 0 :: v_dual_mov_b32 v6, 0x3ff00000
	s_delay_alu instid0(VALU_DEP_1)
	v_mov_b32_e32 v7, v5
	v_mov_b32_e32 v8, v5
	ds_store_b128 v3, v[5:8]
.LBB183_7:
	s_or_b32 exec_lo, exec_lo, s9
	s_cmpk_lg_i32 s8, 0x7a
	s_waitcnt lgkmcnt(0)
	s_barrier
	buffer_gl0_inv
	s_cbranch_scc0 .LBB183_9
; %bb.8:
	v_cmp_lt_u32_e32 vcc_lo, v4, v1
	s_and_b32 s8, vcc_lo, exec_lo
	s_cbranch_execz .LBB183_10
	s_branch .LBB183_11
.LBB183_9:
	s_mov_b32 s8, 0
.LBB183_10:
	v_cmp_gt_u32_e32 vcc_lo, v4, v1
	s_and_not1_b32 s8, s8, exec_lo
	s_and_b32 s9, vcc_lo, exec_lo
	s_delay_alu instid0(SALU_CYCLE_1)
	s_or_b32 s8, s8, s9
.LBB183_11:
	s_delay_alu instid0(SALU_CYCLE_1)
	s_and_saveexec_b32 s9, s8
	s_cbranch_execz .LBB183_13
; %bb.12:
	v_mov_b32_e32 v4, 0
	s_delay_alu instid0(VALU_DEP_1)
	v_mov_b32_e32 v5, v4
	v_mov_b32_e32 v6, v4
	;; [unrolled: 1-line block ×3, first 2 shown]
	ds_store_b128 v3, v[4:7]
.LBB183_13:
	s_or_b32 exec_lo, exec_lo, s9
	s_waitcnt lgkmcnt(0)
	s_barrier
	buffer_gl0_inv
	s_and_saveexec_b32 s8, s2
	s_cbranch_execz .LBB183_15
; %bb.14:
	v_lshlrev_b32_e32 v44, 4, v2
	s_load_b64 s[0:1], s[0:1], 0x68
	s_mul_i32 s10, s10, s30
	ds_load_b128 v[2:5], v44 offset:4096
	ds_load_b128 v[6:9], v0
	ds_load_b128 v[10:13], v0 offset:256
	ds_load_b128 v[14:17], v44 offset:4112
	s_waitcnt lgkmcnt(0)
	s_lshl_b64 s[0:1], s[0:1], 4
	s_delay_alu instid0(SALU_CYCLE_1)
	s_add_u32 s2, s12, s0
	v_mul_f64 v[18:19], v[2:3], v[8:9]
	v_mul_f64 v[34:35], v[14:15], v[12:13]
	;; [unrolled: 1-line block ×4, first 2 shown]
	s_mul_i32 s0, s3, s31
	s_delay_alu instid0(VALU_DEP_4)
	v_fma_f64 v[4:5], v[4:5], v[6:7], v[18:19]
	ds_load_b128 v[18:21], v44 offset:4128
	ds_load_b128 v[22:25], v0 offset:512
	;; [unrolled: 1-line block ×4, first 2 shown]
	v_fma_f64 v[16:17], v[16:17], v[10:11], v[34:35]
	v_fma_f64 v[2:3], v[2:3], v[6:7], -v[8:9]
	s_waitcnt lgkmcnt(2)
	v_mul_f64 v[36:37], v[18:19], v[24:25]
	v_mul_f64 v[24:25], v[20:21], v[24:25]
	s_waitcnt lgkmcnt(0)
	v_mul_f64 v[34:35], v[30:31], v[28:29]
	v_mul_f64 v[28:29], v[32:33], v[28:29]
	v_add_f64 v[4:5], v[4:5], 0
	v_add_f64 v[38:39], v[2:3], 0
	v_fma_f64 v[20:21], v[20:21], v[22:23], v[36:37]
	v_fma_f64 v[36:37], v[14:15], v[10:11], -v[12:13]
	v_fma_f64 v[32:33], v[32:33], v[26:27], v[34:35]
	v_fma_f64 v[18:19], v[18:19], v[22:23], -v[24:25]
	v_add_f64 v[40:41], v[4:5], v[16:17]
	ds_load_b128 v[2:5], v44 offset:4160
	ds_load_b128 v[6:9], v0 offset:1024
	ds_load_b128 v[10:13], v0 offset:1280
	ds_load_b128 v[14:17], v44 offset:4176
	s_waitcnt lgkmcnt(2)
	v_mul_f64 v[42:43], v[2:3], v[8:9]
	v_add_f64 v[22:23], v[38:39], v[36:37]
	s_waitcnt lgkmcnt(0)
	v_mul_f64 v[34:35], v[14:15], v[12:13]
	v_mul_f64 v[8:9], v[4:5], v[8:9]
	v_fma_f64 v[36:37], v[30:31], v[26:27], -v[28:29]
	v_mul_f64 v[12:13], v[16:17], v[12:13]
	v_add_f64 v[20:21], v[40:41], v[20:21]
	v_fma_f64 v[4:5], v[4:5], v[6:7], v[42:43]
	v_add_f64 v[38:39], v[22:23], v[18:19]
	v_fma_f64 v[16:17], v[16:17], v[10:11], v[34:35]
	v_fma_f64 v[2:3], v[2:3], v[6:7], -v[8:9]
	v_add_f64 v[40:41], v[20:21], v[32:33]
	ds_load_b128 v[18:21], v44 offset:4192
	ds_load_b128 v[22:25], v0 offset:1536
	ds_load_b128 v[26:29], v0 offset:1792
	ds_load_b128 v[30:33], v44 offset:4208
	s_waitcnt lgkmcnt(2)
	v_mul_f64 v[42:43], v[18:19], v[24:25]
	v_add_f64 v[6:7], v[38:39], v[36:37]
	s_waitcnt lgkmcnt(0)
	v_mul_f64 v[34:35], v[30:31], v[28:29]
	v_mul_f64 v[24:25], v[20:21], v[24:25]
	v_fma_f64 v[36:37], v[14:15], v[10:11], -v[12:13]
	v_mul_f64 v[28:29], v[32:33], v[28:29]
	v_add_f64 v[4:5], v[40:41], v[4:5]
	v_fma_f64 v[20:21], v[20:21], v[22:23], v[42:43]
	v_add_f64 v[38:39], v[6:7], v[2:3]
	v_fma_f64 v[32:33], v[32:33], v[26:27], v[34:35]
	v_fma_f64 v[18:19], v[18:19], v[22:23], -v[24:25]
	v_add_f64 v[40:41], v[4:5], v[16:17]
	ds_load_b128 v[2:5], v44 offset:4224
	ds_load_b128 v[6:9], v0 offset:2048
	ds_load_b128 v[10:13], v0 offset:2304
	ds_load_b128 v[14:17], v44 offset:4240
	s_waitcnt lgkmcnt(2)
	v_mul_f64 v[42:43], v[2:3], v[8:9]
	v_add_f64 v[22:23], v[38:39], v[36:37]
	s_waitcnt lgkmcnt(0)
	v_mul_f64 v[34:35], v[14:15], v[12:13]
	v_mul_f64 v[8:9], v[4:5], v[8:9]
	v_fma_f64 v[36:37], v[30:31], v[26:27], -v[28:29]
	v_mul_f64 v[12:13], v[16:17], v[12:13]
	v_add_f64 v[20:21], v[40:41], v[20:21]
	v_fma_f64 v[4:5], v[4:5], v[6:7], v[42:43]
	v_add_f64 v[38:39], v[22:23], v[18:19]
	v_fma_f64 v[16:17], v[16:17], v[10:11], v[34:35]
	v_fma_f64 v[2:3], v[2:3], v[6:7], -v[8:9]
	v_add_f64 v[40:41], v[20:21], v[32:33]
	ds_load_b128 v[18:21], v44 offset:4256
	ds_load_b128 v[22:25], v0 offset:2560
	ds_load_b128 v[26:29], v0 offset:2816
	ds_load_b128 v[30:33], v44 offset:4272
	s_waitcnt lgkmcnt(2)
	v_mul_f64 v[42:43], v[18:19], v[24:25]
	v_add_f64 v[6:7], v[38:39], v[36:37]
	s_waitcnt lgkmcnt(0)
	v_mul_f64 v[34:35], v[30:31], v[28:29]
	v_mul_f64 v[24:25], v[20:21], v[24:25]
	v_fma_f64 v[36:37], v[14:15], v[10:11], -v[12:13]
	v_mul_f64 v[28:29], v[32:33], v[28:29]
	v_add_f64 v[4:5], v[40:41], v[4:5]
	v_fma_f64 v[20:21], v[20:21], v[22:23], v[42:43]
	v_add_f64 v[38:39], v[6:7], v[2:3]
	v_fma_f64 v[32:33], v[32:33], v[26:27], v[34:35]
	v_fma_f64 v[18:19], v[18:19], v[22:23], -v[24:25]
	v_add_f64 v[40:41], v[4:5], v[16:17]
	ds_load_b128 v[2:5], v44 offset:4288
	ds_load_b128 v[6:9], v0 offset:3072
	ds_load_b128 v[10:13], v0 offset:3328
	ds_load_b128 v[14:17], v44 offset:4304
	s_waitcnt lgkmcnt(2)
	v_mul_f64 v[42:43], v[2:3], v[8:9]
	v_add_f64 v[22:23], v[38:39], v[36:37]
	s_waitcnt lgkmcnt(0)
	v_mul_f64 v[34:35], v[14:15], v[12:13]
	v_mul_f64 v[8:9], v[4:5], v[8:9]
	v_fma_f64 v[36:37], v[30:31], v[26:27], -v[28:29]
	v_mul_f64 v[12:13], v[16:17], v[12:13]
	v_add_f64 v[20:21], v[40:41], v[20:21]
	v_fma_f64 v[4:5], v[4:5], v[6:7], v[42:43]
	v_add_f64 v[38:39], v[22:23], v[18:19]
	v_fma_f64 v[16:17], v[16:17], v[10:11], v[34:35]
	v_fma_f64 v[2:3], v[2:3], v[6:7], -v[8:9]
	v_fma_f64 v[10:11], v[14:15], v[10:11], -v[12:13]
	v_add_f64 v[40:41], v[20:21], v[32:33]
	ds_load_b128 v[18:21], v44 offset:4320
	ds_load_b128 v[22:25], v0 offset:3584
	;; [unrolled: 1-line block ×4, first 2 shown]
	s_waitcnt lgkmcnt(2)
	v_mul_f64 v[42:43], v[18:19], v[24:25]
	v_add_f64 v[6:7], v[38:39], v[36:37]
	s_waitcnt lgkmcnt(0)
	v_mul_f64 v[8:9], v[30:31], v[28:29]
	v_mul_f64 v[24:25], v[20:21], v[24:25]
	v_add_f64 v[4:5], v[40:41], v[4:5]
	v_fma_f64 v[20:21], v[20:21], v[22:23], v[42:43]
	v_add_f64 v[2:3], v[6:7], v[2:3]
	v_mul_f64 v[6:7], v[32:33], v[28:29]
	v_fma_f64 v[8:9], v[32:33], v[26:27], v[8:9]
	v_fma_f64 v[12:13], v[18:19], v[22:23], -v[24:25]
	v_add_f64 v[4:5], v[4:5], v[16:17]
	v_add_f64 v[2:3], v[2:3], v[10:11]
	v_fma_f64 v[6:7], v[30:31], v[26:27], -v[6:7]
	v_mad_u64_u32 v[10:11], null, v1, s30, 0
	s_delay_alu instid0(VALU_DEP_4) | instskip(NEXT) | instid1(VALU_DEP_4)
	v_add_f64 v[4:5], v[4:5], v[20:21]
	v_add_f64 v[2:3], v[2:3], v[12:13]
	s_delay_alu instid0(VALU_DEP_2) | instskip(NEXT) | instid1(VALU_DEP_2)
	v_add_f64 v[4:5], v[4:5], v[8:9]
	v_add_f64 v[2:3], v[2:3], v[6:7]
	s_delay_alu instid0(VALU_DEP_2) | instskip(SKIP_1) | instid1(VALU_DEP_2)
	v_mul_f64 v[6:7], s[4:5], v[4:5]
	v_mul_f64 v[8:9], s[6:7], v[4:5]
	v_fma_f64 v[4:5], s[6:7], v[2:3], v[6:7]
	s_delay_alu instid0(VALU_DEP_2) | instskip(SKIP_4) | instid1(VALU_DEP_1)
	v_fma_f64 v[2:3], s[4:5], v[2:3], -v[8:9]
	v_mov_b32_e32 v6, v11
	s_mul_hi_u32 s4, s3, s30
	s_addc_u32 s5, s13, s1
	s_add_i32 s0, s4, s0
	v_mad_u64_u32 v[7:8], null, v1, s31, v[6:7]
	s_add_i32 s1, s0, s10
	s_mul_i32 s0, s3, s30
	s_delay_alu instid0(SALU_CYCLE_1) | instskip(NEXT) | instid1(SALU_CYCLE_1)
	s_lshl_b64 s[0:1], s[0:1], 4
	s_add_u32 s0, s2, s0
	s_delay_alu instid0(VALU_DEP_1) | instskip(SKIP_1) | instid1(VALU_DEP_1)
	v_mov_b32_e32 v11, v7
	s_addc_u32 s1, s5, s1
	v_lshlrev_b64 v[6:7], 4, v[10:11]
	s_delay_alu instid0(VALU_DEP_1) | instskip(NEXT) | instid1(VALU_DEP_2)
	v_add_co_u32 v1, vcc_lo, s0, v6
	v_add_co_ci_u32_e32 v6, vcc_lo, s1, v7, vcc_lo
	s_delay_alu instid0(VALU_DEP_2) | instskip(NEXT) | instid1(VALU_DEP_2)
	v_add_co_u32 v0, vcc_lo, v1, v0
	v_add_co_ci_u32_e32 v1, vcc_lo, 0, v6, vcc_lo
	global_store_b128 v[0:1], v[2:5], off
.LBB183_15:
	s_nop 0
	s_sendmsg sendmsg(MSG_DEALLOC_VGPRS)
	s_endpgm
	.section	.rodata,"a",@progbits
	.p2align	6, 0x0
	.amdhsa_kernel _ZL23rocblas_trmm_lTx_kernelILi16ELb0E19rocblas_complex_numIdES1_KPKS1_KPS1_Ev13rocblas_fill_17rocblas_diagonal_iiT2_lPT3_llSB_llPT4_lli
		.amdhsa_group_segment_fixed_size 8192
		.amdhsa_private_segment_fixed_size 0
		.amdhsa_kernarg_size 116
		.amdhsa_user_sgpr_count 14
		.amdhsa_user_sgpr_dispatch_ptr 0
		.amdhsa_user_sgpr_queue_ptr 0
		.amdhsa_user_sgpr_kernarg_segment_ptr 1
		.amdhsa_user_sgpr_dispatch_id 0
		.amdhsa_user_sgpr_private_segment_size 0
		.amdhsa_wavefront_size32 1
		.amdhsa_uses_dynamic_stack 0
		.amdhsa_enable_private_segment 0
		.amdhsa_system_sgpr_workgroup_id_x 1
		.amdhsa_system_sgpr_workgroup_id_y 0
		.amdhsa_system_sgpr_workgroup_id_z 1
		.amdhsa_system_sgpr_workgroup_info 0
		.amdhsa_system_vgpr_workitem_id 1
		.amdhsa_next_free_vgpr 45
		.amdhsa_next_free_sgpr 40
		.amdhsa_reserve_vcc 1
		.amdhsa_float_round_mode_32 0
		.amdhsa_float_round_mode_16_64 0
		.amdhsa_float_denorm_mode_32 3
		.amdhsa_float_denorm_mode_16_64 3
		.amdhsa_dx10_clamp 1
		.amdhsa_ieee_mode 1
		.amdhsa_fp16_overflow 0
		.amdhsa_workgroup_processor_mode 1
		.amdhsa_memory_ordered 1
		.amdhsa_forward_progress 0
		.amdhsa_shared_vgpr_count 0
		.amdhsa_exception_fp_ieee_invalid_op 0
		.amdhsa_exception_fp_denorm_src 0
		.amdhsa_exception_fp_ieee_div_zero 0
		.amdhsa_exception_fp_ieee_overflow 0
		.amdhsa_exception_fp_ieee_underflow 0
		.amdhsa_exception_fp_ieee_inexact 0
		.amdhsa_exception_int_div_zero 0
	.end_amdhsa_kernel
	.section	.text._ZL23rocblas_trmm_lTx_kernelILi16ELb0E19rocblas_complex_numIdES1_KPKS1_KPS1_Ev13rocblas_fill_17rocblas_diagonal_iiT2_lPT3_llSB_llPT4_lli,"axG",@progbits,_ZL23rocblas_trmm_lTx_kernelILi16ELb0E19rocblas_complex_numIdES1_KPKS1_KPS1_Ev13rocblas_fill_17rocblas_diagonal_iiT2_lPT3_llSB_llPT4_lli,comdat
.Lfunc_end183:
	.size	_ZL23rocblas_trmm_lTx_kernelILi16ELb0E19rocblas_complex_numIdES1_KPKS1_KPS1_Ev13rocblas_fill_17rocblas_diagonal_iiT2_lPT3_llSB_llPT4_lli, .Lfunc_end183-_ZL23rocblas_trmm_lTx_kernelILi16ELb0E19rocblas_complex_numIdES1_KPKS1_KPS1_Ev13rocblas_fill_17rocblas_diagonal_iiT2_lPT3_llSB_llPT4_lli
                                        ; -- End function
	.section	.AMDGPU.csdata,"",@progbits
; Kernel info:
; codeLenInByte = 2080
; NumSgprs: 42
; NumVgprs: 45
; ScratchSize: 0
; MemoryBound: 0
; FloatMode: 240
; IeeeMode: 1
; LDSByteSize: 8192 bytes/workgroup (compile time only)
; SGPRBlocks: 5
; VGPRBlocks: 5
; NumSGPRsForWavesPerEU: 42
; NumVGPRsForWavesPerEU: 45
; Occupancy: 16
; WaveLimiterHint : 1
; COMPUTE_PGM_RSRC2:SCRATCH_EN: 0
; COMPUTE_PGM_RSRC2:USER_SGPR: 14
; COMPUTE_PGM_RSRC2:TRAP_HANDLER: 0
; COMPUTE_PGM_RSRC2:TGID_X_EN: 1
; COMPUTE_PGM_RSRC2:TGID_Y_EN: 0
; COMPUTE_PGM_RSRC2:TGID_Z_EN: 1
; COMPUTE_PGM_RSRC2:TIDIG_COMP_CNT: 1
	.section	.text._ZL23rocblas_trmm_lTx_kernelILi16ELb1E19rocblas_complex_numIdEPKS1_KS3_KPS1_Ev13rocblas_fill_17rocblas_diagonal_iiT2_lPT3_llSB_llPT4_lli,"axG",@progbits,_ZL23rocblas_trmm_lTx_kernelILi16ELb1E19rocblas_complex_numIdEPKS1_KS3_KPS1_Ev13rocblas_fill_17rocblas_diagonal_iiT2_lPT3_llSB_llPT4_lli,comdat
	.globl	_ZL23rocblas_trmm_lTx_kernelILi16ELb1E19rocblas_complex_numIdEPKS1_KS3_KPS1_Ev13rocblas_fill_17rocblas_diagonal_iiT2_lPT3_llSB_llPT4_lli ; -- Begin function _ZL23rocblas_trmm_lTx_kernelILi16ELb1E19rocblas_complex_numIdEPKS1_KS3_KPS1_Ev13rocblas_fill_17rocblas_diagonal_iiT2_lPT3_llSB_llPT4_lli
	.p2align	8
	.type	_ZL23rocblas_trmm_lTx_kernelILi16ELb1E19rocblas_complex_numIdEPKS1_KS3_KPS1_Ev13rocblas_fill_17rocblas_diagonal_iiT2_lPT3_llSB_llPT4_lli,@function
_ZL23rocblas_trmm_lTx_kernelILi16ELb1E19rocblas_complex_numIdEPKS1_KS3_KPS1_Ev13rocblas_fill_17rocblas_diagonal_iiT2_lPT3_llSB_llPT4_lli: ; @_ZL23rocblas_trmm_lTx_kernelILi16ELb1E19rocblas_complex_numIdEPKS1_KS3_KPS1_Ev13rocblas_fill_17rocblas_diagonal_iiT2_lPT3_llSB_llPT4_lli
; %bb.0:
	s_load_b512 s[16:31], s[0:1], 0x10
	s_waitcnt lgkmcnt(0)
	s_mul_i32 s3, s15, s19
	s_mul_hi_u32 s4, s15, s18
	s_mul_i32 s2, s15, s18
	s_add_i32 s3, s4, s3
	s_delay_alu instid0(SALU_CYCLE_1) | instskip(NEXT) | instid1(SALU_CYCLE_1)
	s_lshl_b64 s[2:3], s[2:3], 4
	s_add_u32 s2, s16, s2
	s_addc_u32 s3, s17, s3
	s_load_b128 s[4:7], s[2:3], 0x0
	s_waitcnt lgkmcnt(0)
	v_cmp_neq_f64_e64 s2, s[4:5], 0
	v_cmp_neq_f64_e64 s3, s[6:7], 0
	s_delay_alu instid0(VALU_DEP_1) | instskip(NEXT) | instid1(SALU_CYCLE_1)
	s_or_b32 s2, s2, s3
	s_and_not1_b32 vcc_lo, exec_lo, s2
	s_cbranch_vccnz .LBB184_15
; %bb.1:
	s_clause 0x1
	s_load_b128 s[8:11], s[0:1], 0x50
	s_load_b128 s[16:19], s[0:1], 0x0
	s_mov_b32 s36, s15
	s_mov_b32 s37, 0
	v_bfe_u32 v1, v0, 10, 10
	s_lshl_b64 s[2:3], s[36:37], 3
	s_mov_b32 s36, s37
	s_add_u32 s12, s20, s2
	s_addc_u32 s13, s21, s3
	s_mov_b32 s38, s37
	s_load_b64 s[20:21], s[12:13], 0x0
	s_add_u32 s12, s26, s2
	s_addc_u32 s13, s27, s3
	s_mov_b32 s39, s37
	v_dual_mov_b32 v5, s36 :: v_dual_and_b32 v4, 0x3ff, v0
	v_dual_mov_b32 v7, s38 :: v_dual_lshlrev_b32 v2, 4, v1
	v_mov_b32_e32 v6, s37
	v_mov_b32_e32 v8, s39
	s_waitcnt lgkmcnt(0)
	s_add_u32 s2, s8, s2
	s_addc_u32 s3, s9, s3
	s_load_b64 s[12:13], s[12:13], 0x0
	s_load_b64 s[8:9], s[2:3], 0x0
	v_cmp_gt_i32_e64 s2, s18, v1
	v_cmp_gt_i32_e32 vcc_lo, s18, v4
	v_add_lshl_u32 v3, v2, v4, 4
	v_lshlrev_b32_e32 v0, 4, v4
	ds_store_b128 v3, v[5:8]
	ds_store_b128 v3, v[5:8] offset:4096
	s_and_b32 s2, s2, vcc_lo
	s_waitcnt lgkmcnt(0)
	s_barrier
	buffer_gl0_inv
	s_and_saveexec_b32 s3, s2
	s_cbranch_execz .LBB184_3
; %bb.2:
	v_mad_u64_u32 v[5:6], null, v1, s22, 0
	v_add_lshl_u32 v9, v0, v1, 4
	s_delay_alu instid0(VALU_DEP_2) | instskip(SKIP_1) | instid1(SALU_CYCLE_1)
	v_mad_u64_u32 v[7:8], null, v1, s23, v[6:7]
	s_lshl_b64 s[22:23], s[24:25], 4
	s_add_u32 s2, s20, s22
	s_addc_u32 s15, s21, s23
	s_delay_alu instid0(VALU_DEP_1) | instskip(NEXT) | instid1(VALU_DEP_1)
	v_mov_b32_e32 v6, v7
	v_lshlrev_b64 v[5:6], 4, v[5:6]
	s_delay_alu instid0(VALU_DEP_1) | instskip(NEXT) | instid1(VALU_DEP_1)
	v_add_co_u32 v5, s2, s2, v5
	v_add_co_ci_u32_e64 v6, s2, s15, v6, s2
	s_delay_alu instid0(VALU_DEP_2) | instskip(NEXT) | instid1(VALU_DEP_1)
	v_add_co_u32 v5, s2, v5, v0
	v_add_co_ci_u32_e64 v6, s2, 0, v6, s2
	global_load_b128 v[5:8], v[5:6], off
	s_waitcnt vmcnt(0)
	v_xor_b32_e32 v8, 0x80000000, v8
	ds_store_b128 v9, v[5:8]
.LBB184_3:
	s_or_b32 exec_lo, exec_lo, s3
	s_add_i32 s2, s19, -1
	s_delay_alu instid0(SALU_CYCLE_1) | instskip(NEXT) | instid1(SALU_CYCLE_1)
	s_ashr_i32 s3, s2, 31
	s_lshr_b32 s3, s3, 28
	s_delay_alu instid0(SALU_CYCLE_1) | instskip(NEXT) | instid1(SALU_CYCLE_1)
	s_add_i32 s2, s2, s3
	s_and_b32 s3, s2, -16
	s_ashr_i32 s2, s2, 4
	s_sub_i32 s3, s19, s3
	s_cmp_ge_i32 s14, s2
	s_cselect_b32 s2, s3, 16
	s_lshl_b32 s3, s14, 4
	v_cmp_gt_i32_e64 s2, s2, v1
	s_ashr_i32 s14, s3, 31
	s_delay_alu instid0(VALU_DEP_1) | instskip(NEXT) | instid1(SALU_CYCLE_1)
	s_and_b32 s2, vcc_lo, s2
	s_and_saveexec_b32 s15, s2
	s_cbranch_execz .LBB184_5
; %bb.4:
	v_mad_u64_u32 v[5:6], null, v1, s28, 0
	s_lshl_b64 s[18:19], s[30:31], 4
	s_mul_i32 s20, s3, s29
	s_mul_hi_u32 s21, s3, s28
	s_add_u32 s18, s12, s18
	s_mul_i32 s22, s14, s28
	s_addc_u32 s19, s13, s19
	s_delay_alu instid0(VALU_DEP_1)
	v_mad_u64_u32 v[7:8], null, v1, s29, v[6:7]
	s_add_i32 s13, s21, s20
	s_mul_i32 s12, s3, s28
	s_add_i32 s13, s13, s22
	v_add_nc_u32_e32 v9, 0x1000, v3
	s_lshl_b64 s[12:13], s[12:13], 4
	s_delay_alu instid0(VALU_DEP_2) | instskip(SKIP_2) | instid1(VALU_DEP_1)
	v_mov_b32_e32 v6, v7
	s_add_u32 s12, s18, s12
	s_addc_u32 s13, s19, s13
	v_lshlrev_b64 v[5:6], 4, v[5:6]
	s_delay_alu instid0(VALU_DEP_1) | instskip(NEXT) | instid1(VALU_DEP_2)
	v_add_co_u32 v5, vcc_lo, s12, v5
	v_add_co_ci_u32_e32 v6, vcc_lo, s13, v6, vcc_lo
	s_delay_alu instid0(VALU_DEP_2) | instskip(NEXT) | instid1(VALU_DEP_2)
	v_add_co_u32 v5, vcc_lo, v5, v0
	v_add_co_ci_u32_e32 v6, vcc_lo, 0, v6, vcc_lo
	global_load_b128 v[5:8], v[5:6], off
	s_waitcnt vmcnt(0)
	ds_store_2addr_b64 v9, v[5:6], v[7:8] offset1:1
.LBB184_5:
	s_or_b32 exec_lo, exec_lo, s15
	v_cmp_eq_u32_e32 vcc_lo, v1, v4
	s_cmpk_eq_i32 s17, 0x84
	s_cselect_b32 s12, -1, 0
	s_delay_alu instid0(SALU_CYCLE_1) | instskip(NEXT) | instid1(SALU_CYCLE_1)
	s_and_b32 s13, vcc_lo, s12
	s_and_saveexec_b32 s12, s13
	s_cbranch_execz .LBB184_7
; %bb.6:
	v_dual_mov_b32 v5, 0 :: v_dual_mov_b32 v6, 0x3ff00000
	s_delay_alu instid0(VALU_DEP_1)
	v_mov_b32_e32 v7, v5
	v_mov_b32_e32 v8, v5
	ds_store_b128 v3, v[5:8]
.LBB184_7:
	s_or_b32 exec_lo, exec_lo, s12
	s_cmpk_lg_i32 s16, 0x7a
	s_waitcnt lgkmcnt(0)
	s_barrier
	buffer_gl0_inv
	s_cbranch_scc0 .LBB184_9
; %bb.8:
	v_cmp_lt_u32_e32 vcc_lo, v4, v1
	s_and_b32 s12, vcc_lo, exec_lo
	s_cbranch_execz .LBB184_10
	s_branch .LBB184_11
.LBB184_9:
	s_mov_b32 s12, 0
.LBB184_10:
	v_cmp_gt_u32_e32 vcc_lo, v4, v1
	s_and_not1_b32 s12, s12, exec_lo
	s_and_b32 s13, vcc_lo, exec_lo
	s_delay_alu instid0(SALU_CYCLE_1)
	s_or_b32 s12, s12, s13
.LBB184_11:
	s_delay_alu instid0(SALU_CYCLE_1)
	s_and_saveexec_b32 s13, s12
	s_cbranch_execz .LBB184_13
; %bb.12:
	v_mov_b32_e32 v4, 0
	s_delay_alu instid0(VALU_DEP_1)
	v_mov_b32_e32 v5, v4
	v_mov_b32_e32 v6, v4
	;; [unrolled: 1-line block ×3, first 2 shown]
	ds_store_b128 v3, v[4:7]
.LBB184_13:
	s_or_b32 exec_lo, exec_lo, s13
	s_waitcnt lgkmcnt(0)
	s_barrier
	buffer_gl0_inv
	s_and_saveexec_b32 s12, s2
	s_cbranch_execz .LBB184_15
; %bb.14:
	v_lshlrev_b32_e32 v44, 4, v2
	s_load_b64 s[0:1], s[0:1], 0x60
	s_mul_i32 s14, s14, s10
	ds_load_b128 v[2:5], v44 offset:4096
	ds_load_b128 v[6:9], v0
	ds_load_b128 v[10:13], v0 offset:256
	ds_load_b128 v[14:17], v44 offset:4112
	s_waitcnt lgkmcnt(0)
	s_lshl_b64 s[0:1], s[0:1], 4
	s_delay_alu instid0(SALU_CYCLE_1)
	s_add_u32 s2, s8, s0
	v_mul_f64 v[18:19], v[2:3], v[8:9]
	v_mul_f64 v[34:35], v[14:15], v[12:13]
	;; [unrolled: 1-line block ×4, first 2 shown]
	s_mul_i32 s0, s3, s11
	s_delay_alu instid0(VALU_DEP_4)
	v_fma_f64 v[4:5], v[4:5], v[6:7], v[18:19]
	ds_load_b128 v[18:21], v44 offset:4128
	ds_load_b128 v[22:25], v0 offset:512
	;; [unrolled: 1-line block ×4, first 2 shown]
	v_fma_f64 v[16:17], v[16:17], v[10:11], v[34:35]
	v_fma_f64 v[2:3], v[2:3], v[6:7], -v[8:9]
	s_waitcnt lgkmcnt(2)
	v_mul_f64 v[36:37], v[18:19], v[24:25]
	v_mul_f64 v[24:25], v[20:21], v[24:25]
	s_waitcnt lgkmcnt(0)
	v_mul_f64 v[34:35], v[30:31], v[28:29]
	v_mul_f64 v[28:29], v[32:33], v[28:29]
	v_add_f64 v[4:5], v[4:5], 0
	v_add_f64 v[38:39], v[2:3], 0
	v_fma_f64 v[20:21], v[20:21], v[22:23], v[36:37]
	v_fma_f64 v[36:37], v[14:15], v[10:11], -v[12:13]
	v_fma_f64 v[32:33], v[32:33], v[26:27], v[34:35]
	v_fma_f64 v[18:19], v[18:19], v[22:23], -v[24:25]
	v_add_f64 v[40:41], v[4:5], v[16:17]
	ds_load_b128 v[2:5], v44 offset:4160
	ds_load_b128 v[6:9], v0 offset:1024
	ds_load_b128 v[10:13], v0 offset:1280
	ds_load_b128 v[14:17], v44 offset:4176
	s_waitcnt lgkmcnt(2)
	v_mul_f64 v[42:43], v[2:3], v[8:9]
	v_add_f64 v[22:23], v[38:39], v[36:37]
	s_waitcnt lgkmcnt(0)
	v_mul_f64 v[34:35], v[14:15], v[12:13]
	v_mul_f64 v[8:9], v[4:5], v[8:9]
	v_fma_f64 v[36:37], v[30:31], v[26:27], -v[28:29]
	v_mul_f64 v[12:13], v[16:17], v[12:13]
	v_add_f64 v[20:21], v[40:41], v[20:21]
	v_fma_f64 v[4:5], v[4:5], v[6:7], v[42:43]
	v_add_f64 v[38:39], v[22:23], v[18:19]
	v_fma_f64 v[16:17], v[16:17], v[10:11], v[34:35]
	v_fma_f64 v[2:3], v[2:3], v[6:7], -v[8:9]
	v_add_f64 v[40:41], v[20:21], v[32:33]
	ds_load_b128 v[18:21], v44 offset:4192
	ds_load_b128 v[22:25], v0 offset:1536
	ds_load_b128 v[26:29], v0 offset:1792
	ds_load_b128 v[30:33], v44 offset:4208
	s_waitcnt lgkmcnt(2)
	v_mul_f64 v[42:43], v[18:19], v[24:25]
	v_add_f64 v[6:7], v[38:39], v[36:37]
	s_waitcnt lgkmcnt(0)
	v_mul_f64 v[34:35], v[30:31], v[28:29]
	v_mul_f64 v[24:25], v[20:21], v[24:25]
	v_fma_f64 v[36:37], v[14:15], v[10:11], -v[12:13]
	v_mul_f64 v[28:29], v[32:33], v[28:29]
	v_add_f64 v[4:5], v[40:41], v[4:5]
	v_fma_f64 v[20:21], v[20:21], v[22:23], v[42:43]
	v_add_f64 v[38:39], v[6:7], v[2:3]
	;; [unrolled: 18-line block ×5, first 2 shown]
	v_fma_f64 v[16:17], v[16:17], v[10:11], v[34:35]
	v_fma_f64 v[2:3], v[2:3], v[6:7], -v[8:9]
	v_fma_f64 v[10:11], v[14:15], v[10:11], -v[12:13]
	v_add_f64 v[40:41], v[20:21], v[32:33]
	ds_load_b128 v[18:21], v44 offset:4320
	ds_load_b128 v[22:25], v0 offset:3584
	;; [unrolled: 1-line block ×4, first 2 shown]
	s_waitcnt lgkmcnt(2)
	v_mul_f64 v[42:43], v[18:19], v[24:25]
	v_add_f64 v[6:7], v[38:39], v[36:37]
	s_waitcnt lgkmcnt(0)
	v_mul_f64 v[8:9], v[30:31], v[28:29]
	v_mul_f64 v[24:25], v[20:21], v[24:25]
	v_add_f64 v[4:5], v[40:41], v[4:5]
	v_fma_f64 v[20:21], v[20:21], v[22:23], v[42:43]
	v_add_f64 v[2:3], v[6:7], v[2:3]
	v_mul_f64 v[6:7], v[32:33], v[28:29]
	v_fma_f64 v[8:9], v[32:33], v[26:27], v[8:9]
	v_fma_f64 v[12:13], v[18:19], v[22:23], -v[24:25]
	v_add_f64 v[4:5], v[4:5], v[16:17]
	v_add_f64 v[2:3], v[2:3], v[10:11]
	v_fma_f64 v[6:7], v[30:31], v[26:27], -v[6:7]
	v_mad_u64_u32 v[10:11], null, v1, s10, 0
	s_delay_alu instid0(VALU_DEP_4) | instskip(NEXT) | instid1(VALU_DEP_4)
	v_add_f64 v[4:5], v[4:5], v[20:21]
	v_add_f64 v[2:3], v[2:3], v[12:13]
	s_delay_alu instid0(VALU_DEP_2) | instskip(NEXT) | instid1(VALU_DEP_2)
	v_add_f64 v[4:5], v[4:5], v[8:9]
	v_add_f64 v[2:3], v[2:3], v[6:7]
	s_delay_alu instid0(VALU_DEP_2) | instskip(SKIP_1) | instid1(VALU_DEP_2)
	v_mul_f64 v[6:7], s[4:5], v[4:5]
	v_mul_f64 v[8:9], s[6:7], v[4:5]
	v_fma_f64 v[4:5], s[6:7], v[2:3], v[6:7]
	s_delay_alu instid0(VALU_DEP_2) | instskip(SKIP_4) | instid1(VALU_DEP_1)
	v_fma_f64 v[2:3], s[4:5], v[2:3], -v[8:9]
	v_mov_b32_e32 v6, v11
	s_mul_hi_u32 s4, s3, s10
	s_addc_u32 s5, s9, s1
	s_add_i32 s0, s4, s0
	v_mad_u64_u32 v[7:8], null, v1, s11, v[6:7]
	s_add_i32 s1, s0, s14
	s_mul_i32 s0, s3, s10
	s_delay_alu instid0(SALU_CYCLE_1) | instskip(NEXT) | instid1(SALU_CYCLE_1)
	s_lshl_b64 s[0:1], s[0:1], 4
	s_add_u32 s0, s2, s0
	s_delay_alu instid0(VALU_DEP_1) | instskip(SKIP_1) | instid1(VALU_DEP_1)
	v_mov_b32_e32 v11, v7
	s_addc_u32 s1, s5, s1
	v_lshlrev_b64 v[6:7], 4, v[10:11]
	s_delay_alu instid0(VALU_DEP_1) | instskip(NEXT) | instid1(VALU_DEP_2)
	v_add_co_u32 v1, vcc_lo, s0, v6
	v_add_co_ci_u32_e32 v6, vcc_lo, s1, v7, vcc_lo
	s_delay_alu instid0(VALU_DEP_2) | instskip(NEXT) | instid1(VALU_DEP_2)
	v_add_co_u32 v0, vcc_lo, v1, v0
	v_add_co_ci_u32_e32 v1, vcc_lo, 0, v6, vcc_lo
	global_store_b128 v[0:1], v[2:5], off
.LBB184_15:
	s_nop 0
	s_sendmsg sendmsg(MSG_DEALLOC_VGPRS)
	s_endpgm
	.section	.rodata,"a",@progbits
	.p2align	6, 0x0
	.amdhsa_kernel _ZL23rocblas_trmm_lTx_kernelILi16ELb1E19rocblas_complex_numIdEPKS1_KS3_KPS1_Ev13rocblas_fill_17rocblas_diagonal_iiT2_lPT3_llSB_llPT4_lli
		.amdhsa_group_segment_fixed_size 8192
		.amdhsa_private_segment_fixed_size 0
		.amdhsa_kernarg_size 108
		.amdhsa_user_sgpr_count 14
		.amdhsa_user_sgpr_dispatch_ptr 0
		.amdhsa_user_sgpr_queue_ptr 0
		.amdhsa_user_sgpr_kernarg_segment_ptr 1
		.amdhsa_user_sgpr_dispatch_id 0
		.amdhsa_user_sgpr_private_segment_size 0
		.amdhsa_wavefront_size32 1
		.amdhsa_uses_dynamic_stack 0
		.amdhsa_enable_private_segment 0
		.amdhsa_system_sgpr_workgroup_id_x 1
		.amdhsa_system_sgpr_workgroup_id_y 0
		.amdhsa_system_sgpr_workgroup_id_z 1
		.amdhsa_system_sgpr_workgroup_info 0
		.amdhsa_system_vgpr_workitem_id 1
		.amdhsa_next_free_vgpr 45
		.amdhsa_next_free_sgpr 40
		.amdhsa_reserve_vcc 1
		.amdhsa_float_round_mode_32 0
		.amdhsa_float_round_mode_16_64 0
		.amdhsa_float_denorm_mode_32 3
		.amdhsa_float_denorm_mode_16_64 3
		.amdhsa_dx10_clamp 1
		.amdhsa_ieee_mode 1
		.amdhsa_fp16_overflow 0
		.amdhsa_workgroup_processor_mode 1
		.amdhsa_memory_ordered 1
		.amdhsa_forward_progress 0
		.amdhsa_shared_vgpr_count 0
		.amdhsa_exception_fp_ieee_invalid_op 0
		.amdhsa_exception_fp_denorm_src 0
		.amdhsa_exception_fp_ieee_div_zero 0
		.amdhsa_exception_fp_ieee_overflow 0
		.amdhsa_exception_fp_ieee_underflow 0
		.amdhsa_exception_fp_ieee_inexact 0
		.amdhsa_exception_int_div_zero 0
	.end_amdhsa_kernel
	.section	.text._ZL23rocblas_trmm_lTx_kernelILi16ELb1E19rocblas_complex_numIdEPKS1_KS3_KPS1_Ev13rocblas_fill_17rocblas_diagonal_iiT2_lPT3_llSB_llPT4_lli,"axG",@progbits,_ZL23rocblas_trmm_lTx_kernelILi16ELb1E19rocblas_complex_numIdEPKS1_KS3_KPS1_Ev13rocblas_fill_17rocblas_diagonal_iiT2_lPT3_llSB_llPT4_lli,comdat
.Lfunc_end184:
	.size	_ZL23rocblas_trmm_lTx_kernelILi16ELb1E19rocblas_complex_numIdEPKS1_KS3_KPS1_Ev13rocblas_fill_17rocblas_diagonal_iiT2_lPT3_llSB_llPT4_lli, .Lfunc_end184-_ZL23rocblas_trmm_lTx_kernelILi16ELb1E19rocblas_complex_numIdEPKS1_KS3_KPS1_Ev13rocblas_fill_17rocblas_diagonal_iiT2_lPT3_llSB_llPT4_lli
                                        ; -- End function
	.section	.AMDGPU.csdata,"",@progbits
; Kernel info:
; codeLenInByte = 2128
; NumSgprs: 42
; NumVgprs: 45
; ScratchSize: 0
; MemoryBound: 0
; FloatMode: 240
; IeeeMode: 1
; LDSByteSize: 8192 bytes/workgroup (compile time only)
; SGPRBlocks: 5
; VGPRBlocks: 5
; NumSGPRsForWavesPerEU: 42
; NumVGPRsForWavesPerEU: 45
; Occupancy: 16
; WaveLimiterHint : 1
; COMPUTE_PGM_RSRC2:SCRATCH_EN: 0
; COMPUTE_PGM_RSRC2:USER_SGPR: 14
; COMPUTE_PGM_RSRC2:TRAP_HANDLER: 0
; COMPUTE_PGM_RSRC2:TGID_X_EN: 1
; COMPUTE_PGM_RSRC2:TGID_Y_EN: 0
; COMPUTE_PGM_RSRC2:TGID_Z_EN: 1
; COMPUTE_PGM_RSRC2:TIDIG_COMP_CNT: 1
	.section	.text._ZL23rocblas_trmm_lTx_kernelILi16ELb1E19rocblas_complex_numIdES1_KPKS1_KPS1_Ev13rocblas_fill_17rocblas_diagonal_iiT2_lPT3_llSB_llPT4_lli,"axG",@progbits,_ZL23rocblas_trmm_lTx_kernelILi16ELb1E19rocblas_complex_numIdES1_KPKS1_KPS1_Ev13rocblas_fill_17rocblas_diagonal_iiT2_lPT3_llSB_llPT4_lli,comdat
	.globl	_ZL23rocblas_trmm_lTx_kernelILi16ELb1E19rocblas_complex_numIdES1_KPKS1_KPS1_Ev13rocblas_fill_17rocblas_diagonal_iiT2_lPT3_llSB_llPT4_lli ; -- Begin function _ZL23rocblas_trmm_lTx_kernelILi16ELb1E19rocblas_complex_numIdES1_KPKS1_KPS1_Ev13rocblas_fill_17rocblas_diagonal_iiT2_lPT3_llSB_llPT4_lli
	.p2align	8
	.type	_ZL23rocblas_trmm_lTx_kernelILi16ELb1E19rocblas_complex_numIdES1_KPKS1_KPS1_Ev13rocblas_fill_17rocblas_diagonal_iiT2_lPT3_llSB_llPT4_lli,@function
_ZL23rocblas_trmm_lTx_kernelILi16ELb1E19rocblas_complex_numIdES1_KPKS1_KPS1_Ev13rocblas_fill_17rocblas_diagonal_iiT2_lPT3_llSB_llPT4_lli: ; @_ZL23rocblas_trmm_lTx_kernelILi16ELb1E19rocblas_complex_numIdES1_KPKS1_KPS1_Ev13rocblas_fill_17rocblas_diagonal_iiT2_lPT3_llSB_llPT4_lli
; %bb.0:
	s_load_b128 s[4:7], s[0:1], 0x10
	s_waitcnt lgkmcnt(0)
	v_cmp_neq_f64_e64 s2, s[4:5], 0
	v_cmp_neq_f64_e64 s3, s[6:7], 0
	s_delay_alu instid0(VALU_DEP_1) | instskip(NEXT) | instid1(SALU_CYCLE_1)
	s_or_b32 s2, s2, s3
	s_and_not1_b32 vcc_lo, exec_lo, s2
	s_cbranch_vccnz .LBB185_15
; %bb.1:
	s_load_b512 s[16:31], s[0:1], 0x28
	s_mov_b32 s36, s15
	s_mov_b32 s37, 0
	s_load_b128 s[8:11], s[0:1], 0x0
	s_lshl_b64 s[2:3], s[36:37], 3
	v_bfe_u32 v1, v0, 10, 10
	s_mov_b32 s36, s37
	s_mov_b32 s38, s37
	;; [unrolled: 1-line block ×3, first 2 shown]
	v_dual_mov_b32 v5, s36 :: v_dual_and_b32 v4, 0x3ff, v0
	v_dual_mov_b32 v7, s38 :: v_dual_lshlrev_b32 v2, 4, v1
	v_mov_b32_e32 v6, s37
	v_mov_b32_e32 v8, s39
	s_delay_alu instid0(VALU_DEP_4) | instskip(NEXT) | instid1(VALU_DEP_4)
	v_lshlrev_b32_e32 v0, 4, v4
	v_add_lshl_u32 v3, v2, v4, 4
	s_waitcnt lgkmcnt(0)
	s_add_u32 s12, s16, s2
	s_addc_u32 s13, s17, s3
	s_add_u32 s16, s22, s2
	s_addc_u32 s17, s23, s3
	;; [unrolled: 2-line block ×3, first 2 shown]
	s_load_b64 s[34:35], s[12:13], 0x0
	s_load_b64 s[16:17], s[16:17], 0x0
	;; [unrolled: 1-line block ×3, first 2 shown]
	v_cmp_gt_i32_e64 s2, s10, v1
	v_cmp_gt_i32_e32 vcc_lo, s10, v4
	ds_store_b128 v3, v[5:8]
	ds_store_b128 v3, v[5:8] offset:4096
	s_waitcnt lgkmcnt(0)
	s_barrier
	buffer_gl0_inv
	s_and_b32 s2, s2, vcc_lo
	s_delay_alu instid0(SALU_CYCLE_1)
	s_and_saveexec_b32 s3, s2
	s_cbranch_execz .LBB185_3
; %bb.2:
	v_mad_u64_u32 v[5:6], null, v1, s18, 0
	v_add_lshl_u32 v9, v0, v1, 4
	s_delay_alu instid0(VALU_DEP_2) | instskip(SKIP_1) | instid1(SALU_CYCLE_1)
	v_mad_u64_u32 v[7:8], null, v1, s19, v[6:7]
	s_lshl_b64 s[18:19], s[20:21], 4
	s_add_u32 s2, s34, s18
	s_addc_u32 s10, s35, s19
	s_delay_alu instid0(VALU_DEP_1) | instskip(NEXT) | instid1(VALU_DEP_1)
	v_mov_b32_e32 v6, v7
	v_lshlrev_b64 v[5:6], 4, v[5:6]
	s_delay_alu instid0(VALU_DEP_1) | instskip(NEXT) | instid1(VALU_DEP_1)
	v_add_co_u32 v5, s2, s2, v5
	v_add_co_ci_u32_e64 v6, s2, s10, v6, s2
	s_delay_alu instid0(VALU_DEP_2) | instskip(NEXT) | instid1(VALU_DEP_1)
	v_add_co_u32 v5, s2, v5, v0
	v_add_co_ci_u32_e64 v6, s2, 0, v6, s2
	global_load_b128 v[5:8], v[5:6], off
	s_waitcnt vmcnt(0)
	v_xor_b32_e32 v8, 0x80000000, v8
	ds_store_b128 v9, v[5:8]
.LBB185_3:
	s_or_b32 exec_lo, exec_lo, s3
	s_add_i32 s2, s11, -1
	s_delay_alu instid0(SALU_CYCLE_1) | instskip(NEXT) | instid1(SALU_CYCLE_1)
	s_ashr_i32 s3, s2, 31
	s_lshr_b32 s3, s3, 28
	s_delay_alu instid0(SALU_CYCLE_1) | instskip(NEXT) | instid1(SALU_CYCLE_1)
	s_add_i32 s2, s2, s3
	s_and_b32 s3, s2, -16
	s_ashr_i32 s2, s2, 4
	s_sub_i32 s3, s11, s3
	s_cmp_ge_i32 s14, s2
	s_cselect_b32 s2, s3, 16
	s_lshl_b32 s3, s14, 4
	v_cmp_gt_i32_e64 s2, s2, v1
	s_ashr_i32 s10, s3, 31
	s_delay_alu instid0(VALU_DEP_1) | instskip(NEXT) | instid1(SALU_CYCLE_1)
	s_and_b32 s2, vcc_lo, s2
	s_and_saveexec_b32 s11, s2
	s_cbranch_execz .LBB185_5
; %bb.4:
	v_mad_u64_u32 v[5:6], null, v1, s24, 0
	s_lshl_b64 s[14:15], s[26:27], 4
	s_mul_i32 s18, s3, s25
	s_mul_hi_u32 s19, s3, s24
	s_add_u32 s16, s16, s14
	s_mul_i32 s20, s10, s24
	s_addc_u32 s17, s17, s15
	s_delay_alu instid0(VALU_DEP_1)
	v_mad_u64_u32 v[7:8], null, v1, s25, v[6:7]
	s_add_i32 s15, s19, s18
	s_mul_i32 s14, s3, s24
	s_add_i32 s15, s15, s20
	v_add_nc_u32_e32 v9, 0x1000, v3
	s_lshl_b64 s[14:15], s[14:15], 4
	s_delay_alu instid0(VALU_DEP_2) | instskip(SKIP_2) | instid1(VALU_DEP_1)
	v_mov_b32_e32 v6, v7
	s_add_u32 s14, s16, s14
	s_addc_u32 s15, s17, s15
	v_lshlrev_b64 v[5:6], 4, v[5:6]
	s_delay_alu instid0(VALU_DEP_1) | instskip(NEXT) | instid1(VALU_DEP_2)
	v_add_co_u32 v5, vcc_lo, s14, v5
	v_add_co_ci_u32_e32 v6, vcc_lo, s15, v6, vcc_lo
	s_delay_alu instid0(VALU_DEP_2) | instskip(NEXT) | instid1(VALU_DEP_2)
	v_add_co_u32 v5, vcc_lo, v5, v0
	v_add_co_ci_u32_e32 v6, vcc_lo, 0, v6, vcc_lo
	global_load_b128 v[5:8], v[5:6], off
	s_waitcnt vmcnt(0)
	ds_store_2addr_b64 v9, v[5:6], v[7:8] offset1:1
.LBB185_5:
	s_or_b32 exec_lo, exec_lo, s11
	v_cmp_eq_u32_e32 vcc_lo, v1, v4
	s_cmpk_eq_i32 s9, 0x84
	s_cselect_b32 s9, -1, 0
	s_delay_alu instid0(SALU_CYCLE_1) | instskip(NEXT) | instid1(SALU_CYCLE_1)
	s_and_b32 s11, vcc_lo, s9
	s_and_saveexec_b32 s9, s11
	s_cbranch_execz .LBB185_7
; %bb.6:
	v_dual_mov_b32 v5, 0 :: v_dual_mov_b32 v6, 0x3ff00000
	s_delay_alu instid0(VALU_DEP_1)
	v_mov_b32_e32 v7, v5
	v_mov_b32_e32 v8, v5
	ds_store_b128 v3, v[5:8]
.LBB185_7:
	s_or_b32 exec_lo, exec_lo, s9
	s_cmpk_lg_i32 s8, 0x7a
	s_waitcnt lgkmcnt(0)
	s_barrier
	buffer_gl0_inv
	s_cbranch_scc0 .LBB185_9
; %bb.8:
	v_cmp_lt_u32_e32 vcc_lo, v4, v1
	s_and_b32 s8, vcc_lo, exec_lo
	s_cbranch_execz .LBB185_10
	s_branch .LBB185_11
.LBB185_9:
	s_mov_b32 s8, 0
.LBB185_10:
	v_cmp_gt_u32_e32 vcc_lo, v4, v1
	s_and_not1_b32 s8, s8, exec_lo
	s_and_b32 s9, vcc_lo, exec_lo
	s_delay_alu instid0(SALU_CYCLE_1)
	s_or_b32 s8, s8, s9
.LBB185_11:
	s_delay_alu instid0(SALU_CYCLE_1)
	s_and_saveexec_b32 s9, s8
	s_cbranch_execz .LBB185_13
; %bb.12:
	v_mov_b32_e32 v4, 0
	s_delay_alu instid0(VALU_DEP_1)
	v_mov_b32_e32 v5, v4
	v_mov_b32_e32 v6, v4
	;; [unrolled: 1-line block ×3, first 2 shown]
	ds_store_b128 v3, v[4:7]
.LBB185_13:
	s_or_b32 exec_lo, exec_lo, s9
	s_waitcnt lgkmcnt(0)
	s_barrier
	buffer_gl0_inv
	s_and_saveexec_b32 s8, s2
	s_cbranch_execz .LBB185_15
; %bb.14:
	v_lshlrev_b32_e32 v44, 4, v2
	s_load_b64 s[0:1], s[0:1], 0x68
	s_mul_i32 s10, s10, s30
	ds_load_b128 v[2:5], v44 offset:4096
	ds_load_b128 v[6:9], v0
	ds_load_b128 v[10:13], v0 offset:256
	ds_load_b128 v[14:17], v44 offset:4112
	s_waitcnt lgkmcnt(0)
	s_lshl_b64 s[0:1], s[0:1], 4
	s_delay_alu instid0(SALU_CYCLE_1)
	s_add_u32 s2, s12, s0
	v_mul_f64 v[18:19], v[2:3], v[8:9]
	v_mul_f64 v[34:35], v[14:15], v[12:13]
	;; [unrolled: 1-line block ×4, first 2 shown]
	s_mul_i32 s0, s3, s31
	s_delay_alu instid0(VALU_DEP_4)
	v_fma_f64 v[4:5], v[4:5], v[6:7], v[18:19]
	ds_load_b128 v[18:21], v44 offset:4128
	ds_load_b128 v[22:25], v0 offset:512
	;; [unrolled: 1-line block ×4, first 2 shown]
	v_fma_f64 v[16:17], v[16:17], v[10:11], v[34:35]
	v_fma_f64 v[2:3], v[2:3], v[6:7], -v[8:9]
	s_waitcnt lgkmcnt(2)
	v_mul_f64 v[36:37], v[18:19], v[24:25]
	v_mul_f64 v[24:25], v[20:21], v[24:25]
	s_waitcnt lgkmcnt(0)
	v_mul_f64 v[34:35], v[30:31], v[28:29]
	v_mul_f64 v[28:29], v[32:33], v[28:29]
	v_add_f64 v[4:5], v[4:5], 0
	v_add_f64 v[38:39], v[2:3], 0
	v_fma_f64 v[20:21], v[20:21], v[22:23], v[36:37]
	v_fma_f64 v[36:37], v[14:15], v[10:11], -v[12:13]
	v_fma_f64 v[32:33], v[32:33], v[26:27], v[34:35]
	v_fma_f64 v[18:19], v[18:19], v[22:23], -v[24:25]
	v_add_f64 v[40:41], v[4:5], v[16:17]
	ds_load_b128 v[2:5], v44 offset:4160
	ds_load_b128 v[6:9], v0 offset:1024
	ds_load_b128 v[10:13], v0 offset:1280
	ds_load_b128 v[14:17], v44 offset:4176
	s_waitcnt lgkmcnt(2)
	v_mul_f64 v[42:43], v[2:3], v[8:9]
	v_add_f64 v[22:23], v[38:39], v[36:37]
	s_waitcnt lgkmcnt(0)
	v_mul_f64 v[34:35], v[14:15], v[12:13]
	v_mul_f64 v[8:9], v[4:5], v[8:9]
	v_fma_f64 v[36:37], v[30:31], v[26:27], -v[28:29]
	v_mul_f64 v[12:13], v[16:17], v[12:13]
	v_add_f64 v[20:21], v[40:41], v[20:21]
	v_fma_f64 v[4:5], v[4:5], v[6:7], v[42:43]
	v_add_f64 v[38:39], v[22:23], v[18:19]
	v_fma_f64 v[16:17], v[16:17], v[10:11], v[34:35]
	v_fma_f64 v[2:3], v[2:3], v[6:7], -v[8:9]
	v_add_f64 v[40:41], v[20:21], v[32:33]
	ds_load_b128 v[18:21], v44 offset:4192
	ds_load_b128 v[22:25], v0 offset:1536
	ds_load_b128 v[26:29], v0 offset:1792
	ds_load_b128 v[30:33], v44 offset:4208
	s_waitcnt lgkmcnt(2)
	v_mul_f64 v[42:43], v[18:19], v[24:25]
	v_add_f64 v[6:7], v[38:39], v[36:37]
	s_waitcnt lgkmcnt(0)
	v_mul_f64 v[34:35], v[30:31], v[28:29]
	v_mul_f64 v[24:25], v[20:21], v[24:25]
	v_fma_f64 v[36:37], v[14:15], v[10:11], -v[12:13]
	v_mul_f64 v[28:29], v[32:33], v[28:29]
	v_add_f64 v[4:5], v[40:41], v[4:5]
	v_fma_f64 v[20:21], v[20:21], v[22:23], v[42:43]
	v_add_f64 v[38:39], v[6:7], v[2:3]
	;; [unrolled: 18-line block ×5, first 2 shown]
	v_fma_f64 v[16:17], v[16:17], v[10:11], v[34:35]
	v_fma_f64 v[2:3], v[2:3], v[6:7], -v[8:9]
	v_fma_f64 v[10:11], v[14:15], v[10:11], -v[12:13]
	v_add_f64 v[40:41], v[20:21], v[32:33]
	ds_load_b128 v[18:21], v44 offset:4320
	ds_load_b128 v[22:25], v0 offset:3584
	;; [unrolled: 1-line block ×4, first 2 shown]
	s_waitcnt lgkmcnt(2)
	v_mul_f64 v[42:43], v[18:19], v[24:25]
	v_add_f64 v[6:7], v[38:39], v[36:37]
	s_waitcnt lgkmcnt(0)
	v_mul_f64 v[8:9], v[30:31], v[28:29]
	v_mul_f64 v[24:25], v[20:21], v[24:25]
	v_add_f64 v[4:5], v[40:41], v[4:5]
	v_fma_f64 v[20:21], v[20:21], v[22:23], v[42:43]
	v_add_f64 v[2:3], v[6:7], v[2:3]
	v_mul_f64 v[6:7], v[32:33], v[28:29]
	v_fma_f64 v[8:9], v[32:33], v[26:27], v[8:9]
	v_fma_f64 v[12:13], v[18:19], v[22:23], -v[24:25]
	v_add_f64 v[4:5], v[4:5], v[16:17]
	v_add_f64 v[2:3], v[2:3], v[10:11]
	v_fma_f64 v[6:7], v[30:31], v[26:27], -v[6:7]
	v_mad_u64_u32 v[10:11], null, v1, s30, 0
	s_delay_alu instid0(VALU_DEP_4) | instskip(NEXT) | instid1(VALU_DEP_4)
	v_add_f64 v[4:5], v[4:5], v[20:21]
	v_add_f64 v[2:3], v[2:3], v[12:13]
	s_delay_alu instid0(VALU_DEP_2) | instskip(NEXT) | instid1(VALU_DEP_2)
	v_add_f64 v[4:5], v[4:5], v[8:9]
	v_add_f64 v[2:3], v[2:3], v[6:7]
	s_delay_alu instid0(VALU_DEP_2) | instskip(SKIP_1) | instid1(VALU_DEP_2)
	v_mul_f64 v[6:7], s[4:5], v[4:5]
	v_mul_f64 v[8:9], s[6:7], v[4:5]
	v_fma_f64 v[4:5], s[6:7], v[2:3], v[6:7]
	s_delay_alu instid0(VALU_DEP_2) | instskip(SKIP_4) | instid1(VALU_DEP_1)
	v_fma_f64 v[2:3], s[4:5], v[2:3], -v[8:9]
	v_mov_b32_e32 v6, v11
	s_mul_hi_u32 s4, s3, s30
	s_addc_u32 s5, s13, s1
	s_add_i32 s0, s4, s0
	v_mad_u64_u32 v[7:8], null, v1, s31, v[6:7]
	s_add_i32 s1, s0, s10
	s_mul_i32 s0, s3, s30
	s_delay_alu instid0(SALU_CYCLE_1) | instskip(NEXT) | instid1(SALU_CYCLE_1)
	s_lshl_b64 s[0:1], s[0:1], 4
	s_add_u32 s0, s2, s0
	s_delay_alu instid0(VALU_DEP_1) | instskip(SKIP_1) | instid1(VALU_DEP_1)
	v_mov_b32_e32 v11, v7
	s_addc_u32 s1, s5, s1
	v_lshlrev_b64 v[6:7], 4, v[10:11]
	s_delay_alu instid0(VALU_DEP_1) | instskip(NEXT) | instid1(VALU_DEP_2)
	v_add_co_u32 v1, vcc_lo, s0, v6
	v_add_co_ci_u32_e32 v6, vcc_lo, s1, v7, vcc_lo
	s_delay_alu instid0(VALU_DEP_2) | instskip(NEXT) | instid1(VALU_DEP_2)
	v_add_co_u32 v0, vcc_lo, v1, v0
	v_add_co_ci_u32_e32 v1, vcc_lo, 0, v6, vcc_lo
	global_store_b128 v[0:1], v[2:5], off
.LBB185_15:
	s_nop 0
	s_sendmsg sendmsg(MSG_DEALLOC_VGPRS)
	s_endpgm
	.section	.rodata,"a",@progbits
	.p2align	6, 0x0
	.amdhsa_kernel _ZL23rocblas_trmm_lTx_kernelILi16ELb1E19rocblas_complex_numIdES1_KPKS1_KPS1_Ev13rocblas_fill_17rocblas_diagonal_iiT2_lPT3_llSB_llPT4_lli
		.amdhsa_group_segment_fixed_size 8192
		.amdhsa_private_segment_fixed_size 0
		.amdhsa_kernarg_size 116
		.amdhsa_user_sgpr_count 14
		.amdhsa_user_sgpr_dispatch_ptr 0
		.amdhsa_user_sgpr_queue_ptr 0
		.amdhsa_user_sgpr_kernarg_segment_ptr 1
		.amdhsa_user_sgpr_dispatch_id 0
		.amdhsa_user_sgpr_private_segment_size 0
		.amdhsa_wavefront_size32 1
		.amdhsa_uses_dynamic_stack 0
		.amdhsa_enable_private_segment 0
		.amdhsa_system_sgpr_workgroup_id_x 1
		.amdhsa_system_sgpr_workgroup_id_y 0
		.amdhsa_system_sgpr_workgroup_id_z 1
		.amdhsa_system_sgpr_workgroup_info 0
		.amdhsa_system_vgpr_workitem_id 1
		.amdhsa_next_free_vgpr 45
		.amdhsa_next_free_sgpr 40
		.amdhsa_reserve_vcc 1
		.amdhsa_float_round_mode_32 0
		.amdhsa_float_round_mode_16_64 0
		.amdhsa_float_denorm_mode_32 3
		.amdhsa_float_denorm_mode_16_64 3
		.amdhsa_dx10_clamp 1
		.amdhsa_ieee_mode 1
		.amdhsa_fp16_overflow 0
		.amdhsa_workgroup_processor_mode 1
		.amdhsa_memory_ordered 1
		.amdhsa_forward_progress 0
		.amdhsa_shared_vgpr_count 0
		.amdhsa_exception_fp_ieee_invalid_op 0
		.amdhsa_exception_fp_denorm_src 0
		.amdhsa_exception_fp_ieee_div_zero 0
		.amdhsa_exception_fp_ieee_overflow 0
		.amdhsa_exception_fp_ieee_underflow 0
		.amdhsa_exception_fp_ieee_inexact 0
		.amdhsa_exception_int_div_zero 0
	.end_amdhsa_kernel
	.section	.text._ZL23rocblas_trmm_lTx_kernelILi16ELb1E19rocblas_complex_numIdES1_KPKS1_KPS1_Ev13rocblas_fill_17rocblas_diagonal_iiT2_lPT3_llSB_llPT4_lli,"axG",@progbits,_ZL23rocblas_trmm_lTx_kernelILi16ELb1E19rocblas_complex_numIdES1_KPKS1_KPS1_Ev13rocblas_fill_17rocblas_diagonal_iiT2_lPT3_llSB_llPT4_lli,comdat
.Lfunc_end185:
	.size	_ZL23rocblas_trmm_lTx_kernelILi16ELb1E19rocblas_complex_numIdES1_KPKS1_KPS1_Ev13rocblas_fill_17rocblas_diagonal_iiT2_lPT3_llSB_llPT4_lli, .Lfunc_end185-_ZL23rocblas_trmm_lTx_kernelILi16ELb1E19rocblas_complex_numIdES1_KPKS1_KPS1_Ev13rocblas_fill_17rocblas_diagonal_iiT2_lPT3_llSB_llPT4_lli
                                        ; -- End function
	.section	.AMDGPU.csdata,"",@progbits
; Kernel info:
; codeLenInByte = 2088
; NumSgprs: 42
; NumVgprs: 45
; ScratchSize: 0
; MemoryBound: 0
; FloatMode: 240
; IeeeMode: 1
; LDSByteSize: 8192 bytes/workgroup (compile time only)
; SGPRBlocks: 5
; VGPRBlocks: 5
; NumSGPRsForWavesPerEU: 42
; NumVGPRsForWavesPerEU: 45
; Occupancy: 16
; WaveLimiterHint : 1
; COMPUTE_PGM_RSRC2:SCRATCH_EN: 0
; COMPUTE_PGM_RSRC2:USER_SGPR: 14
; COMPUTE_PGM_RSRC2:TRAP_HANDLER: 0
; COMPUTE_PGM_RSRC2:TGID_X_EN: 1
; COMPUTE_PGM_RSRC2:TGID_Y_EN: 0
; COMPUTE_PGM_RSRC2:TGID_Z_EN: 1
; COMPUTE_PGM_RSRC2:TIDIG_COMP_CNT: 1
	.section	.text._ZL23rocblas_trmm_rNx_kernelILi16E19rocblas_complex_numIdEPKS1_KS3_KPS1_Ev13rocblas_fill_17rocblas_diagonal_iiT1_lPT2_llSB_llPT3_lli,"axG",@progbits,_ZL23rocblas_trmm_rNx_kernelILi16E19rocblas_complex_numIdEPKS1_KS3_KPS1_Ev13rocblas_fill_17rocblas_diagonal_iiT1_lPT2_llSB_llPT3_lli,comdat
	.globl	_ZL23rocblas_trmm_rNx_kernelILi16E19rocblas_complex_numIdEPKS1_KS3_KPS1_Ev13rocblas_fill_17rocblas_diagonal_iiT1_lPT2_llSB_llPT3_lli ; -- Begin function _ZL23rocblas_trmm_rNx_kernelILi16E19rocblas_complex_numIdEPKS1_KS3_KPS1_Ev13rocblas_fill_17rocblas_diagonal_iiT1_lPT2_llSB_llPT3_lli
	.p2align	8
	.type	_ZL23rocblas_trmm_rNx_kernelILi16E19rocblas_complex_numIdEPKS1_KS3_KPS1_Ev13rocblas_fill_17rocblas_diagonal_iiT1_lPT2_llSB_llPT3_lli,@function
_ZL23rocblas_trmm_rNx_kernelILi16E19rocblas_complex_numIdEPKS1_KS3_KPS1_Ev13rocblas_fill_17rocblas_diagonal_iiT1_lPT2_llSB_llPT3_lli: ; @_ZL23rocblas_trmm_rNx_kernelILi16E19rocblas_complex_numIdEPKS1_KS3_KPS1_Ev13rocblas_fill_17rocblas_diagonal_iiT1_lPT2_llSB_llPT3_lli
; %bb.0:
	s_load_b512 s[16:31], s[0:1], 0x10
	s_waitcnt lgkmcnt(0)
	s_mul_i32 s3, s15, s19
	s_mul_hi_u32 s4, s15, s18
	s_mul_i32 s2, s15, s18
	s_add_i32 s3, s4, s3
	s_delay_alu instid0(SALU_CYCLE_1) | instskip(NEXT) | instid1(SALU_CYCLE_1)
	s_lshl_b64 s[2:3], s[2:3], 4
	s_add_u32 s2, s16, s2
	s_addc_u32 s3, s17, s3
	s_load_b128 s[4:7], s[2:3], 0x0
	s_waitcnt lgkmcnt(0)
	v_cmp_neq_f64_e64 s2, s[4:5], 0
	v_cmp_neq_f64_e64 s3, s[6:7], 0
	s_delay_alu instid0(VALU_DEP_1) | instskip(NEXT) | instid1(SALU_CYCLE_1)
	s_or_b32 s2, s2, s3
	s_and_not1_b32 vcc_lo, exec_lo, s2
	s_cbranch_vccnz .LBB186_15
; %bb.1:
	s_clause 0x1
	s_load_b128 s[8:11], s[0:1], 0x50
	s_load_b128 s[16:19], s[0:1], 0x0
	s_mov_b32 s36, s15
	s_mov_b32 s37, 0
	v_bfe_u32 v1, v0, 10, 10
	s_lshl_b64 s[12:13], s[36:37], 3
	s_mov_b32 s36, s37
	s_add_u32 s2, s26, s12
	s_addc_u32 s3, s27, s13
	s_mov_b32 s38, s37
	s_mov_b32 s39, s37
	v_dual_mov_b32 v5, s36 :: v_dual_and_b32 v4, 0x3ff, v0
	v_dual_mov_b32 v7, s38 :: v_dual_lshlrev_b32 v2, 4, v1
	v_mov_b32_e32 v6, s37
	v_mov_b32_e32 v8, s39
	s_delay_alu instid0(VALU_DEP_4) | instskip(NEXT) | instid1(VALU_DEP_4)
	v_lshlrev_b32_e32 v0, 4, v4
	v_add_lshl_u32 v3, v2, v4, 4
	s_waitcnt lgkmcnt(0)
	s_add_u32 s8, s8, s12
	s_addc_u32 s9, s9, s13
	s_load_b64 s[26:27], s[2:3], 0x0
	s_load_b64 s[8:9], s[8:9], 0x0
	v_cmp_gt_i32_e32 vcc_lo, s19, v1
	v_cmp_gt_i32_e64 s2, s19, v4
	ds_store_b128 v3, v[5:8]
	ds_store_b128 v3, v[5:8] offset:4096
	s_and_b32 s2, vcc_lo, s2
	s_delay_alu instid0(SALU_CYCLE_1)
	s_and_saveexec_b32 s3, s2
	s_cbranch_execz .LBB186_3
; %bb.2:
	v_mad_u64_u32 v[5:6], null, v1, s22, 0
	s_add_u32 s12, s20, s12
	s_addc_u32 s13, s21, s13
	s_lshl_b64 s[20:21], s[24:25], 4
	s_load_b64 s[12:13], s[12:13], 0x0
	s_delay_alu instid0(VALU_DEP_1) | instskip(NEXT) | instid1(VALU_DEP_1)
	v_mad_u64_u32 v[7:8], null, v1, s23, v[6:7]
	v_mov_b32_e32 v6, v7
	s_delay_alu instid0(VALU_DEP_1) | instskip(SKIP_3) | instid1(VALU_DEP_1)
	v_lshlrev_b64 v[5:6], 4, v[5:6]
	s_waitcnt lgkmcnt(0)
	s_add_u32 s2, s12, s20
	s_addc_u32 s12, s13, s21
	v_add_co_u32 v5, s2, s2, v5
	s_delay_alu instid0(VALU_DEP_1) | instskip(NEXT) | instid1(VALU_DEP_2)
	v_add_co_ci_u32_e64 v6, s2, s12, v6, s2
	v_add_co_u32 v5, s2, v5, v0
	s_delay_alu instid0(VALU_DEP_1)
	v_add_co_ci_u32_e64 v6, s2, 0, v6, s2
	global_load_b128 v[5:8], v[5:6], off
	s_waitcnt vmcnt(0)
	ds_store_2addr_b64 v3, v[5:6], v[7:8] offset1:1
.LBB186_3:
	s_or_b32 exec_lo, exec_lo, s3
	s_add_i32 s2, s18, -1
	s_delay_alu instid0(SALU_CYCLE_1) | instskip(NEXT) | instid1(SALU_CYCLE_1)
	s_ashr_i32 s3, s2, 31
	s_lshr_b32 s3, s3, 28
	s_delay_alu instid0(SALU_CYCLE_1) | instskip(NEXT) | instid1(SALU_CYCLE_1)
	s_add_i32 s2, s2, s3
	s_and_b32 s3, s2, -16
	s_ashr_i32 s2, s2, 4
	s_sub_i32 s3, s18, s3
	s_cmp_ge_i32 s14, s2
	s_cselect_b32 s2, s3, 16
	s_lshl_b32 s12, s14, 4
	v_cmp_gt_i32_e64 s2, s2, v4
	s_ashr_i32 s13, s12, 31
	s_delay_alu instid0(VALU_DEP_1) | instskip(NEXT) | instid1(SALU_CYCLE_1)
	s_and_b32 s2, vcc_lo, s2
	s_and_saveexec_b32 s3, s2
	s_cbranch_execz .LBB186_5
; %bb.4:
	v_mad_u64_u32 v[5:6], null, v1, s28, 0
	s_lshl_b64 s[14:15], s[30:31], 4
	v_add_nc_u32_e32 v9, 0x1000, v3
	s_waitcnt lgkmcnt(0)
	s_add_u32 s18, s26, s14
	s_addc_u32 s19, s27, s15
	s_lshl_b64 s[14:15], s[12:13], 4
	s_delay_alu instid0(VALU_DEP_2) | instskip(SKIP_2) | instid1(VALU_DEP_1)
	v_mad_u64_u32 v[7:8], null, v1, s29, v[6:7]
	s_add_u32 s14, s18, s14
	s_addc_u32 s15, s19, s15
	v_mov_b32_e32 v6, v7
	s_delay_alu instid0(VALU_DEP_1) | instskip(NEXT) | instid1(VALU_DEP_1)
	v_lshlrev_b64 v[5:6], 4, v[5:6]
	v_add_co_u32 v5, vcc_lo, s14, v5
	s_delay_alu instid0(VALU_DEP_2) | instskip(NEXT) | instid1(VALU_DEP_2)
	v_add_co_ci_u32_e32 v6, vcc_lo, s15, v6, vcc_lo
	v_add_co_u32 v5, vcc_lo, v5, v0
	s_delay_alu instid0(VALU_DEP_2)
	v_add_co_ci_u32_e32 v6, vcc_lo, 0, v6, vcc_lo
	global_load_b128 v[5:8], v[5:6], off
	s_waitcnt vmcnt(0)
	ds_store_2addr_b64 v9, v[5:6], v[7:8] offset1:1
.LBB186_5:
	s_or_b32 exec_lo, exec_lo, s3
	v_cmp_eq_u32_e32 vcc_lo, v1, v4
	s_cmpk_eq_i32 s17, 0x84
	s_cselect_b32 s3, -1, 0
	s_delay_alu instid0(SALU_CYCLE_1) | instskip(NEXT) | instid1(SALU_CYCLE_1)
	s_and_b32 s14, vcc_lo, s3
	s_and_saveexec_b32 s3, s14
	s_cbranch_execz .LBB186_7
; %bb.6:
	v_dual_mov_b32 v5, 0 :: v_dual_mov_b32 v6, 0x3ff00000
	s_delay_alu instid0(VALU_DEP_1)
	v_mov_b32_e32 v7, v5
	v_mov_b32_e32 v8, v5
	ds_store_b128 v3, v[5:8]
.LBB186_7:
	s_or_b32 exec_lo, exec_lo, s3
	s_cmpk_lg_i32 s16, 0x79
	s_cbranch_scc0 .LBB186_9
; %bb.8:
	v_cmp_lt_u32_e32 vcc_lo, v4, v1
	s_and_b32 s3, vcc_lo, exec_lo
	s_cbranch_execz .LBB186_10
	s_branch .LBB186_11
.LBB186_9:
	s_mov_b32 s3, 0
.LBB186_10:
	v_cmp_gt_u32_e32 vcc_lo, v4, v1
	s_and_not1_b32 s3, s3, exec_lo
	s_and_b32 s14, vcc_lo, exec_lo
	s_delay_alu instid0(SALU_CYCLE_1)
	s_or_b32 s3, s3, s14
.LBB186_11:
	s_delay_alu instid0(SALU_CYCLE_1)
	s_and_saveexec_b32 s14, s3
	s_cbranch_execz .LBB186_13
; %bb.12:
	v_mov_b32_e32 v4, 0
	s_delay_alu instid0(VALU_DEP_1)
	v_mov_b32_e32 v5, v4
	v_mov_b32_e32 v6, v4
	;; [unrolled: 1-line block ×3, first 2 shown]
	ds_store_b128 v3, v[4:7]
.LBB186_13:
	s_or_b32 exec_lo, exec_lo, s14
	s_waitcnt lgkmcnt(0)
	s_barrier
	buffer_gl0_inv
	s_and_saveexec_b32 s3, s2
	s_cbranch_execz .LBB186_15
; %bb.14:
	v_lshlrev_b32_e32 v44, 4, v2
	s_load_b64 s[0:1], s[0:1], 0x60
	ds_load_b128 v[2:5], v44
	ds_load_b128 v[6:9], v0 offset:4096
	ds_load_b128 v[10:13], v0 offset:4352
	ds_load_b128 v[14:17], v44 offset:16
	s_waitcnt lgkmcnt(0)
	s_lshl_b64 s[0:1], s[0:1], 4
	s_delay_alu instid0(SALU_CYCLE_1)
	s_add_u32 s2, s8, s0
	v_mul_f64 v[18:19], v[2:3], v[8:9]
	v_mul_f64 v[34:35], v[14:15], v[12:13]
	;; [unrolled: 1-line block ×4, first 2 shown]
	s_addc_u32 s3, s9, s1
	s_lshl_b64 s[0:1], s[12:13], 4
	s_delay_alu instid0(SALU_CYCLE_1) | instskip(SKIP_1) | instid1(VALU_DEP_4)
	s_add_u32 s0, s2, s0
	s_addc_u32 s1, s3, s1
	v_fma_f64 v[4:5], v[4:5], v[6:7], v[18:19]
	ds_load_b128 v[18:21], v44 offset:32
	ds_load_b128 v[22:25], v0 offset:4608
	;; [unrolled: 1-line block ×4, first 2 shown]
	v_fma_f64 v[16:17], v[16:17], v[10:11], v[34:35]
	v_fma_f64 v[2:3], v[2:3], v[6:7], -v[8:9]
	s_waitcnt lgkmcnt(2)
	v_mul_f64 v[36:37], v[18:19], v[24:25]
	v_mul_f64 v[24:25], v[20:21], v[24:25]
	s_waitcnt lgkmcnt(0)
	v_mul_f64 v[34:35], v[30:31], v[28:29]
	v_mul_f64 v[28:29], v[32:33], v[28:29]
	v_add_f64 v[4:5], v[4:5], 0
	v_add_f64 v[38:39], v[2:3], 0
	v_fma_f64 v[20:21], v[20:21], v[22:23], v[36:37]
	v_fma_f64 v[36:37], v[14:15], v[10:11], -v[12:13]
	v_fma_f64 v[32:33], v[32:33], v[26:27], v[34:35]
	v_fma_f64 v[18:19], v[18:19], v[22:23], -v[24:25]
	v_add_f64 v[40:41], v[4:5], v[16:17]
	ds_load_b128 v[2:5], v44 offset:64
	ds_load_b128 v[6:9], v0 offset:5120
	ds_load_b128 v[10:13], v0 offset:5376
	ds_load_b128 v[14:17], v44 offset:80
	s_waitcnt lgkmcnt(2)
	v_mul_f64 v[42:43], v[2:3], v[8:9]
	v_add_f64 v[22:23], v[38:39], v[36:37]
	s_waitcnt lgkmcnt(0)
	v_mul_f64 v[34:35], v[14:15], v[12:13]
	v_mul_f64 v[8:9], v[4:5], v[8:9]
	v_fma_f64 v[36:37], v[30:31], v[26:27], -v[28:29]
	v_mul_f64 v[12:13], v[16:17], v[12:13]
	v_add_f64 v[20:21], v[40:41], v[20:21]
	v_fma_f64 v[4:5], v[4:5], v[6:7], v[42:43]
	v_add_f64 v[38:39], v[22:23], v[18:19]
	v_fma_f64 v[16:17], v[16:17], v[10:11], v[34:35]
	v_fma_f64 v[2:3], v[2:3], v[6:7], -v[8:9]
	v_add_f64 v[40:41], v[20:21], v[32:33]
	ds_load_b128 v[18:21], v44 offset:96
	ds_load_b128 v[22:25], v0 offset:5632
	ds_load_b128 v[26:29], v0 offset:5888
	ds_load_b128 v[30:33], v44 offset:112
	s_waitcnt lgkmcnt(2)
	v_mul_f64 v[42:43], v[18:19], v[24:25]
	v_add_f64 v[6:7], v[38:39], v[36:37]
	s_waitcnt lgkmcnt(0)
	v_mul_f64 v[34:35], v[30:31], v[28:29]
	v_mul_f64 v[24:25], v[20:21], v[24:25]
	v_fma_f64 v[36:37], v[14:15], v[10:11], -v[12:13]
	v_mul_f64 v[28:29], v[32:33], v[28:29]
	v_add_f64 v[4:5], v[40:41], v[4:5]
	v_fma_f64 v[20:21], v[20:21], v[22:23], v[42:43]
	v_add_f64 v[38:39], v[6:7], v[2:3]
	;; [unrolled: 18-line block ×5, first 2 shown]
	v_fma_f64 v[16:17], v[16:17], v[10:11], v[34:35]
	v_fma_f64 v[2:3], v[2:3], v[6:7], -v[8:9]
	v_fma_f64 v[10:11], v[14:15], v[10:11], -v[12:13]
	v_add_f64 v[40:41], v[20:21], v[32:33]
	ds_load_b128 v[18:21], v44 offset:224
	ds_load_b128 v[22:25], v0 offset:7680
	ds_load_b128 v[26:29], v0 offset:7936
	ds_load_b128 v[30:33], v44 offset:240
	s_waitcnt lgkmcnt(2)
	v_mul_f64 v[42:43], v[18:19], v[24:25]
	v_add_f64 v[6:7], v[38:39], v[36:37]
	s_waitcnt lgkmcnt(0)
	v_mul_f64 v[8:9], v[30:31], v[28:29]
	v_mul_f64 v[24:25], v[20:21], v[24:25]
	v_add_f64 v[4:5], v[40:41], v[4:5]
	v_fma_f64 v[20:21], v[20:21], v[22:23], v[42:43]
	v_add_f64 v[2:3], v[6:7], v[2:3]
	v_mul_f64 v[6:7], v[32:33], v[28:29]
	v_fma_f64 v[8:9], v[32:33], v[26:27], v[8:9]
	v_fma_f64 v[12:13], v[18:19], v[22:23], -v[24:25]
	v_add_f64 v[4:5], v[4:5], v[16:17]
	v_add_f64 v[2:3], v[2:3], v[10:11]
	v_fma_f64 v[6:7], v[30:31], v[26:27], -v[6:7]
	v_mad_u64_u32 v[10:11], null, v1, s10, 0
	s_delay_alu instid0(VALU_DEP_4) | instskip(NEXT) | instid1(VALU_DEP_4)
	v_add_f64 v[4:5], v[4:5], v[20:21]
	v_add_f64 v[2:3], v[2:3], v[12:13]
	s_delay_alu instid0(VALU_DEP_2) | instskip(NEXT) | instid1(VALU_DEP_2)
	v_add_f64 v[4:5], v[4:5], v[8:9]
	v_add_f64 v[2:3], v[2:3], v[6:7]
	s_delay_alu instid0(VALU_DEP_2) | instskip(SKIP_1) | instid1(VALU_DEP_2)
	v_mul_f64 v[6:7], s[4:5], v[4:5]
	v_mul_f64 v[8:9], s[6:7], v[4:5]
	v_fma_f64 v[4:5], s[6:7], v[2:3], v[6:7]
	s_delay_alu instid0(VALU_DEP_2) | instskip(SKIP_1) | instid1(VALU_DEP_1)
	v_fma_f64 v[2:3], s[4:5], v[2:3], -v[8:9]
	v_mov_b32_e32 v6, v11
	v_mad_u64_u32 v[7:8], null, v1, s11, v[6:7]
	s_delay_alu instid0(VALU_DEP_1) | instskip(NEXT) | instid1(VALU_DEP_1)
	v_mov_b32_e32 v11, v7
	v_lshlrev_b64 v[6:7], 4, v[10:11]
	s_delay_alu instid0(VALU_DEP_1) | instskip(NEXT) | instid1(VALU_DEP_2)
	v_add_co_u32 v1, vcc_lo, s0, v6
	v_add_co_ci_u32_e32 v6, vcc_lo, s1, v7, vcc_lo
	s_delay_alu instid0(VALU_DEP_2) | instskip(NEXT) | instid1(VALU_DEP_2)
	v_add_co_u32 v0, vcc_lo, v1, v0
	v_add_co_ci_u32_e32 v1, vcc_lo, 0, v6, vcc_lo
	global_store_b128 v[0:1], v[2:5], off
.LBB186_15:
	s_nop 0
	s_sendmsg sendmsg(MSG_DEALLOC_VGPRS)
	s_endpgm
	.section	.rodata,"a",@progbits
	.p2align	6, 0x0
	.amdhsa_kernel _ZL23rocblas_trmm_rNx_kernelILi16E19rocblas_complex_numIdEPKS1_KS3_KPS1_Ev13rocblas_fill_17rocblas_diagonal_iiT1_lPT2_llSB_llPT3_lli
		.amdhsa_group_segment_fixed_size 8192
		.amdhsa_private_segment_fixed_size 0
		.amdhsa_kernarg_size 108
		.amdhsa_user_sgpr_count 14
		.amdhsa_user_sgpr_dispatch_ptr 0
		.amdhsa_user_sgpr_queue_ptr 0
		.amdhsa_user_sgpr_kernarg_segment_ptr 1
		.amdhsa_user_sgpr_dispatch_id 0
		.amdhsa_user_sgpr_private_segment_size 0
		.amdhsa_wavefront_size32 1
		.amdhsa_uses_dynamic_stack 0
		.amdhsa_enable_private_segment 0
		.amdhsa_system_sgpr_workgroup_id_x 1
		.amdhsa_system_sgpr_workgroup_id_y 0
		.amdhsa_system_sgpr_workgroup_id_z 1
		.amdhsa_system_sgpr_workgroup_info 0
		.amdhsa_system_vgpr_workitem_id 1
		.amdhsa_next_free_vgpr 45
		.amdhsa_next_free_sgpr 40
		.amdhsa_reserve_vcc 1
		.amdhsa_float_round_mode_32 0
		.amdhsa_float_round_mode_16_64 0
		.amdhsa_float_denorm_mode_32 3
		.amdhsa_float_denorm_mode_16_64 3
		.amdhsa_dx10_clamp 1
		.amdhsa_ieee_mode 1
		.amdhsa_fp16_overflow 0
		.amdhsa_workgroup_processor_mode 1
		.amdhsa_memory_ordered 1
		.amdhsa_forward_progress 0
		.amdhsa_shared_vgpr_count 0
		.amdhsa_exception_fp_ieee_invalid_op 0
		.amdhsa_exception_fp_denorm_src 0
		.amdhsa_exception_fp_ieee_div_zero 0
		.amdhsa_exception_fp_ieee_overflow 0
		.amdhsa_exception_fp_ieee_underflow 0
		.amdhsa_exception_fp_ieee_inexact 0
		.amdhsa_exception_int_div_zero 0
	.end_amdhsa_kernel
	.section	.text._ZL23rocblas_trmm_rNx_kernelILi16E19rocblas_complex_numIdEPKS1_KS3_KPS1_Ev13rocblas_fill_17rocblas_diagonal_iiT1_lPT2_llSB_llPT3_lli,"axG",@progbits,_ZL23rocblas_trmm_rNx_kernelILi16E19rocblas_complex_numIdEPKS1_KS3_KPS1_Ev13rocblas_fill_17rocblas_diagonal_iiT1_lPT2_llSB_llPT3_lli,comdat
.Lfunc_end186:
	.size	_ZL23rocblas_trmm_rNx_kernelILi16E19rocblas_complex_numIdEPKS1_KS3_KPS1_Ev13rocblas_fill_17rocblas_diagonal_iiT1_lPT2_llSB_llPT3_lli, .Lfunc_end186-_ZL23rocblas_trmm_rNx_kernelILi16E19rocblas_complex_numIdEPKS1_KS3_KPS1_Ev13rocblas_fill_17rocblas_diagonal_iiT1_lPT2_llSB_llPT3_lli
                                        ; -- End function
	.section	.AMDGPU.csdata,"",@progbits
; Kernel info:
; codeLenInByte = 2044
; NumSgprs: 42
; NumVgprs: 45
; ScratchSize: 0
; MemoryBound: 0
; FloatMode: 240
; IeeeMode: 1
; LDSByteSize: 8192 bytes/workgroup (compile time only)
; SGPRBlocks: 5
; VGPRBlocks: 5
; NumSGPRsForWavesPerEU: 42
; NumVGPRsForWavesPerEU: 45
; Occupancy: 16
; WaveLimiterHint : 1
; COMPUTE_PGM_RSRC2:SCRATCH_EN: 0
; COMPUTE_PGM_RSRC2:USER_SGPR: 14
; COMPUTE_PGM_RSRC2:TRAP_HANDLER: 0
; COMPUTE_PGM_RSRC2:TGID_X_EN: 1
; COMPUTE_PGM_RSRC2:TGID_Y_EN: 0
; COMPUTE_PGM_RSRC2:TGID_Z_EN: 1
; COMPUTE_PGM_RSRC2:TIDIG_COMP_CNT: 1
	.section	.text._ZL23rocblas_trmm_rNx_kernelILi16E19rocblas_complex_numIdES1_KPKS1_KPS1_Ev13rocblas_fill_17rocblas_diagonal_iiT1_lPT2_llSB_llPT3_lli,"axG",@progbits,_ZL23rocblas_trmm_rNx_kernelILi16E19rocblas_complex_numIdES1_KPKS1_KPS1_Ev13rocblas_fill_17rocblas_diagonal_iiT1_lPT2_llSB_llPT3_lli,comdat
	.globl	_ZL23rocblas_trmm_rNx_kernelILi16E19rocblas_complex_numIdES1_KPKS1_KPS1_Ev13rocblas_fill_17rocblas_diagonal_iiT1_lPT2_llSB_llPT3_lli ; -- Begin function _ZL23rocblas_trmm_rNx_kernelILi16E19rocblas_complex_numIdES1_KPKS1_KPS1_Ev13rocblas_fill_17rocblas_diagonal_iiT1_lPT2_llSB_llPT3_lli
	.p2align	8
	.type	_ZL23rocblas_trmm_rNx_kernelILi16E19rocblas_complex_numIdES1_KPKS1_KPS1_Ev13rocblas_fill_17rocblas_diagonal_iiT1_lPT2_llSB_llPT3_lli,@function
_ZL23rocblas_trmm_rNx_kernelILi16E19rocblas_complex_numIdES1_KPKS1_KPS1_Ev13rocblas_fill_17rocblas_diagonal_iiT1_lPT2_llSB_llPT3_lli: ; @_ZL23rocblas_trmm_rNx_kernelILi16E19rocblas_complex_numIdES1_KPKS1_KPS1_Ev13rocblas_fill_17rocblas_diagonal_iiT1_lPT2_llSB_llPT3_lli
; %bb.0:
	s_load_b128 s[4:7], s[0:1], 0x10
	s_waitcnt lgkmcnt(0)
	v_cmp_neq_f64_e64 s2, s[4:5], 0
	v_cmp_neq_f64_e64 s3, s[6:7], 0
	s_delay_alu instid0(VALU_DEP_1) | instskip(NEXT) | instid1(SALU_CYCLE_1)
	s_or_b32 s2, s2, s3
	s_and_not1_b32 vcc_lo, exec_lo, s2
	s_cbranch_vccnz .LBB187_15
; %bb.1:
	s_clause 0x1
	s_load_b512 s[16:31], s[0:1], 0x28
	s_load_b128 s[8:11], s[0:1], 0x0
	s_mov_b32 s36, s15
	s_mov_b32 s37, 0
	v_bfe_u32 v1, v0, 10, 10
	s_lshl_b64 s[34:35], s[36:37], 3
	s_mov_b32 s36, s37
	s_mov_b32 s38, s37
	;; [unrolled: 1-line block ×3, first 2 shown]
	v_dual_mov_b32 v5, s36 :: v_dual_and_b32 v4, 0x3ff, v0
	v_dual_mov_b32 v7, s38 :: v_dual_lshlrev_b32 v2, 4, v1
	v_mov_b32_e32 v6, s37
	v_mov_b32_e32 v8, s39
	s_delay_alu instid0(VALU_DEP_4) | instskip(NEXT) | instid1(VALU_DEP_4)
	v_lshlrev_b32_e32 v0, 4, v4
	v_add_lshl_u32 v3, v2, v4, 4
	s_waitcnt lgkmcnt(0)
	s_add_u32 s2, s22, s34
	s_addc_u32 s3, s23, s35
	s_add_u32 s12, s28, s34
	s_addc_u32 s13, s29, s35
	s_load_b64 s[22:23], s[2:3], 0x0
	s_load_b64 s[12:13], s[12:13], 0x0
	v_cmp_gt_i32_e32 vcc_lo, s11, v1
	v_cmp_gt_i32_e64 s2, s11, v4
	ds_store_b128 v3, v[5:8]
	ds_store_b128 v3, v[5:8] offset:4096
	s_and_b32 s2, vcc_lo, s2
	s_delay_alu instid0(SALU_CYCLE_1)
	s_and_saveexec_b32 s3, s2
	s_cbranch_execz .LBB187_3
; %bb.2:
	v_mad_u64_u32 v[5:6], null, v1, s18, 0
	s_add_u32 s16, s16, s34
	s_addc_u32 s17, s17, s35
	s_load_b64 s[16:17], s[16:17], 0x0
	s_delay_alu instid0(VALU_DEP_1) | instskip(SKIP_1) | instid1(VALU_DEP_1)
	v_mad_u64_u32 v[7:8], null, v1, s19, v[6:7]
	s_lshl_b64 s[18:19], s[20:21], 4
	v_mov_b32_e32 v6, v7
	s_delay_alu instid0(VALU_DEP_1) | instskip(SKIP_3) | instid1(VALU_DEP_1)
	v_lshlrev_b64 v[5:6], 4, v[5:6]
	s_waitcnt lgkmcnt(0)
	s_add_u32 s2, s16, s18
	s_addc_u32 s11, s17, s19
	v_add_co_u32 v5, s2, s2, v5
	s_delay_alu instid0(VALU_DEP_1) | instskip(NEXT) | instid1(VALU_DEP_2)
	v_add_co_ci_u32_e64 v6, s2, s11, v6, s2
	v_add_co_u32 v5, s2, v5, v0
	s_delay_alu instid0(VALU_DEP_1)
	v_add_co_ci_u32_e64 v6, s2, 0, v6, s2
	global_load_b128 v[5:8], v[5:6], off
	s_waitcnt vmcnt(0)
	ds_store_2addr_b64 v3, v[5:6], v[7:8] offset1:1
.LBB187_3:
	s_or_b32 exec_lo, exec_lo, s3
	s_add_i32 s2, s10, -1
	s_delay_alu instid0(SALU_CYCLE_1) | instskip(NEXT) | instid1(SALU_CYCLE_1)
	s_ashr_i32 s3, s2, 31
	s_lshr_b32 s3, s3, 28
	s_delay_alu instid0(SALU_CYCLE_1) | instskip(NEXT) | instid1(SALU_CYCLE_1)
	s_add_i32 s2, s2, s3
	s_and_b32 s3, s2, -16
	s_ashr_i32 s2, s2, 4
	s_sub_i32 s3, s10, s3
	s_cmp_ge_i32 s14, s2
	s_cselect_b32 s2, s3, 16
	s_lshl_b32 s10, s14, 4
	v_cmp_gt_i32_e64 s2, s2, v4
	s_ashr_i32 s11, s10, 31
	s_delay_alu instid0(VALU_DEP_1) | instskip(NEXT) | instid1(SALU_CYCLE_1)
	s_and_b32 s2, vcc_lo, s2
	s_and_saveexec_b32 s3, s2
	s_cbranch_execz .LBB187_5
; %bb.4:
	v_mad_u64_u32 v[5:6], null, v1, s24, 0
	s_lshl_b64 s[14:15], s[26:27], 4
	v_add_nc_u32_e32 v9, 0x1000, v3
	s_waitcnt lgkmcnt(0)
	s_add_u32 s16, s22, s14
	s_addc_u32 s17, s23, s15
	s_lshl_b64 s[14:15], s[10:11], 4
	s_delay_alu instid0(VALU_DEP_2) | instskip(SKIP_2) | instid1(VALU_DEP_1)
	v_mad_u64_u32 v[7:8], null, v1, s25, v[6:7]
	s_add_u32 s14, s16, s14
	s_addc_u32 s15, s17, s15
	v_mov_b32_e32 v6, v7
	s_delay_alu instid0(VALU_DEP_1) | instskip(NEXT) | instid1(VALU_DEP_1)
	v_lshlrev_b64 v[5:6], 4, v[5:6]
	v_add_co_u32 v5, vcc_lo, s14, v5
	s_delay_alu instid0(VALU_DEP_2) | instskip(NEXT) | instid1(VALU_DEP_2)
	v_add_co_ci_u32_e32 v6, vcc_lo, s15, v6, vcc_lo
	v_add_co_u32 v5, vcc_lo, v5, v0
	s_delay_alu instid0(VALU_DEP_2)
	v_add_co_ci_u32_e32 v6, vcc_lo, 0, v6, vcc_lo
	global_load_b128 v[5:8], v[5:6], off
	s_waitcnt vmcnt(0)
	ds_store_2addr_b64 v9, v[5:6], v[7:8] offset1:1
.LBB187_5:
	s_or_b32 exec_lo, exec_lo, s3
	v_cmp_eq_u32_e32 vcc_lo, v1, v4
	s_cmpk_eq_i32 s9, 0x84
	s_cselect_b32 s3, -1, 0
	s_delay_alu instid0(SALU_CYCLE_1) | instskip(NEXT) | instid1(SALU_CYCLE_1)
	s_and_b32 s9, vcc_lo, s3
	s_and_saveexec_b32 s3, s9
	s_cbranch_execz .LBB187_7
; %bb.6:
	v_dual_mov_b32 v5, 0 :: v_dual_mov_b32 v6, 0x3ff00000
	s_delay_alu instid0(VALU_DEP_1)
	v_mov_b32_e32 v7, v5
	v_mov_b32_e32 v8, v5
	ds_store_b128 v3, v[5:8]
.LBB187_7:
	s_or_b32 exec_lo, exec_lo, s3
	s_cmpk_lg_i32 s8, 0x79
	s_cbranch_scc0 .LBB187_9
; %bb.8:
	v_cmp_lt_u32_e32 vcc_lo, v4, v1
	s_and_b32 s3, vcc_lo, exec_lo
	s_cbranch_execz .LBB187_10
	s_branch .LBB187_11
.LBB187_9:
	s_mov_b32 s3, 0
.LBB187_10:
	v_cmp_gt_u32_e32 vcc_lo, v4, v1
	s_and_not1_b32 s3, s3, exec_lo
	s_and_b32 s8, vcc_lo, exec_lo
	s_delay_alu instid0(SALU_CYCLE_1)
	s_or_b32 s3, s3, s8
.LBB187_11:
	s_delay_alu instid0(SALU_CYCLE_1)
	s_and_saveexec_b32 s8, s3
	s_cbranch_execz .LBB187_13
; %bb.12:
	v_mov_b32_e32 v4, 0
	s_delay_alu instid0(VALU_DEP_1)
	v_mov_b32_e32 v5, v4
	v_mov_b32_e32 v6, v4
	;; [unrolled: 1-line block ×3, first 2 shown]
	ds_store_b128 v3, v[4:7]
.LBB187_13:
	s_or_b32 exec_lo, exec_lo, s8
	s_waitcnt lgkmcnt(0)
	s_barrier
	buffer_gl0_inv
	s_and_saveexec_b32 s3, s2
	s_cbranch_execz .LBB187_15
; %bb.14:
	v_lshlrev_b32_e32 v44, 4, v2
	s_load_b64 s[0:1], s[0:1], 0x68
	ds_load_b128 v[2:5], v44
	ds_load_b128 v[6:9], v0 offset:4096
	ds_load_b128 v[10:13], v0 offset:4352
	;; [unrolled: 1-line block ×3, first 2 shown]
	s_waitcnt lgkmcnt(0)
	s_lshl_b64 s[0:1], s[0:1], 4
	s_delay_alu instid0(SALU_CYCLE_1)
	s_add_u32 s2, s12, s0
	v_mul_f64 v[18:19], v[2:3], v[8:9]
	v_mul_f64 v[34:35], v[14:15], v[12:13]
	;; [unrolled: 1-line block ×4, first 2 shown]
	s_addc_u32 s3, s13, s1
	s_lshl_b64 s[0:1], s[10:11], 4
	s_delay_alu instid0(SALU_CYCLE_1) | instskip(SKIP_1) | instid1(VALU_DEP_4)
	s_add_u32 s0, s2, s0
	s_addc_u32 s1, s3, s1
	v_fma_f64 v[4:5], v[4:5], v[6:7], v[18:19]
	ds_load_b128 v[18:21], v44 offset:32
	ds_load_b128 v[22:25], v0 offset:4608
	;; [unrolled: 1-line block ×4, first 2 shown]
	v_fma_f64 v[16:17], v[16:17], v[10:11], v[34:35]
	v_fma_f64 v[2:3], v[2:3], v[6:7], -v[8:9]
	s_waitcnt lgkmcnt(2)
	v_mul_f64 v[36:37], v[18:19], v[24:25]
	v_mul_f64 v[24:25], v[20:21], v[24:25]
	s_waitcnt lgkmcnt(0)
	v_mul_f64 v[34:35], v[30:31], v[28:29]
	v_mul_f64 v[28:29], v[32:33], v[28:29]
	v_add_f64 v[4:5], v[4:5], 0
	v_add_f64 v[38:39], v[2:3], 0
	v_fma_f64 v[20:21], v[20:21], v[22:23], v[36:37]
	v_fma_f64 v[36:37], v[14:15], v[10:11], -v[12:13]
	v_fma_f64 v[32:33], v[32:33], v[26:27], v[34:35]
	v_fma_f64 v[18:19], v[18:19], v[22:23], -v[24:25]
	v_add_f64 v[40:41], v[4:5], v[16:17]
	ds_load_b128 v[2:5], v44 offset:64
	ds_load_b128 v[6:9], v0 offset:5120
	ds_load_b128 v[10:13], v0 offset:5376
	ds_load_b128 v[14:17], v44 offset:80
	s_waitcnt lgkmcnt(2)
	v_mul_f64 v[42:43], v[2:3], v[8:9]
	v_add_f64 v[22:23], v[38:39], v[36:37]
	s_waitcnt lgkmcnt(0)
	v_mul_f64 v[34:35], v[14:15], v[12:13]
	v_mul_f64 v[8:9], v[4:5], v[8:9]
	v_fma_f64 v[36:37], v[30:31], v[26:27], -v[28:29]
	v_mul_f64 v[12:13], v[16:17], v[12:13]
	v_add_f64 v[20:21], v[40:41], v[20:21]
	v_fma_f64 v[4:5], v[4:5], v[6:7], v[42:43]
	v_add_f64 v[38:39], v[22:23], v[18:19]
	v_fma_f64 v[16:17], v[16:17], v[10:11], v[34:35]
	v_fma_f64 v[2:3], v[2:3], v[6:7], -v[8:9]
	v_add_f64 v[40:41], v[20:21], v[32:33]
	ds_load_b128 v[18:21], v44 offset:96
	ds_load_b128 v[22:25], v0 offset:5632
	ds_load_b128 v[26:29], v0 offset:5888
	ds_load_b128 v[30:33], v44 offset:112
	s_waitcnt lgkmcnt(2)
	v_mul_f64 v[42:43], v[18:19], v[24:25]
	v_add_f64 v[6:7], v[38:39], v[36:37]
	s_waitcnt lgkmcnt(0)
	v_mul_f64 v[34:35], v[30:31], v[28:29]
	v_mul_f64 v[24:25], v[20:21], v[24:25]
	v_fma_f64 v[36:37], v[14:15], v[10:11], -v[12:13]
	v_mul_f64 v[28:29], v[32:33], v[28:29]
	v_add_f64 v[4:5], v[40:41], v[4:5]
	v_fma_f64 v[20:21], v[20:21], v[22:23], v[42:43]
	v_add_f64 v[38:39], v[6:7], v[2:3]
	;; [unrolled: 18-line block ×5, first 2 shown]
	v_fma_f64 v[16:17], v[16:17], v[10:11], v[34:35]
	v_fma_f64 v[2:3], v[2:3], v[6:7], -v[8:9]
	v_fma_f64 v[10:11], v[14:15], v[10:11], -v[12:13]
	v_add_f64 v[40:41], v[20:21], v[32:33]
	ds_load_b128 v[18:21], v44 offset:224
	ds_load_b128 v[22:25], v0 offset:7680
	;; [unrolled: 1-line block ×4, first 2 shown]
	s_waitcnt lgkmcnt(2)
	v_mul_f64 v[42:43], v[18:19], v[24:25]
	v_add_f64 v[6:7], v[38:39], v[36:37]
	s_waitcnt lgkmcnt(0)
	v_mul_f64 v[8:9], v[30:31], v[28:29]
	v_mul_f64 v[24:25], v[20:21], v[24:25]
	v_add_f64 v[4:5], v[40:41], v[4:5]
	v_fma_f64 v[20:21], v[20:21], v[22:23], v[42:43]
	v_add_f64 v[2:3], v[6:7], v[2:3]
	v_mul_f64 v[6:7], v[32:33], v[28:29]
	v_fma_f64 v[8:9], v[32:33], v[26:27], v[8:9]
	v_fma_f64 v[12:13], v[18:19], v[22:23], -v[24:25]
	v_add_f64 v[4:5], v[4:5], v[16:17]
	v_add_f64 v[2:3], v[2:3], v[10:11]
	v_fma_f64 v[6:7], v[30:31], v[26:27], -v[6:7]
	v_mad_u64_u32 v[10:11], null, v1, s30, 0
	s_delay_alu instid0(VALU_DEP_4) | instskip(NEXT) | instid1(VALU_DEP_4)
	v_add_f64 v[4:5], v[4:5], v[20:21]
	v_add_f64 v[2:3], v[2:3], v[12:13]
	s_delay_alu instid0(VALU_DEP_2) | instskip(NEXT) | instid1(VALU_DEP_2)
	v_add_f64 v[4:5], v[4:5], v[8:9]
	v_add_f64 v[2:3], v[2:3], v[6:7]
	s_delay_alu instid0(VALU_DEP_2) | instskip(SKIP_1) | instid1(VALU_DEP_2)
	v_mul_f64 v[6:7], s[4:5], v[4:5]
	v_mul_f64 v[8:9], s[6:7], v[4:5]
	v_fma_f64 v[4:5], s[6:7], v[2:3], v[6:7]
	s_delay_alu instid0(VALU_DEP_2) | instskip(SKIP_1) | instid1(VALU_DEP_1)
	v_fma_f64 v[2:3], s[4:5], v[2:3], -v[8:9]
	v_mov_b32_e32 v6, v11
	v_mad_u64_u32 v[7:8], null, v1, s31, v[6:7]
	s_delay_alu instid0(VALU_DEP_1) | instskip(NEXT) | instid1(VALU_DEP_1)
	v_mov_b32_e32 v11, v7
	v_lshlrev_b64 v[6:7], 4, v[10:11]
	s_delay_alu instid0(VALU_DEP_1) | instskip(NEXT) | instid1(VALU_DEP_2)
	v_add_co_u32 v1, vcc_lo, s0, v6
	v_add_co_ci_u32_e32 v6, vcc_lo, s1, v7, vcc_lo
	s_delay_alu instid0(VALU_DEP_2) | instskip(NEXT) | instid1(VALU_DEP_2)
	v_add_co_u32 v0, vcc_lo, v1, v0
	v_add_co_ci_u32_e32 v1, vcc_lo, 0, v6, vcc_lo
	global_store_b128 v[0:1], v[2:5], off
.LBB187_15:
	s_nop 0
	s_sendmsg sendmsg(MSG_DEALLOC_VGPRS)
	s_endpgm
	.section	.rodata,"a",@progbits
	.p2align	6, 0x0
	.amdhsa_kernel _ZL23rocblas_trmm_rNx_kernelILi16E19rocblas_complex_numIdES1_KPKS1_KPS1_Ev13rocblas_fill_17rocblas_diagonal_iiT1_lPT2_llSB_llPT3_lli
		.amdhsa_group_segment_fixed_size 8192
		.amdhsa_private_segment_fixed_size 0
		.amdhsa_kernarg_size 116
		.amdhsa_user_sgpr_count 14
		.amdhsa_user_sgpr_dispatch_ptr 0
		.amdhsa_user_sgpr_queue_ptr 0
		.amdhsa_user_sgpr_kernarg_segment_ptr 1
		.amdhsa_user_sgpr_dispatch_id 0
		.amdhsa_user_sgpr_private_segment_size 0
		.amdhsa_wavefront_size32 1
		.amdhsa_uses_dynamic_stack 0
		.amdhsa_enable_private_segment 0
		.amdhsa_system_sgpr_workgroup_id_x 1
		.amdhsa_system_sgpr_workgroup_id_y 0
		.amdhsa_system_sgpr_workgroup_id_z 1
		.amdhsa_system_sgpr_workgroup_info 0
		.amdhsa_system_vgpr_workitem_id 1
		.amdhsa_next_free_vgpr 45
		.amdhsa_next_free_sgpr 40
		.amdhsa_reserve_vcc 1
		.amdhsa_float_round_mode_32 0
		.amdhsa_float_round_mode_16_64 0
		.amdhsa_float_denorm_mode_32 3
		.amdhsa_float_denorm_mode_16_64 3
		.amdhsa_dx10_clamp 1
		.amdhsa_ieee_mode 1
		.amdhsa_fp16_overflow 0
		.amdhsa_workgroup_processor_mode 1
		.amdhsa_memory_ordered 1
		.amdhsa_forward_progress 0
		.amdhsa_shared_vgpr_count 0
		.amdhsa_exception_fp_ieee_invalid_op 0
		.amdhsa_exception_fp_denorm_src 0
		.amdhsa_exception_fp_ieee_div_zero 0
		.amdhsa_exception_fp_ieee_overflow 0
		.amdhsa_exception_fp_ieee_underflow 0
		.amdhsa_exception_fp_ieee_inexact 0
		.amdhsa_exception_int_div_zero 0
	.end_amdhsa_kernel
	.section	.text._ZL23rocblas_trmm_rNx_kernelILi16E19rocblas_complex_numIdES1_KPKS1_KPS1_Ev13rocblas_fill_17rocblas_diagonal_iiT1_lPT2_llSB_llPT3_lli,"axG",@progbits,_ZL23rocblas_trmm_rNx_kernelILi16E19rocblas_complex_numIdES1_KPKS1_KPS1_Ev13rocblas_fill_17rocblas_diagonal_iiT1_lPT2_llSB_llPT3_lli,comdat
.Lfunc_end187:
	.size	_ZL23rocblas_trmm_rNx_kernelILi16E19rocblas_complex_numIdES1_KPKS1_KPS1_Ev13rocblas_fill_17rocblas_diagonal_iiT1_lPT2_llSB_llPT3_lli, .Lfunc_end187-_ZL23rocblas_trmm_rNx_kernelILi16E19rocblas_complex_numIdES1_KPKS1_KPS1_Ev13rocblas_fill_17rocblas_diagonal_iiT1_lPT2_llSB_llPT3_lli
                                        ; -- End function
	.section	.AMDGPU.csdata,"",@progbits
; Kernel info:
; codeLenInByte = 2000
; NumSgprs: 42
; NumVgprs: 45
; ScratchSize: 0
; MemoryBound: 0
; FloatMode: 240
; IeeeMode: 1
; LDSByteSize: 8192 bytes/workgroup (compile time only)
; SGPRBlocks: 5
; VGPRBlocks: 5
; NumSGPRsForWavesPerEU: 42
; NumVGPRsForWavesPerEU: 45
; Occupancy: 16
; WaveLimiterHint : 1
; COMPUTE_PGM_RSRC2:SCRATCH_EN: 0
; COMPUTE_PGM_RSRC2:USER_SGPR: 14
; COMPUTE_PGM_RSRC2:TRAP_HANDLER: 0
; COMPUTE_PGM_RSRC2:TGID_X_EN: 1
; COMPUTE_PGM_RSRC2:TGID_Y_EN: 0
; COMPUTE_PGM_RSRC2:TGID_Z_EN: 1
; COMPUTE_PGM_RSRC2:TIDIG_COMP_CNT: 1
	.section	.text._ZL23rocblas_trmm_rTx_kernelILi16ELb0E19rocblas_complex_numIdEPKS1_KS3_KPS1_Ev13rocblas_fill_17rocblas_diagonal_iiT2_lPT3_llSB_llPT4_lli,"axG",@progbits,_ZL23rocblas_trmm_rTx_kernelILi16ELb0E19rocblas_complex_numIdEPKS1_KS3_KPS1_Ev13rocblas_fill_17rocblas_diagonal_iiT2_lPT3_llSB_llPT4_lli,comdat
	.globl	_ZL23rocblas_trmm_rTx_kernelILi16ELb0E19rocblas_complex_numIdEPKS1_KS3_KPS1_Ev13rocblas_fill_17rocblas_diagonal_iiT2_lPT3_llSB_llPT4_lli ; -- Begin function _ZL23rocblas_trmm_rTx_kernelILi16ELb0E19rocblas_complex_numIdEPKS1_KS3_KPS1_Ev13rocblas_fill_17rocblas_diagonal_iiT2_lPT3_llSB_llPT4_lli
	.p2align	8
	.type	_ZL23rocblas_trmm_rTx_kernelILi16ELb0E19rocblas_complex_numIdEPKS1_KS3_KPS1_Ev13rocblas_fill_17rocblas_diagonal_iiT2_lPT3_llSB_llPT4_lli,@function
_ZL23rocblas_trmm_rTx_kernelILi16ELb0E19rocblas_complex_numIdEPKS1_KS3_KPS1_Ev13rocblas_fill_17rocblas_diagonal_iiT2_lPT3_llSB_llPT4_lli: ; @_ZL23rocblas_trmm_rTx_kernelILi16ELb0E19rocblas_complex_numIdEPKS1_KS3_KPS1_Ev13rocblas_fill_17rocblas_diagonal_iiT2_lPT3_llSB_llPT4_lli
; %bb.0:
	s_load_b512 s[16:31], s[0:1], 0x10
	s_waitcnt lgkmcnt(0)
	s_mul_i32 s3, s15, s19
	s_mul_hi_u32 s4, s15, s18
	s_mul_i32 s2, s15, s18
	s_add_i32 s3, s4, s3
	s_delay_alu instid0(SALU_CYCLE_1) | instskip(NEXT) | instid1(SALU_CYCLE_1)
	s_lshl_b64 s[2:3], s[2:3], 4
	s_add_u32 s2, s16, s2
	s_addc_u32 s3, s17, s3
	s_load_b128 s[4:7], s[2:3], 0x0
	s_waitcnt lgkmcnt(0)
	v_cmp_neq_f64_e64 s2, s[4:5], 0
	v_cmp_neq_f64_e64 s3, s[6:7], 0
	s_delay_alu instid0(VALU_DEP_1) | instskip(NEXT) | instid1(SALU_CYCLE_1)
	s_or_b32 s2, s2, s3
	s_and_not1_b32 vcc_lo, exec_lo, s2
	s_cbranch_vccnz .LBB188_15
; %bb.1:
	s_clause 0x1
	s_load_b128 s[8:11], s[0:1], 0x50
	s_load_b128 s[16:19], s[0:1], 0x0
	s_mov_b32 s36, s15
	s_mov_b32 s37, 0
	v_bfe_u32 v1, v0, 10, 10
	s_lshl_b64 s[12:13], s[36:37], 3
	s_mov_b32 s36, s37
	s_add_u32 s2, s26, s12
	s_addc_u32 s3, s27, s13
	s_mov_b32 s38, s37
	s_mov_b32 s39, s37
	v_dual_mov_b32 v5, s36 :: v_dual_and_b32 v4, 0x3ff, v0
	v_dual_mov_b32 v7, s38 :: v_dual_lshlrev_b32 v2, 4, v1
	v_mov_b32_e32 v6, s37
	v_mov_b32_e32 v8, s39
	s_delay_alu instid0(VALU_DEP_4) | instskip(NEXT) | instid1(VALU_DEP_4)
	v_lshlrev_b32_e32 v0, 4, v4
	v_add_lshl_u32 v3, v2, v4, 4
	s_waitcnt lgkmcnt(0)
	s_add_u32 s8, s8, s12
	s_addc_u32 s9, s9, s13
	s_load_b64 s[26:27], s[2:3], 0x0
	s_load_b64 s[8:9], s[8:9], 0x0
	v_cmp_gt_i32_e32 vcc_lo, s19, v1
	v_cmp_gt_i32_e64 s2, s19, v4
	ds_store_b128 v3, v[5:8]
	ds_store_b128 v3, v[5:8] offset:4096
	s_and_b32 s2, vcc_lo, s2
	s_delay_alu instid0(SALU_CYCLE_1)
	s_and_saveexec_b32 s3, s2
	s_cbranch_execz .LBB188_3
; %bb.2:
	v_mad_u64_u32 v[5:6], null, v1, s22, 0
	s_add_u32 s12, s20, s12
	s_addc_u32 s13, s21, s13
	s_lshl_b64 s[20:21], s[24:25], 4
	s_load_b64 s[12:13], s[12:13], 0x0
	s_delay_alu instid0(VALU_DEP_1) | instskip(NEXT) | instid1(VALU_DEP_1)
	v_mad_u64_u32 v[7:8], null, v1, s23, v[6:7]
	v_mov_b32_e32 v6, v7
	s_delay_alu instid0(VALU_DEP_1) | instskip(SKIP_3) | instid1(VALU_DEP_1)
	v_lshlrev_b64 v[5:6], 4, v[5:6]
	s_waitcnt lgkmcnt(0)
	s_add_u32 s2, s12, s20
	s_addc_u32 s12, s13, s21
	v_add_co_u32 v5, s2, s2, v5
	s_delay_alu instid0(VALU_DEP_1) | instskip(NEXT) | instid1(VALU_DEP_2)
	v_add_co_ci_u32_e64 v6, s2, s12, v6, s2
	v_add_co_u32 v5, s2, v5, v0
	s_delay_alu instid0(VALU_DEP_1)
	v_add_co_ci_u32_e64 v6, s2, 0, v6, s2
	global_load_b128 v[5:8], v[5:6], off
	s_waitcnt vmcnt(0)
	ds_store_2addr_b64 v3, v[5:6], v[7:8] offset1:1
.LBB188_3:
	s_or_b32 exec_lo, exec_lo, s3
	s_add_i32 s2, s18, -1
	s_delay_alu instid0(SALU_CYCLE_1) | instskip(NEXT) | instid1(SALU_CYCLE_1)
	s_ashr_i32 s3, s2, 31
	s_lshr_b32 s3, s3, 28
	s_delay_alu instid0(SALU_CYCLE_1) | instskip(NEXT) | instid1(SALU_CYCLE_1)
	s_add_i32 s2, s2, s3
	s_and_b32 s3, s2, -16
	s_ashr_i32 s2, s2, 4
	s_sub_i32 s3, s18, s3
	s_cmp_ge_i32 s14, s2
	s_cselect_b32 s2, s3, 16
	s_lshl_b32 s12, s14, 4
	v_cmp_gt_i32_e64 s2, s2, v4
	s_ashr_i32 s13, s12, 31
	s_delay_alu instid0(VALU_DEP_1) | instskip(NEXT) | instid1(SALU_CYCLE_1)
	s_and_b32 s2, vcc_lo, s2
	s_and_saveexec_b32 s3, s2
	s_cbranch_execz .LBB188_5
; %bb.4:
	v_mad_u64_u32 v[5:6], null, v1, s28, 0
	s_lshl_b64 s[14:15], s[30:31], 4
	v_add_nc_u32_e32 v9, 0x1000, v3
	s_waitcnt lgkmcnt(0)
	s_add_u32 s18, s26, s14
	s_addc_u32 s19, s27, s15
	s_lshl_b64 s[14:15], s[12:13], 4
	s_delay_alu instid0(VALU_DEP_2) | instskip(SKIP_2) | instid1(VALU_DEP_1)
	v_mad_u64_u32 v[7:8], null, v1, s29, v[6:7]
	s_add_u32 s14, s18, s14
	s_addc_u32 s15, s19, s15
	v_mov_b32_e32 v6, v7
	s_delay_alu instid0(VALU_DEP_1) | instskip(NEXT) | instid1(VALU_DEP_1)
	v_lshlrev_b64 v[5:6], 4, v[5:6]
	v_add_co_u32 v5, vcc_lo, s14, v5
	s_delay_alu instid0(VALU_DEP_2) | instskip(NEXT) | instid1(VALU_DEP_2)
	v_add_co_ci_u32_e32 v6, vcc_lo, s15, v6, vcc_lo
	v_add_co_u32 v5, vcc_lo, v5, v0
	s_delay_alu instid0(VALU_DEP_2)
	v_add_co_ci_u32_e32 v6, vcc_lo, 0, v6, vcc_lo
	global_load_b128 v[5:8], v[5:6], off
	s_waitcnt vmcnt(0)
	ds_store_2addr_b64 v9, v[5:6], v[7:8] offset1:1
.LBB188_5:
	s_or_b32 exec_lo, exec_lo, s3
	v_cmp_eq_u32_e32 vcc_lo, v1, v4
	s_cmpk_eq_i32 s17, 0x84
	s_cselect_b32 s3, -1, 0
	s_delay_alu instid0(SALU_CYCLE_1) | instskip(NEXT) | instid1(SALU_CYCLE_1)
	s_and_b32 s14, vcc_lo, s3
	s_and_saveexec_b32 s3, s14
	s_cbranch_execz .LBB188_7
; %bb.6:
	v_dual_mov_b32 v5, 0 :: v_dual_mov_b32 v6, 0x3ff00000
	s_delay_alu instid0(VALU_DEP_1)
	v_mov_b32_e32 v7, v5
	v_mov_b32_e32 v8, v5
	ds_store_b128 v3, v[5:8]
.LBB188_7:
	s_or_b32 exec_lo, exec_lo, s3
	s_cmpk_lg_i32 s16, 0x79
	s_cbranch_scc0 .LBB188_9
; %bb.8:
	v_cmp_lt_u32_e32 vcc_lo, v4, v1
	s_and_b32 s3, vcc_lo, exec_lo
	s_cbranch_execz .LBB188_10
	s_branch .LBB188_11
.LBB188_9:
	s_mov_b32 s3, 0
.LBB188_10:
	v_cmp_gt_u32_e32 vcc_lo, v4, v1
	s_and_not1_b32 s3, s3, exec_lo
	s_and_b32 s14, vcc_lo, exec_lo
	s_delay_alu instid0(SALU_CYCLE_1)
	s_or_b32 s3, s3, s14
.LBB188_11:
	s_delay_alu instid0(SALU_CYCLE_1)
	s_and_saveexec_b32 s14, s3
	s_cbranch_execz .LBB188_13
; %bb.12:
	v_mov_b32_e32 v4, 0
	s_delay_alu instid0(VALU_DEP_1)
	v_mov_b32_e32 v5, v4
	v_mov_b32_e32 v6, v4
	;; [unrolled: 1-line block ×3, first 2 shown]
	ds_store_b128 v3, v[4:7]
.LBB188_13:
	s_or_b32 exec_lo, exec_lo, s14
	s_waitcnt lgkmcnt(0)
	s_barrier
	buffer_gl0_inv
	s_and_saveexec_b32 s3, s2
	s_cbranch_execz .LBB188_15
; %bb.14:
	ds_load_b128 v[3:6], v0 offset:4096
	ds_load_b128 v[7:10], v2
	ds_load_b128 v[11:14], v2 offset:256
	ds_load_b128 v[15:18], v0 offset:4352
	s_load_b64 s[0:1], s[0:1], 0x60
	s_waitcnt lgkmcnt(0)
	v_mul_f64 v[19:20], v[7:8], v[5:6]
	v_mul_f64 v[5:6], v[9:10], v[5:6]
	;; [unrolled: 1-line block ×4, first 2 shown]
	s_lshl_b64 s[0:1], s[0:1], 4
	s_delay_alu instid0(SALU_CYCLE_1) | instskip(SKIP_2) | instid1(SALU_CYCLE_1)
	s_add_u32 s2, s8, s0
	s_addc_u32 s3, s9, s1
	s_lshl_b64 s[0:1], s[12:13], 4
	s_add_u32 s0, s2, s0
	s_addc_u32 s1, s3, s1
	s_delay_alu instid0(VALU_DEP_4)
	v_fma_f64 v[9:10], v[9:10], v[3:4], v[19:20]
	ds_load_b128 v[19:22], v0 offset:4608
	ds_load_b128 v[23:26], v2 offset:512
	ds_load_b128 v[27:30], v2 offset:768
	ds_load_b128 v[31:34], v0 offset:4864
	v_fma_f64 v[13:14], v[13:14], v[15:16], v[35:36]
	v_fma_f64 v[3:4], v[7:8], v[3:4], -v[5:6]
	s_waitcnt lgkmcnt(2)
	v_mul_f64 v[37:38], v[23:24], v[21:22]
	v_mul_f64 v[21:22], v[25:26], v[21:22]
	s_waitcnt lgkmcnt(0)
	v_mul_f64 v[35:36], v[27:28], v[33:34]
	v_mul_f64 v[33:34], v[29:30], v[33:34]
	v_add_f64 v[5:6], v[9:10], 0
	v_add_f64 v[39:40], v[3:4], 0
	v_fma_f64 v[25:26], v[25:26], v[19:20], v[37:38]
	v_fma_f64 v[37:38], v[11:12], v[15:16], -v[17:18]
	v_fma_f64 v[29:30], v[29:30], v[31:32], v[35:36]
	v_fma_f64 v[19:20], v[23:24], v[19:20], -v[21:22]
	v_add_f64 v[41:42], v[5:6], v[13:14]
	ds_load_b128 v[3:6], v0 offset:5120
	ds_load_b128 v[7:10], v2 offset:1024
	ds_load_b128 v[11:14], v2 offset:1280
	ds_load_b128 v[15:18], v0 offset:5376
	s_waitcnt lgkmcnt(2)
	v_mul_f64 v[43:44], v[7:8], v[5:6]
	v_add_f64 v[21:22], v[39:40], v[37:38]
	s_waitcnt lgkmcnt(0)
	v_mul_f64 v[35:36], v[11:12], v[17:18]
	v_mul_f64 v[5:6], v[9:10], v[5:6]
	v_fma_f64 v[37:38], v[27:28], v[31:32], -v[33:34]
	v_mul_f64 v[17:18], v[13:14], v[17:18]
	v_add_f64 v[23:24], v[41:42], v[25:26]
	v_fma_f64 v[9:10], v[9:10], v[3:4], v[43:44]
	v_add_f64 v[39:40], v[21:22], v[19:20]
	v_fma_f64 v[13:14], v[13:14], v[15:16], v[35:36]
	v_fma_f64 v[3:4], v[7:8], v[3:4], -v[5:6]
	v_add_f64 v[41:42], v[23:24], v[29:30]
	ds_load_b128 v[19:22], v0 offset:5632
	ds_load_b128 v[23:26], v2 offset:1536
	ds_load_b128 v[27:30], v2 offset:1792
	ds_load_b128 v[31:34], v0 offset:5888
	s_waitcnt lgkmcnt(2)
	v_mul_f64 v[43:44], v[23:24], v[21:22]
	v_add_f64 v[5:6], v[39:40], v[37:38]
	s_waitcnt lgkmcnt(0)
	v_mul_f64 v[35:36], v[27:28], v[33:34]
	v_mul_f64 v[21:22], v[25:26], v[21:22]
	v_fma_f64 v[37:38], v[11:12], v[15:16], -v[17:18]
	v_mul_f64 v[33:34], v[29:30], v[33:34]
	v_add_f64 v[7:8], v[41:42], v[9:10]
	v_fma_f64 v[25:26], v[25:26], v[19:20], v[43:44]
	v_add_f64 v[39:40], v[5:6], v[3:4]
	;; [unrolled: 18-line block ×5, first 2 shown]
	v_fma_f64 v[13:14], v[13:14], v[15:16], v[35:36]
	s_delay_alu instid0(VALU_DEP_4)
	v_add_f64 v[41:42], v[23:24], v[29:30]
	ds_load_b128 v[19:22], v0 offset:7680
	ds_load_b128 v[23:26], v2 offset:3584
	ds_load_b128 v[27:30], v2 offset:3840
	ds_load_b128 v[31:34], v0 offset:7936
	v_fma_f64 v[2:3], v[7:8], v[3:4], -v[5:6]
	s_waitcnt lgkmcnt(2)
	v_mul_f64 v[43:44], v[23:24], v[21:22]
	v_add_f64 v[4:5], v[39:40], v[37:38]
	v_mul_f64 v[21:22], v[25:26], v[21:22]
	v_add_f64 v[6:7], v[41:42], v[9:10]
	s_waitcnt lgkmcnt(0)
	v_mul_f64 v[8:9], v[27:28], v[33:34]
	v_fma_f64 v[10:11], v[11:12], v[15:16], -v[17:18]
	v_fma_f64 v[25:26], v[25:26], v[19:20], v[43:44]
	v_add_f64 v[2:3], v[4:5], v[2:3]
	v_add_f64 v[4:5], v[6:7], v[13:14]
	v_mul_f64 v[6:7], v[29:30], v[33:34]
	v_fma_f64 v[8:9], v[29:30], v[31:32], v[8:9]
	v_fma_f64 v[12:13], v[23:24], v[19:20], -v[21:22]
	v_add_f64 v[2:3], v[2:3], v[10:11]
	v_mad_u64_u32 v[10:11], null, v1, s10, 0
	v_add_f64 v[4:5], v[4:5], v[25:26]
	v_fma_f64 v[6:7], v[27:28], v[31:32], -v[6:7]
	s_delay_alu instid0(VALU_DEP_4) | instskip(NEXT) | instid1(VALU_DEP_3)
	v_add_f64 v[2:3], v[2:3], v[12:13]
	v_add_f64 v[4:5], v[4:5], v[8:9]
	s_delay_alu instid0(VALU_DEP_2) | instskip(NEXT) | instid1(VALU_DEP_2)
	v_add_f64 v[2:3], v[2:3], v[6:7]
	v_mul_f64 v[6:7], s[4:5], v[4:5]
	v_mul_f64 v[8:9], s[6:7], v[4:5]
	s_delay_alu instid0(VALU_DEP_2) | instskip(NEXT) | instid1(VALU_DEP_2)
	v_fma_f64 v[4:5], s[6:7], v[2:3], v[6:7]
	v_fma_f64 v[2:3], s[4:5], v[2:3], -v[8:9]
	v_mov_b32_e32 v6, v11
	s_delay_alu instid0(VALU_DEP_1) | instskip(NEXT) | instid1(VALU_DEP_1)
	v_mad_u64_u32 v[7:8], null, v1, s11, v[6:7]
	v_mov_b32_e32 v11, v7
	s_delay_alu instid0(VALU_DEP_1) | instskip(NEXT) | instid1(VALU_DEP_1)
	v_lshlrev_b64 v[6:7], 4, v[10:11]
	v_add_co_u32 v1, vcc_lo, s0, v6
	s_delay_alu instid0(VALU_DEP_2) | instskip(NEXT) | instid1(VALU_DEP_2)
	v_add_co_ci_u32_e32 v6, vcc_lo, s1, v7, vcc_lo
	v_add_co_u32 v0, vcc_lo, v1, v0
	s_delay_alu instid0(VALU_DEP_2)
	v_add_co_ci_u32_e32 v1, vcc_lo, 0, v6, vcc_lo
	global_store_b128 v[0:1], v[2:5], off
.LBB188_15:
	s_nop 0
	s_sendmsg sendmsg(MSG_DEALLOC_VGPRS)
	s_endpgm
	.section	.rodata,"a",@progbits
	.p2align	6, 0x0
	.amdhsa_kernel _ZL23rocblas_trmm_rTx_kernelILi16ELb0E19rocblas_complex_numIdEPKS1_KS3_KPS1_Ev13rocblas_fill_17rocblas_diagonal_iiT2_lPT3_llSB_llPT4_lli
		.amdhsa_group_segment_fixed_size 8192
		.amdhsa_private_segment_fixed_size 0
		.amdhsa_kernarg_size 108
		.amdhsa_user_sgpr_count 14
		.amdhsa_user_sgpr_dispatch_ptr 0
		.amdhsa_user_sgpr_queue_ptr 0
		.amdhsa_user_sgpr_kernarg_segment_ptr 1
		.amdhsa_user_sgpr_dispatch_id 0
		.amdhsa_user_sgpr_private_segment_size 0
		.amdhsa_wavefront_size32 1
		.amdhsa_uses_dynamic_stack 0
		.amdhsa_enable_private_segment 0
		.amdhsa_system_sgpr_workgroup_id_x 1
		.amdhsa_system_sgpr_workgroup_id_y 0
		.amdhsa_system_sgpr_workgroup_id_z 1
		.amdhsa_system_sgpr_workgroup_info 0
		.amdhsa_system_vgpr_workitem_id 1
		.amdhsa_next_free_vgpr 45
		.amdhsa_next_free_sgpr 40
		.amdhsa_reserve_vcc 1
		.amdhsa_float_round_mode_32 0
		.amdhsa_float_round_mode_16_64 0
		.amdhsa_float_denorm_mode_32 3
		.amdhsa_float_denorm_mode_16_64 3
		.amdhsa_dx10_clamp 1
		.amdhsa_ieee_mode 1
		.amdhsa_fp16_overflow 0
		.amdhsa_workgroup_processor_mode 1
		.amdhsa_memory_ordered 1
		.amdhsa_forward_progress 0
		.amdhsa_shared_vgpr_count 0
		.amdhsa_exception_fp_ieee_invalid_op 0
		.amdhsa_exception_fp_denorm_src 0
		.amdhsa_exception_fp_ieee_div_zero 0
		.amdhsa_exception_fp_ieee_overflow 0
		.amdhsa_exception_fp_ieee_underflow 0
		.amdhsa_exception_fp_ieee_inexact 0
		.amdhsa_exception_int_div_zero 0
	.end_amdhsa_kernel
	.section	.text._ZL23rocblas_trmm_rTx_kernelILi16ELb0E19rocblas_complex_numIdEPKS1_KS3_KPS1_Ev13rocblas_fill_17rocblas_diagonal_iiT2_lPT3_llSB_llPT4_lli,"axG",@progbits,_ZL23rocblas_trmm_rTx_kernelILi16ELb0E19rocblas_complex_numIdEPKS1_KS3_KPS1_Ev13rocblas_fill_17rocblas_diagonal_iiT2_lPT3_llSB_llPT4_lli,comdat
.Lfunc_end188:
	.size	_ZL23rocblas_trmm_rTx_kernelILi16ELb0E19rocblas_complex_numIdEPKS1_KS3_KPS1_Ev13rocblas_fill_17rocblas_diagonal_iiT2_lPT3_llSB_llPT4_lli, .Lfunc_end188-_ZL23rocblas_trmm_rTx_kernelILi16ELb0E19rocblas_complex_numIdEPKS1_KS3_KPS1_Ev13rocblas_fill_17rocblas_diagonal_iiT2_lPT3_llSB_llPT4_lli
                                        ; -- End function
	.section	.AMDGPU.csdata,"",@progbits
; Kernel info:
; codeLenInByte = 2044
; NumSgprs: 42
; NumVgprs: 45
; ScratchSize: 0
; MemoryBound: 0
; FloatMode: 240
; IeeeMode: 1
; LDSByteSize: 8192 bytes/workgroup (compile time only)
; SGPRBlocks: 5
; VGPRBlocks: 5
; NumSGPRsForWavesPerEU: 42
; NumVGPRsForWavesPerEU: 45
; Occupancy: 16
; WaveLimiterHint : 1
; COMPUTE_PGM_RSRC2:SCRATCH_EN: 0
; COMPUTE_PGM_RSRC2:USER_SGPR: 14
; COMPUTE_PGM_RSRC2:TRAP_HANDLER: 0
; COMPUTE_PGM_RSRC2:TGID_X_EN: 1
; COMPUTE_PGM_RSRC2:TGID_Y_EN: 0
; COMPUTE_PGM_RSRC2:TGID_Z_EN: 1
; COMPUTE_PGM_RSRC2:TIDIG_COMP_CNT: 1
	.section	.text._ZL23rocblas_trmm_rTx_kernelILi16ELb0E19rocblas_complex_numIdES1_KPKS1_KPS1_Ev13rocblas_fill_17rocblas_diagonal_iiT2_lPT3_llSB_llPT4_lli,"axG",@progbits,_ZL23rocblas_trmm_rTx_kernelILi16ELb0E19rocblas_complex_numIdES1_KPKS1_KPS1_Ev13rocblas_fill_17rocblas_diagonal_iiT2_lPT3_llSB_llPT4_lli,comdat
	.globl	_ZL23rocblas_trmm_rTx_kernelILi16ELb0E19rocblas_complex_numIdES1_KPKS1_KPS1_Ev13rocblas_fill_17rocblas_diagonal_iiT2_lPT3_llSB_llPT4_lli ; -- Begin function _ZL23rocblas_trmm_rTx_kernelILi16ELb0E19rocblas_complex_numIdES1_KPKS1_KPS1_Ev13rocblas_fill_17rocblas_diagonal_iiT2_lPT3_llSB_llPT4_lli
	.p2align	8
	.type	_ZL23rocblas_trmm_rTx_kernelILi16ELb0E19rocblas_complex_numIdES1_KPKS1_KPS1_Ev13rocblas_fill_17rocblas_diagonal_iiT2_lPT3_llSB_llPT4_lli,@function
_ZL23rocblas_trmm_rTx_kernelILi16ELb0E19rocblas_complex_numIdES1_KPKS1_KPS1_Ev13rocblas_fill_17rocblas_diagonal_iiT2_lPT3_llSB_llPT4_lli: ; @_ZL23rocblas_trmm_rTx_kernelILi16ELb0E19rocblas_complex_numIdES1_KPKS1_KPS1_Ev13rocblas_fill_17rocblas_diagonal_iiT2_lPT3_llSB_llPT4_lli
; %bb.0:
	s_load_b128 s[4:7], s[0:1], 0x10
	s_waitcnt lgkmcnt(0)
	v_cmp_neq_f64_e64 s2, s[4:5], 0
	v_cmp_neq_f64_e64 s3, s[6:7], 0
	s_delay_alu instid0(VALU_DEP_1) | instskip(NEXT) | instid1(SALU_CYCLE_1)
	s_or_b32 s2, s2, s3
	s_and_not1_b32 vcc_lo, exec_lo, s2
	s_cbranch_vccnz .LBB189_15
; %bb.1:
	s_clause 0x1
	s_load_b512 s[16:31], s[0:1], 0x28
	s_load_b128 s[8:11], s[0:1], 0x0
	s_mov_b32 s36, s15
	s_mov_b32 s37, 0
	v_bfe_u32 v1, v0, 10, 10
	s_lshl_b64 s[34:35], s[36:37], 3
	s_mov_b32 s36, s37
	s_mov_b32 s38, s37
	;; [unrolled: 1-line block ×3, first 2 shown]
	v_dual_mov_b32 v5, s36 :: v_dual_and_b32 v4, 0x3ff, v0
	v_dual_mov_b32 v7, s38 :: v_dual_lshlrev_b32 v2, 4, v1
	v_mov_b32_e32 v6, s37
	v_mov_b32_e32 v8, s39
	s_delay_alu instid0(VALU_DEP_4) | instskip(NEXT) | instid1(VALU_DEP_4)
	v_lshlrev_b32_e32 v0, 4, v4
	v_add_lshl_u32 v3, v2, v4, 4
	s_waitcnt lgkmcnt(0)
	s_add_u32 s2, s22, s34
	s_addc_u32 s3, s23, s35
	s_add_u32 s12, s28, s34
	s_addc_u32 s13, s29, s35
	s_load_b64 s[22:23], s[2:3], 0x0
	s_load_b64 s[12:13], s[12:13], 0x0
	v_cmp_gt_i32_e32 vcc_lo, s11, v1
	v_cmp_gt_i32_e64 s2, s11, v4
	ds_store_b128 v3, v[5:8]
	ds_store_b128 v3, v[5:8] offset:4096
	s_and_b32 s2, vcc_lo, s2
	s_delay_alu instid0(SALU_CYCLE_1)
	s_and_saveexec_b32 s3, s2
	s_cbranch_execz .LBB189_3
; %bb.2:
	v_mad_u64_u32 v[5:6], null, v1, s18, 0
	s_add_u32 s16, s16, s34
	s_addc_u32 s17, s17, s35
	s_load_b64 s[16:17], s[16:17], 0x0
	s_delay_alu instid0(VALU_DEP_1) | instskip(SKIP_1) | instid1(VALU_DEP_1)
	v_mad_u64_u32 v[7:8], null, v1, s19, v[6:7]
	s_lshl_b64 s[18:19], s[20:21], 4
	v_mov_b32_e32 v6, v7
	s_delay_alu instid0(VALU_DEP_1) | instskip(SKIP_3) | instid1(VALU_DEP_1)
	v_lshlrev_b64 v[5:6], 4, v[5:6]
	s_waitcnt lgkmcnt(0)
	s_add_u32 s2, s16, s18
	s_addc_u32 s11, s17, s19
	v_add_co_u32 v5, s2, s2, v5
	s_delay_alu instid0(VALU_DEP_1) | instskip(NEXT) | instid1(VALU_DEP_2)
	v_add_co_ci_u32_e64 v6, s2, s11, v6, s2
	v_add_co_u32 v5, s2, v5, v0
	s_delay_alu instid0(VALU_DEP_1)
	v_add_co_ci_u32_e64 v6, s2, 0, v6, s2
	global_load_b128 v[5:8], v[5:6], off
	s_waitcnt vmcnt(0)
	ds_store_2addr_b64 v3, v[5:6], v[7:8] offset1:1
.LBB189_3:
	s_or_b32 exec_lo, exec_lo, s3
	s_add_i32 s2, s10, -1
	s_delay_alu instid0(SALU_CYCLE_1) | instskip(NEXT) | instid1(SALU_CYCLE_1)
	s_ashr_i32 s3, s2, 31
	s_lshr_b32 s3, s3, 28
	s_delay_alu instid0(SALU_CYCLE_1) | instskip(NEXT) | instid1(SALU_CYCLE_1)
	s_add_i32 s2, s2, s3
	s_and_b32 s3, s2, -16
	s_ashr_i32 s2, s2, 4
	s_sub_i32 s3, s10, s3
	s_cmp_ge_i32 s14, s2
	s_cselect_b32 s2, s3, 16
	s_lshl_b32 s10, s14, 4
	v_cmp_gt_i32_e64 s2, s2, v4
	s_ashr_i32 s11, s10, 31
	s_delay_alu instid0(VALU_DEP_1) | instskip(NEXT) | instid1(SALU_CYCLE_1)
	s_and_b32 s2, vcc_lo, s2
	s_and_saveexec_b32 s3, s2
	s_cbranch_execz .LBB189_5
; %bb.4:
	v_mad_u64_u32 v[5:6], null, v1, s24, 0
	s_lshl_b64 s[14:15], s[26:27], 4
	v_add_nc_u32_e32 v9, 0x1000, v3
	s_waitcnt lgkmcnt(0)
	s_add_u32 s16, s22, s14
	s_addc_u32 s17, s23, s15
	s_lshl_b64 s[14:15], s[10:11], 4
	s_delay_alu instid0(VALU_DEP_2) | instskip(SKIP_2) | instid1(VALU_DEP_1)
	v_mad_u64_u32 v[7:8], null, v1, s25, v[6:7]
	s_add_u32 s14, s16, s14
	s_addc_u32 s15, s17, s15
	v_mov_b32_e32 v6, v7
	s_delay_alu instid0(VALU_DEP_1) | instskip(NEXT) | instid1(VALU_DEP_1)
	v_lshlrev_b64 v[5:6], 4, v[5:6]
	v_add_co_u32 v5, vcc_lo, s14, v5
	s_delay_alu instid0(VALU_DEP_2) | instskip(NEXT) | instid1(VALU_DEP_2)
	v_add_co_ci_u32_e32 v6, vcc_lo, s15, v6, vcc_lo
	v_add_co_u32 v5, vcc_lo, v5, v0
	s_delay_alu instid0(VALU_DEP_2)
	v_add_co_ci_u32_e32 v6, vcc_lo, 0, v6, vcc_lo
	global_load_b128 v[5:8], v[5:6], off
	s_waitcnt vmcnt(0)
	ds_store_2addr_b64 v9, v[5:6], v[7:8] offset1:1
.LBB189_5:
	s_or_b32 exec_lo, exec_lo, s3
	v_cmp_eq_u32_e32 vcc_lo, v1, v4
	s_cmpk_eq_i32 s9, 0x84
	s_cselect_b32 s3, -1, 0
	s_delay_alu instid0(SALU_CYCLE_1) | instskip(NEXT) | instid1(SALU_CYCLE_1)
	s_and_b32 s9, vcc_lo, s3
	s_and_saveexec_b32 s3, s9
	s_cbranch_execz .LBB189_7
; %bb.6:
	v_dual_mov_b32 v5, 0 :: v_dual_mov_b32 v6, 0x3ff00000
	s_delay_alu instid0(VALU_DEP_1)
	v_mov_b32_e32 v7, v5
	v_mov_b32_e32 v8, v5
	ds_store_b128 v3, v[5:8]
.LBB189_7:
	s_or_b32 exec_lo, exec_lo, s3
	s_cmpk_lg_i32 s8, 0x79
	s_cbranch_scc0 .LBB189_9
; %bb.8:
	v_cmp_lt_u32_e32 vcc_lo, v4, v1
	s_and_b32 s3, vcc_lo, exec_lo
	s_cbranch_execz .LBB189_10
	s_branch .LBB189_11
.LBB189_9:
	s_mov_b32 s3, 0
.LBB189_10:
	v_cmp_gt_u32_e32 vcc_lo, v4, v1
	s_and_not1_b32 s3, s3, exec_lo
	s_and_b32 s8, vcc_lo, exec_lo
	s_delay_alu instid0(SALU_CYCLE_1)
	s_or_b32 s3, s3, s8
.LBB189_11:
	s_delay_alu instid0(SALU_CYCLE_1)
	s_and_saveexec_b32 s8, s3
	s_cbranch_execz .LBB189_13
; %bb.12:
	v_mov_b32_e32 v4, 0
	s_delay_alu instid0(VALU_DEP_1)
	v_mov_b32_e32 v5, v4
	v_mov_b32_e32 v6, v4
	;; [unrolled: 1-line block ×3, first 2 shown]
	ds_store_b128 v3, v[4:7]
.LBB189_13:
	s_or_b32 exec_lo, exec_lo, s8
	s_waitcnt lgkmcnt(0)
	s_barrier
	buffer_gl0_inv
	s_and_saveexec_b32 s3, s2
	s_cbranch_execz .LBB189_15
; %bb.14:
	ds_load_b128 v[3:6], v0 offset:4096
	ds_load_b128 v[7:10], v2
	ds_load_b128 v[11:14], v2 offset:256
	ds_load_b128 v[15:18], v0 offset:4352
	s_load_b64 s[0:1], s[0:1], 0x68
	s_waitcnt lgkmcnt(0)
	v_mul_f64 v[19:20], v[7:8], v[5:6]
	v_mul_f64 v[5:6], v[9:10], v[5:6]
	;; [unrolled: 1-line block ×4, first 2 shown]
	s_lshl_b64 s[0:1], s[0:1], 4
	s_delay_alu instid0(SALU_CYCLE_1) | instskip(SKIP_2) | instid1(SALU_CYCLE_1)
	s_add_u32 s2, s12, s0
	s_addc_u32 s3, s13, s1
	s_lshl_b64 s[0:1], s[10:11], 4
	s_add_u32 s0, s2, s0
	s_addc_u32 s1, s3, s1
	s_delay_alu instid0(VALU_DEP_4)
	v_fma_f64 v[9:10], v[9:10], v[3:4], v[19:20]
	ds_load_b128 v[19:22], v0 offset:4608
	ds_load_b128 v[23:26], v2 offset:512
	;; [unrolled: 1-line block ×4, first 2 shown]
	v_fma_f64 v[13:14], v[13:14], v[15:16], v[35:36]
	v_fma_f64 v[3:4], v[7:8], v[3:4], -v[5:6]
	s_waitcnt lgkmcnt(2)
	v_mul_f64 v[37:38], v[23:24], v[21:22]
	v_mul_f64 v[21:22], v[25:26], v[21:22]
	s_waitcnt lgkmcnt(0)
	v_mul_f64 v[35:36], v[27:28], v[33:34]
	v_mul_f64 v[33:34], v[29:30], v[33:34]
	v_add_f64 v[5:6], v[9:10], 0
	v_add_f64 v[39:40], v[3:4], 0
	v_fma_f64 v[25:26], v[25:26], v[19:20], v[37:38]
	v_fma_f64 v[37:38], v[11:12], v[15:16], -v[17:18]
	v_fma_f64 v[29:30], v[29:30], v[31:32], v[35:36]
	v_fma_f64 v[19:20], v[23:24], v[19:20], -v[21:22]
	v_add_f64 v[41:42], v[5:6], v[13:14]
	ds_load_b128 v[3:6], v0 offset:5120
	ds_load_b128 v[7:10], v2 offset:1024
	ds_load_b128 v[11:14], v2 offset:1280
	ds_load_b128 v[15:18], v0 offset:5376
	s_waitcnt lgkmcnt(2)
	v_mul_f64 v[43:44], v[7:8], v[5:6]
	v_add_f64 v[21:22], v[39:40], v[37:38]
	s_waitcnt lgkmcnt(0)
	v_mul_f64 v[35:36], v[11:12], v[17:18]
	v_mul_f64 v[5:6], v[9:10], v[5:6]
	v_fma_f64 v[37:38], v[27:28], v[31:32], -v[33:34]
	v_mul_f64 v[17:18], v[13:14], v[17:18]
	v_add_f64 v[23:24], v[41:42], v[25:26]
	v_fma_f64 v[9:10], v[9:10], v[3:4], v[43:44]
	v_add_f64 v[39:40], v[21:22], v[19:20]
	v_fma_f64 v[13:14], v[13:14], v[15:16], v[35:36]
	v_fma_f64 v[3:4], v[7:8], v[3:4], -v[5:6]
	v_add_f64 v[41:42], v[23:24], v[29:30]
	ds_load_b128 v[19:22], v0 offset:5632
	ds_load_b128 v[23:26], v2 offset:1536
	ds_load_b128 v[27:30], v2 offset:1792
	ds_load_b128 v[31:34], v0 offset:5888
	s_waitcnt lgkmcnt(2)
	v_mul_f64 v[43:44], v[23:24], v[21:22]
	v_add_f64 v[5:6], v[39:40], v[37:38]
	s_waitcnt lgkmcnt(0)
	v_mul_f64 v[35:36], v[27:28], v[33:34]
	v_mul_f64 v[21:22], v[25:26], v[21:22]
	v_fma_f64 v[37:38], v[11:12], v[15:16], -v[17:18]
	v_mul_f64 v[33:34], v[29:30], v[33:34]
	v_add_f64 v[7:8], v[41:42], v[9:10]
	v_fma_f64 v[25:26], v[25:26], v[19:20], v[43:44]
	v_add_f64 v[39:40], v[5:6], v[3:4]
	;; [unrolled: 18-line block ×5, first 2 shown]
	v_fma_f64 v[13:14], v[13:14], v[15:16], v[35:36]
	s_delay_alu instid0(VALU_DEP_4)
	v_add_f64 v[41:42], v[23:24], v[29:30]
	ds_load_b128 v[19:22], v0 offset:7680
	ds_load_b128 v[23:26], v2 offset:3584
	ds_load_b128 v[27:30], v2 offset:3840
	ds_load_b128 v[31:34], v0 offset:7936
	v_fma_f64 v[2:3], v[7:8], v[3:4], -v[5:6]
	s_waitcnt lgkmcnt(2)
	v_mul_f64 v[43:44], v[23:24], v[21:22]
	v_add_f64 v[4:5], v[39:40], v[37:38]
	v_mul_f64 v[21:22], v[25:26], v[21:22]
	v_add_f64 v[6:7], v[41:42], v[9:10]
	s_waitcnt lgkmcnt(0)
	v_mul_f64 v[8:9], v[27:28], v[33:34]
	v_fma_f64 v[10:11], v[11:12], v[15:16], -v[17:18]
	v_fma_f64 v[25:26], v[25:26], v[19:20], v[43:44]
	v_add_f64 v[2:3], v[4:5], v[2:3]
	v_add_f64 v[4:5], v[6:7], v[13:14]
	v_mul_f64 v[6:7], v[29:30], v[33:34]
	v_fma_f64 v[8:9], v[29:30], v[31:32], v[8:9]
	v_fma_f64 v[12:13], v[23:24], v[19:20], -v[21:22]
	v_add_f64 v[2:3], v[2:3], v[10:11]
	v_mad_u64_u32 v[10:11], null, v1, s30, 0
	v_add_f64 v[4:5], v[4:5], v[25:26]
	v_fma_f64 v[6:7], v[27:28], v[31:32], -v[6:7]
	s_delay_alu instid0(VALU_DEP_4) | instskip(NEXT) | instid1(VALU_DEP_3)
	v_add_f64 v[2:3], v[2:3], v[12:13]
	v_add_f64 v[4:5], v[4:5], v[8:9]
	s_delay_alu instid0(VALU_DEP_2) | instskip(NEXT) | instid1(VALU_DEP_2)
	v_add_f64 v[2:3], v[2:3], v[6:7]
	v_mul_f64 v[6:7], s[4:5], v[4:5]
	v_mul_f64 v[8:9], s[6:7], v[4:5]
	s_delay_alu instid0(VALU_DEP_2) | instskip(NEXT) | instid1(VALU_DEP_2)
	v_fma_f64 v[4:5], s[6:7], v[2:3], v[6:7]
	v_fma_f64 v[2:3], s[4:5], v[2:3], -v[8:9]
	v_mov_b32_e32 v6, v11
	s_delay_alu instid0(VALU_DEP_1) | instskip(NEXT) | instid1(VALU_DEP_1)
	v_mad_u64_u32 v[7:8], null, v1, s31, v[6:7]
	v_mov_b32_e32 v11, v7
	s_delay_alu instid0(VALU_DEP_1) | instskip(NEXT) | instid1(VALU_DEP_1)
	v_lshlrev_b64 v[6:7], 4, v[10:11]
	v_add_co_u32 v1, vcc_lo, s0, v6
	s_delay_alu instid0(VALU_DEP_2) | instskip(NEXT) | instid1(VALU_DEP_2)
	v_add_co_ci_u32_e32 v6, vcc_lo, s1, v7, vcc_lo
	v_add_co_u32 v0, vcc_lo, v1, v0
	s_delay_alu instid0(VALU_DEP_2)
	v_add_co_ci_u32_e32 v1, vcc_lo, 0, v6, vcc_lo
	global_store_b128 v[0:1], v[2:5], off
.LBB189_15:
	s_nop 0
	s_sendmsg sendmsg(MSG_DEALLOC_VGPRS)
	s_endpgm
	.section	.rodata,"a",@progbits
	.p2align	6, 0x0
	.amdhsa_kernel _ZL23rocblas_trmm_rTx_kernelILi16ELb0E19rocblas_complex_numIdES1_KPKS1_KPS1_Ev13rocblas_fill_17rocblas_diagonal_iiT2_lPT3_llSB_llPT4_lli
		.amdhsa_group_segment_fixed_size 8192
		.amdhsa_private_segment_fixed_size 0
		.amdhsa_kernarg_size 116
		.amdhsa_user_sgpr_count 14
		.amdhsa_user_sgpr_dispatch_ptr 0
		.amdhsa_user_sgpr_queue_ptr 0
		.amdhsa_user_sgpr_kernarg_segment_ptr 1
		.amdhsa_user_sgpr_dispatch_id 0
		.amdhsa_user_sgpr_private_segment_size 0
		.amdhsa_wavefront_size32 1
		.amdhsa_uses_dynamic_stack 0
		.amdhsa_enable_private_segment 0
		.amdhsa_system_sgpr_workgroup_id_x 1
		.amdhsa_system_sgpr_workgroup_id_y 0
		.amdhsa_system_sgpr_workgroup_id_z 1
		.amdhsa_system_sgpr_workgroup_info 0
		.amdhsa_system_vgpr_workitem_id 1
		.amdhsa_next_free_vgpr 45
		.amdhsa_next_free_sgpr 40
		.amdhsa_reserve_vcc 1
		.amdhsa_float_round_mode_32 0
		.amdhsa_float_round_mode_16_64 0
		.amdhsa_float_denorm_mode_32 3
		.amdhsa_float_denorm_mode_16_64 3
		.amdhsa_dx10_clamp 1
		.amdhsa_ieee_mode 1
		.amdhsa_fp16_overflow 0
		.amdhsa_workgroup_processor_mode 1
		.amdhsa_memory_ordered 1
		.amdhsa_forward_progress 0
		.amdhsa_shared_vgpr_count 0
		.amdhsa_exception_fp_ieee_invalid_op 0
		.amdhsa_exception_fp_denorm_src 0
		.amdhsa_exception_fp_ieee_div_zero 0
		.amdhsa_exception_fp_ieee_overflow 0
		.amdhsa_exception_fp_ieee_underflow 0
		.amdhsa_exception_fp_ieee_inexact 0
		.amdhsa_exception_int_div_zero 0
	.end_amdhsa_kernel
	.section	.text._ZL23rocblas_trmm_rTx_kernelILi16ELb0E19rocblas_complex_numIdES1_KPKS1_KPS1_Ev13rocblas_fill_17rocblas_diagonal_iiT2_lPT3_llSB_llPT4_lli,"axG",@progbits,_ZL23rocblas_trmm_rTx_kernelILi16ELb0E19rocblas_complex_numIdES1_KPKS1_KPS1_Ev13rocblas_fill_17rocblas_diagonal_iiT2_lPT3_llSB_llPT4_lli,comdat
.Lfunc_end189:
	.size	_ZL23rocblas_trmm_rTx_kernelILi16ELb0E19rocblas_complex_numIdES1_KPKS1_KPS1_Ev13rocblas_fill_17rocblas_diagonal_iiT2_lPT3_llSB_llPT4_lli, .Lfunc_end189-_ZL23rocblas_trmm_rTx_kernelILi16ELb0E19rocblas_complex_numIdES1_KPKS1_KPS1_Ev13rocblas_fill_17rocblas_diagonal_iiT2_lPT3_llSB_llPT4_lli
                                        ; -- End function
	.section	.AMDGPU.csdata,"",@progbits
; Kernel info:
; codeLenInByte = 2000
; NumSgprs: 42
; NumVgprs: 45
; ScratchSize: 0
; MemoryBound: 0
; FloatMode: 240
; IeeeMode: 1
; LDSByteSize: 8192 bytes/workgroup (compile time only)
; SGPRBlocks: 5
; VGPRBlocks: 5
; NumSGPRsForWavesPerEU: 42
; NumVGPRsForWavesPerEU: 45
; Occupancy: 16
; WaveLimiterHint : 1
; COMPUTE_PGM_RSRC2:SCRATCH_EN: 0
; COMPUTE_PGM_RSRC2:USER_SGPR: 14
; COMPUTE_PGM_RSRC2:TRAP_HANDLER: 0
; COMPUTE_PGM_RSRC2:TGID_X_EN: 1
; COMPUTE_PGM_RSRC2:TGID_Y_EN: 0
; COMPUTE_PGM_RSRC2:TGID_Z_EN: 1
; COMPUTE_PGM_RSRC2:TIDIG_COMP_CNT: 1
	.section	.text._ZL23rocblas_trmm_rTx_kernelILi16ELb1E19rocblas_complex_numIdEPKS1_KS3_KPS1_Ev13rocblas_fill_17rocblas_diagonal_iiT2_lPT3_llSB_llPT4_lli,"axG",@progbits,_ZL23rocblas_trmm_rTx_kernelILi16ELb1E19rocblas_complex_numIdEPKS1_KS3_KPS1_Ev13rocblas_fill_17rocblas_diagonal_iiT2_lPT3_llSB_llPT4_lli,comdat
	.globl	_ZL23rocblas_trmm_rTx_kernelILi16ELb1E19rocblas_complex_numIdEPKS1_KS3_KPS1_Ev13rocblas_fill_17rocblas_diagonal_iiT2_lPT3_llSB_llPT4_lli ; -- Begin function _ZL23rocblas_trmm_rTx_kernelILi16ELb1E19rocblas_complex_numIdEPKS1_KS3_KPS1_Ev13rocblas_fill_17rocblas_diagonal_iiT2_lPT3_llSB_llPT4_lli
	.p2align	8
	.type	_ZL23rocblas_trmm_rTx_kernelILi16ELb1E19rocblas_complex_numIdEPKS1_KS3_KPS1_Ev13rocblas_fill_17rocblas_diagonal_iiT2_lPT3_llSB_llPT4_lli,@function
_ZL23rocblas_trmm_rTx_kernelILi16ELb1E19rocblas_complex_numIdEPKS1_KS3_KPS1_Ev13rocblas_fill_17rocblas_diagonal_iiT2_lPT3_llSB_llPT4_lli: ; @_ZL23rocblas_trmm_rTx_kernelILi16ELb1E19rocblas_complex_numIdEPKS1_KS3_KPS1_Ev13rocblas_fill_17rocblas_diagonal_iiT2_lPT3_llSB_llPT4_lli
; %bb.0:
	s_load_b512 s[16:31], s[0:1], 0x10
	s_waitcnt lgkmcnt(0)
	s_mul_i32 s3, s15, s19
	s_mul_hi_u32 s4, s15, s18
	s_mul_i32 s2, s15, s18
	s_add_i32 s3, s4, s3
	s_delay_alu instid0(SALU_CYCLE_1) | instskip(NEXT) | instid1(SALU_CYCLE_1)
	s_lshl_b64 s[2:3], s[2:3], 4
	s_add_u32 s2, s16, s2
	s_addc_u32 s3, s17, s3
	s_load_b128 s[4:7], s[2:3], 0x0
	s_waitcnt lgkmcnt(0)
	v_cmp_neq_f64_e64 s2, s[4:5], 0
	v_cmp_neq_f64_e64 s3, s[6:7], 0
	s_delay_alu instid0(VALU_DEP_1) | instskip(NEXT) | instid1(SALU_CYCLE_1)
	s_or_b32 s2, s2, s3
	s_and_not1_b32 vcc_lo, exec_lo, s2
	s_cbranch_vccnz .LBB190_15
; %bb.1:
	s_clause 0x1
	s_load_b128 s[8:11], s[0:1], 0x50
	s_load_b128 s[16:19], s[0:1], 0x0
	s_mov_b32 s36, s15
	s_mov_b32 s37, 0
	v_bfe_u32 v1, v0, 10, 10
	s_lshl_b64 s[12:13], s[36:37], 3
	s_mov_b32 s36, s37
	s_add_u32 s2, s26, s12
	s_addc_u32 s3, s27, s13
	s_mov_b32 s38, s37
	s_mov_b32 s39, s37
	v_dual_mov_b32 v5, s36 :: v_dual_and_b32 v4, 0x3ff, v0
	v_dual_mov_b32 v7, s38 :: v_dual_lshlrev_b32 v2, 4, v1
	v_mov_b32_e32 v6, s37
	v_mov_b32_e32 v8, s39
	s_delay_alu instid0(VALU_DEP_4) | instskip(NEXT) | instid1(VALU_DEP_4)
	v_lshlrev_b32_e32 v0, 4, v4
	v_add_lshl_u32 v3, v2, v4, 4
	s_waitcnt lgkmcnt(0)
	s_add_u32 s8, s8, s12
	s_addc_u32 s9, s9, s13
	s_load_b64 s[26:27], s[2:3], 0x0
	s_load_b64 s[8:9], s[8:9], 0x0
	v_cmp_gt_i32_e32 vcc_lo, s19, v1
	v_cmp_gt_i32_e64 s2, s19, v4
	ds_store_b128 v3, v[5:8]
	ds_store_b128 v3, v[5:8] offset:4096
	s_and_b32 s2, vcc_lo, s2
	s_delay_alu instid0(SALU_CYCLE_1)
	s_and_saveexec_b32 s3, s2
	s_cbranch_execz .LBB190_3
; %bb.2:
	v_mad_u64_u32 v[5:6], null, v1, s22, 0
	s_add_u32 s12, s20, s12
	s_addc_u32 s13, s21, s13
	s_lshl_b64 s[20:21], s[24:25], 4
	s_load_b64 s[12:13], s[12:13], 0x0
	s_delay_alu instid0(VALU_DEP_1) | instskip(NEXT) | instid1(VALU_DEP_1)
	v_mad_u64_u32 v[7:8], null, v1, s23, v[6:7]
	v_mov_b32_e32 v6, v7
	s_delay_alu instid0(VALU_DEP_1) | instskip(SKIP_3) | instid1(VALU_DEP_1)
	v_lshlrev_b64 v[5:6], 4, v[5:6]
	s_waitcnt lgkmcnt(0)
	s_add_u32 s2, s12, s20
	s_addc_u32 s12, s13, s21
	v_add_co_u32 v5, s2, s2, v5
	s_delay_alu instid0(VALU_DEP_1) | instskip(NEXT) | instid1(VALU_DEP_2)
	v_add_co_ci_u32_e64 v6, s2, s12, v6, s2
	v_add_co_u32 v5, s2, v5, v0
	s_delay_alu instid0(VALU_DEP_1)
	v_add_co_ci_u32_e64 v6, s2, 0, v6, s2
	global_load_b128 v[5:8], v[5:6], off
	s_waitcnt vmcnt(0)
	v_xor_b32_e32 v8, 0x80000000, v8
	ds_store_b128 v3, v[5:8]
.LBB190_3:
	s_or_b32 exec_lo, exec_lo, s3
	s_add_i32 s2, s18, -1
	s_delay_alu instid0(SALU_CYCLE_1) | instskip(NEXT) | instid1(SALU_CYCLE_1)
	s_ashr_i32 s3, s2, 31
	s_lshr_b32 s3, s3, 28
	s_delay_alu instid0(SALU_CYCLE_1) | instskip(NEXT) | instid1(SALU_CYCLE_1)
	s_add_i32 s2, s2, s3
	s_and_b32 s3, s2, -16
	s_ashr_i32 s2, s2, 4
	s_sub_i32 s3, s18, s3
	s_cmp_ge_i32 s14, s2
	s_cselect_b32 s2, s3, 16
	s_lshl_b32 s12, s14, 4
	v_cmp_gt_i32_e64 s2, s2, v4
	s_ashr_i32 s13, s12, 31
	s_delay_alu instid0(VALU_DEP_1) | instskip(NEXT) | instid1(SALU_CYCLE_1)
	s_and_b32 s2, vcc_lo, s2
	s_and_saveexec_b32 s3, s2
	s_cbranch_execz .LBB190_5
; %bb.4:
	v_mad_u64_u32 v[5:6], null, v1, s28, 0
	s_lshl_b64 s[14:15], s[30:31], 4
	v_add_nc_u32_e32 v9, 0x1000, v3
	s_waitcnt lgkmcnt(0)
	s_add_u32 s18, s26, s14
	s_addc_u32 s19, s27, s15
	s_lshl_b64 s[14:15], s[12:13], 4
	s_delay_alu instid0(VALU_DEP_2) | instskip(SKIP_2) | instid1(VALU_DEP_1)
	v_mad_u64_u32 v[7:8], null, v1, s29, v[6:7]
	s_add_u32 s14, s18, s14
	s_addc_u32 s15, s19, s15
	v_mov_b32_e32 v6, v7
	s_delay_alu instid0(VALU_DEP_1) | instskip(NEXT) | instid1(VALU_DEP_1)
	v_lshlrev_b64 v[5:6], 4, v[5:6]
	v_add_co_u32 v5, vcc_lo, s14, v5
	s_delay_alu instid0(VALU_DEP_2) | instskip(NEXT) | instid1(VALU_DEP_2)
	v_add_co_ci_u32_e32 v6, vcc_lo, s15, v6, vcc_lo
	v_add_co_u32 v5, vcc_lo, v5, v0
	s_delay_alu instid0(VALU_DEP_2)
	v_add_co_ci_u32_e32 v6, vcc_lo, 0, v6, vcc_lo
	global_load_b128 v[5:8], v[5:6], off
	s_waitcnt vmcnt(0)
	ds_store_2addr_b64 v9, v[5:6], v[7:8] offset1:1
.LBB190_5:
	s_or_b32 exec_lo, exec_lo, s3
	v_cmp_eq_u32_e32 vcc_lo, v1, v4
	s_cmpk_eq_i32 s17, 0x84
	s_cselect_b32 s3, -1, 0
	s_delay_alu instid0(SALU_CYCLE_1) | instskip(NEXT) | instid1(SALU_CYCLE_1)
	s_and_b32 s14, vcc_lo, s3
	s_and_saveexec_b32 s3, s14
	s_cbranch_execz .LBB190_7
; %bb.6:
	v_dual_mov_b32 v5, 0 :: v_dual_mov_b32 v6, 0x3ff00000
	s_delay_alu instid0(VALU_DEP_1)
	v_mov_b32_e32 v7, v5
	v_mov_b32_e32 v8, v5
	ds_store_b128 v3, v[5:8]
.LBB190_7:
	s_or_b32 exec_lo, exec_lo, s3
	s_cmpk_lg_i32 s16, 0x79
	s_cbranch_scc0 .LBB190_9
; %bb.8:
	v_cmp_lt_u32_e32 vcc_lo, v4, v1
	s_and_b32 s3, vcc_lo, exec_lo
	s_cbranch_execz .LBB190_10
	s_branch .LBB190_11
.LBB190_9:
	s_mov_b32 s3, 0
.LBB190_10:
	v_cmp_gt_u32_e32 vcc_lo, v4, v1
	s_and_not1_b32 s3, s3, exec_lo
	s_and_b32 s14, vcc_lo, exec_lo
	s_delay_alu instid0(SALU_CYCLE_1)
	s_or_b32 s3, s3, s14
.LBB190_11:
	s_delay_alu instid0(SALU_CYCLE_1)
	s_and_saveexec_b32 s14, s3
	s_cbranch_execz .LBB190_13
; %bb.12:
	v_mov_b32_e32 v4, 0
	s_delay_alu instid0(VALU_DEP_1)
	v_mov_b32_e32 v5, v4
	v_mov_b32_e32 v6, v4
	v_mov_b32_e32 v7, v4
	ds_store_b128 v3, v[4:7]
.LBB190_13:
	s_or_b32 exec_lo, exec_lo, s14
	s_waitcnt lgkmcnt(0)
	s_barrier
	buffer_gl0_inv
	s_and_saveexec_b32 s3, s2
	s_cbranch_execz .LBB190_15
; %bb.14:
	ds_load_b128 v[3:6], v0 offset:4096
	ds_load_b128 v[7:10], v2
	ds_load_b128 v[11:14], v2 offset:256
	ds_load_b128 v[15:18], v0 offset:4352
	s_load_b64 s[0:1], s[0:1], 0x60
	s_waitcnt lgkmcnt(0)
	v_mul_f64 v[19:20], v[7:8], v[5:6]
	v_mul_f64 v[5:6], v[9:10], v[5:6]
	v_mul_f64 v[35:36], v[11:12], v[17:18]
	v_mul_f64 v[17:18], v[13:14], v[17:18]
	s_lshl_b64 s[0:1], s[0:1], 4
	s_delay_alu instid0(SALU_CYCLE_1) | instskip(SKIP_2) | instid1(SALU_CYCLE_1)
	s_add_u32 s2, s8, s0
	s_addc_u32 s3, s9, s1
	s_lshl_b64 s[0:1], s[12:13], 4
	s_add_u32 s0, s2, s0
	s_addc_u32 s1, s3, s1
	s_delay_alu instid0(VALU_DEP_4)
	v_fma_f64 v[9:10], v[9:10], v[3:4], v[19:20]
	ds_load_b128 v[19:22], v0 offset:4608
	ds_load_b128 v[23:26], v2 offset:512
	;; [unrolled: 1-line block ×4, first 2 shown]
	v_fma_f64 v[13:14], v[13:14], v[15:16], v[35:36]
	v_fma_f64 v[3:4], v[7:8], v[3:4], -v[5:6]
	s_waitcnt lgkmcnt(2)
	v_mul_f64 v[37:38], v[23:24], v[21:22]
	v_mul_f64 v[21:22], v[25:26], v[21:22]
	s_waitcnt lgkmcnt(0)
	v_mul_f64 v[35:36], v[27:28], v[33:34]
	v_mul_f64 v[33:34], v[29:30], v[33:34]
	v_add_f64 v[5:6], v[9:10], 0
	v_add_f64 v[39:40], v[3:4], 0
	v_fma_f64 v[25:26], v[25:26], v[19:20], v[37:38]
	v_fma_f64 v[37:38], v[11:12], v[15:16], -v[17:18]
	v_fma_f64 v[29:30], v[29:30], v[31:32], v[35:36]
	v_fma_f64 v[19:20], v[23:24], v[19:20], -v[21:22]
	v_add_f64 v[41:42], v[5:6], v[13:14]
	ds_load_b128 v[3:6], v0 offset:5120
	ds_load_b128 v[7:10], v2 offset:1024
	ds_load_b128 v[11:14], v2 offset:1280
	ds_load_b128 v[15:18], v0 offset:5376
	s_waitcnt lgkmcnt(2)
	v_mul_f64 v[43:44], v[7:8], v[5:6]
	v_add_f64 v[21:22], v[39:40], v[37:38]
	s_waitcnt lgkmcnt(0)
	v_mul_f64 v[35:36], v[11:12], v[17:18]
	v_mul_f64 v[5:6], v[9:10], v[5:6]
	v_fma_f64 v[37:38], v[27:28], v[31:32], -v[33:34]
	v_mul_f64 v[17:18], v[13:14], v[17:18]
	v_add_f64 v[23:24], v[41:42], v[25:26]
	v_fma_f64 v[9:10], v[9:10], v[3:4], v[43:44]
	v_add_f64 v[39:40], v[21:22], v[19:20]
	v_fma_f64 v[13:14], v[13:14], v[15:16], v[35:36]
	v_fma_f64 v[3:4], v[7:8], v[3:4], -v[5:6]
	v_add_f64 v[41:42], v[23:24], v[29:30]
	ds_load_b128 v[19:22], v0 offset:5632
	ds_load_b128 v[23:26], v2 offset:1536
	ds_load_b128 v[27:30], v2 offset:1792
	ds_load_b128 v[31:34], v0 offset:5888
	s_waitcnt lgkmcnt(2)
	v_mul_f64 v[43:44], v[23:24], v[21:22]
	v_add_f64 v[5:6], v[39:40], v[37:38]
	s_waitcnt lgkmcnt(0)
	v_mul_f64 v[35:36], v[27:28], v[33:34]
	v_mul_f64 v[21:22], v[25:26], v[21:22]
	v_fma_f64 v[37:38], v[11:12], v[15:16], -v[17:18]
	v_mul_f64 v[33:34], v[29:30], v[33:34]
	v_add_f64 v[7:8], v[41:42], v[9:10]
	v_fma_f64 v[25:26], v[25:26], v[19:20], v[43:44]
	v_add_f64 v[39:40], v[5:6], v[3:4]
	;; [unrolled: 18-line block ×5, first 2 shown]
	v_fma_f64 v[13:14], v[13:14], v[15:16], v[35:36]
	s_delay_alu instid0(VALU_DEP_4)
	v_add_f64 v[41:42], v[23:24], v[29:30]
	ds_load_b128 v[19:22], v0 offset:7680
	ds_load_b128 v[23:26], v2 offset:3584
	;; [unrolled: 1-line block ×4, first 2 shown]
	v_fma_f64 v[2:3], v[7:8], v[3:4], -v[5:6]
	s_waitcnt lgkmcnt(2)
	v_mul_f64 v[43:44], v[23:24], v[21:22]
	v_add_f64 v[4:5], v[39:40], v[37:38]
	v_mul_f64 v[21:22], v[25:26], v[21:22]
	v_add_f64 v[6:7], v[41:42], v[9:10]
	s_waitcnt lgkmcnt(0)
	v_mul_f64 v[8:9], v[27:28], v[33:34]
	v_fma_f64 v[10:11], v[11:12], v[15:16], -v[17:18]
	v_fma_f64 v[25:26], v[25:26], v[19:20], v[43:44]
	v_add_f64 v[2:3], v[4:5], v[2:3]
	v_add_f64 v[4:5], v[6:7], v[13:14]
	v_mul_f64 v[6:7], v[29:30], v[33:34]
	v_fma_f64 v[8:9], v[29:30], v[31:32], v[8:9]
	v_fma_f64 v[12:13], v[23:24], v[19:20], -v[21:22]
	v_add_f64 v[2:3], v[2:3], v[10:11]
	v_mad_u64_u32 v[10:11], null, v1, s10, 0
	v_add_f64 v[4:5], v[4:5], v[25:26]
	v_fma_f64 v[6:7], v[27:28], v[31:32], -v[6:7]
	s_delay_alu instid0(VALU_DEP_4) | instskip(NEXT) | instid1(VALU_DEP_3)
	v_add_f64 v[2:3], v[2:3], v[12:13]
	v_add_f64 v[4:5], v[4:5], v[8:9]
	s_delay_alu instid0(VALU_DEP_2) | instskip(NEXT) | instid1(VALU_DEP_2)
	v_add_f64 v[2:3], v[2:3], v[6:7]
	v_mul_f64 v[6:7], s[4:5], v[4:5]
	v_mul_f64 v[8:9], s[6:7], v[4:5]
	s_delay_alu instid0(VALU_DEP_2) | instskip(NEXT) | instid1(VALU_DEP_2)
	v_fma_f64 v[4:5], s[6:7], v[2:3], v[6:7]
	v_fma_f64 v[2:3], s[4:5], v[2:3], -v[8:9]
	v_mov_b32_e32 v6, v11
	s_delay_alu instid0(VALU_DEP_1) | instskip(NEXT) | instid1(VALU_DEP_1)
	v_mad_u64_u32 v[7:8], null, v1, s11, v[6:7]
	v_mov_b32_e32 v11, v7
	s_delay_alu instid0(VALU_DEP_1) | instskip(NEXT) | instid1(VALU_DEP_1)
	v_lshlrev_b64 v[6:7], 4, v[10:11]
	v_add_co_u32 v1, vcc_lo, s0, v6
	s_delay_alu instid0(VALU_DEP_2) | instskip(NEXT) | instid1(VALU_DEP_2)
	v_add_co_ci_u32_e32 v6, vcc_lo, s1, v7, vcc_lo
	v_add_co_u32 v0, vcc_lo, v1, v0
	s_delay_alu instid0(VALU_DEP_2)
	v_add_co_ci_u32_e32 v1, vcc_lo, 0, v6, vcc_lo
	global_store_b128 v[0:1], v[2:5], off
.LBB190_15:
	s_nop 0
	s_sendmsg sendmsg(MSG_DEALLOC_VGPRS)
	s_endpgm
	.section	.rodata,"a",@progbits
	.p2align	6, 0x0
	.amdhsa_kernel _ZL23rocblas_trmm_rTx_kernelILi16ELb1E19rocblas_complex_numIdEPKS1_KS3_KPS1_Ev13rocblas_fill_17rocblas_diagonal_iiT2_lPT3_llSB_llPT4_lli
		.amdhsa_group_segment_fixed_size 8192
		.amdhsa_private_segment_fixed_size 0
		.amdhsa_kernarg_size 108
		.amdhsa_user_sgpr_count 14
		.amdhsa_user_sgpr_dispatch_ptr 0
		.amdhsa_user_sgpr_queue_ptr 0
		.amdhsa_user_sgpr_kernarg_segment_ptr 1
		.amdhsa_user_sgpr_dispatch_id 0
		.amdhsa_user_sgpr_private_segment_size 0
		.amdhsa_wavefront_size32 1
		.amdhsa_uses_dynamic_stack 0
		.amdhsa_enable_private_segment 0
		.amdhsa_system_sgpr_workgroup_id_x 1
		.amdhsa_system_sgpr_workgroup_id_y 0
		.amdhsa_system_sgpr_workgroup_id_z 1
		.amdhsa_system_sgpr_workgroup_info 0
		.amdhsa_system_vgpr_workitem_id 1
		.amdhsa_next_free_vgpr 45
		.amdhsa_next_free_sgpr 40
		.amdhsa_reserve_vcc 1
		.amdhsa_float_round_mode_32 0
		.amdhsa_float_round_mode_16_64 0
		.amdhsa_float_denorm_mode_32 3
		.amdhsa_float_denorm_mode_16_64 3
		.amdhsa_dx10_clamp 1
		.amdhsa_ieee_mode 1
		.amdhsa_fp16_overflow 0
		.amdhsa_workgroup_processor_mode 1
		.amdhsa_memory_ordered 1
		.amdhsa_forward_progress 0
		.amdhsa_shared_vgpr_count 0
		.amdhsa_exception_fp_ieee_invalid_op 0
		.amdhsa_exception_fp_denorm_src 0
		.amdhsa_exception_fp_ieee_div_zero 0
		.amdhsa_exception_fp_ieee_overflow 0
		.amdhsa_exception_fp_ieee_underflow 0
		.amdhsa_exception_fp_ieee_inexact 0
		.amdhsa_exception_int_div_zero 0
	.end_amdhsa_kernel
	.section	.text._ZL23rocblas_trmm_rTx_kernelILi16ELb1E19rocblas_complex_numIdEPKS1_KS3_KPS1_Ev13rocblas_fill_17rocblas_diagonal_iiT2_lPT3_llSB_llPT4_lli,"axG",@progbits,_ZL23rocblas_trmm_rTx_kernelILi16ELb1E19rocblas_complex_numIdEPKS1_KS3_KPS1_Ev13rocblas_fill_17rocblas_diagonal_iiT2_lPT3_llSB_llPT4_lli,comdat
.Lfunc_end190:
	.size	_ZL23rocblas_trmm_rTx_kernelILi16ELb1E19rocblas_complex_numIdEPKS1_KS3_KPS1_Ev13rocblas_fill_17rocblas_diagonal_iiT2_lPT3_llSB_llPT4_lli, .Lfunc_end190-_ZL23rocblas_trmm_rTx_kernelILi16ELb1E19rocblas_complex_numIdEPKS1_KS3_KPS1_Ev13rocblas_fill_17rocblas_diagonal_iiT2_lPT3_llSB_llPT4_lli
                                        ; -- End function
	.section	.AMDGPU.csdata,"",@progbits
; Kernel info:
; codeLenInByte = 2052
; NumSgprs: 42
; NumVgprs: 45
; ScratchSize: 0
; MemoryBound: 0
; FloatMode: 240
; IeeeMode: 1
; LDSByteSize: 8192 bytes/workgroup (compile time only)
; SGPRBlocks: 5
; VGPRBlocks: 5
; NumSGPRsForWavesPerEU: 42
; NumVGPRsForWavesPerEU: 45
; Occupancy: 16
; WaveLimiterHint : 1
; COMPUTE_PGM_RSRC2:SCRATCH_EN: 0
; COMPUTE_PGM_RSRC2:USER_SGPR: 14
; COMPUTE_PGM_RSRC2:TRAP_HANDLER: 0
; COMPUTE_PGM_RSRC2:TGID_X_EN: 1
; COMPUTE_PGM_RSRC2:TGID_Y_EN: 0
; COMPUTE_PGM_RSRC2:TGID_Z_EN: 1
; COMPUTE_PGM_RSRC2:TIDIG_COMP_CNT: 1
	.section	.text._ZL23rocblas_trmm_rTx_kernelILi16ELb1E19rocblas_complex_numIdES1_KPKS1_KPS1_Ev13rocblas_fill_17rocblas_diagonal_iiT2_lPT3_llSB_llPT4_lli,"axG",@progbits,_ZL23rocblas_trmm_rTx_kernelILi16ELb1E19rocblas_complex_numIdES1_KPKS1_KPS1_Ev13rocblas_fill_17rocblas_diagonal_iiT2_lPT3_llSB_llPT4_lli,comdat
	.globl	_ZL23rocblas_trmm_rTx_kernelILi16ELb1E19rocblas_complex_numIdES1_KPKS1_KPS1_Ev13rocblas_fill_17rocblas_diagonal_iiT2_lPT3_llSB_llPT4_lli ; -- Begin function _ZL23rocblas_trmm_rTx_kernelILi16ELb1E19rocblas_complex_numIdES1_KPKS1_KPS1_Ev13rocblas_fill_17rocblas_diagonal_iiT2_lPT3_llSB_llPT4_lli
	.p2align	8
	.type	_ZL23rocblas_trmm_rTx_kernelILi16ELb1E19rocblas_complex_numIdES1_KPKS1_KPS1_Ev13rocblas_fill_17rocblas_diagonal_iiT2_lPT3_llSB_llPT4_lli,@function
_ZL23rocblas_trmm_rTx_kernelILi16ELb1E19rocblas_complex_numIdES1_KPKS1_KPS1_Ev13rocblas_fill_17rocblas_diagonal_iiT2_lPT3_llSB_llPT4_lli: ; @_ZL23rocblas_trmm_rTx_kernelILi16ELb1E19rocblas_complex_numIdES1_KPKS1_KPS1_Ev13rocblas_fill_17rocblas_diagonal_iiT2_lPT3_llSB_llPT4_lli
; %bb.0:
	s_load_b128 s[4:7], s[0:1], 0x10
	s_waitcnt lgkmcnt(0)
	v_cmp_neq_f64_e64 s2, s[4:5], 0
	v_cmp_neq_f64_e64 s3, s[6:7], 0
	s_delay_alu instid0(VALU_DEP_1) | instskip(NEXT) | instid1(SALU_CYCLE_1)
	s_or_b32 s2, s2, s3
	s_and_not1_b32 vcc_lo, exec_lo, s2
	s_cbranch_vccnz .LBB191_15
; %bb.1:
	s_clause 0x1
	s_load_b512 s[16:31], s[0:1], 0x28
	s_load_b128 s[8:11], s[0:1], 0x0
	s_mov_b32 s36, s15
	s_mov_b32 s37, 0
	v_bfe_u32 v1, v0, 10, 10
	s_lshl_b64 s[34:35], s[36:37], 3
	s_mov_b32 s36, s37
	s_mov_b32 s38, s37
	;; [unrolled: 1-line block ×3, first 2 shown]
	v_dual_mov_b32 v5, s36 :: v_dual_and_b32 v4, 0x3ff, v0
	v_dual_mov_b32 v7, s38 :: v_dual_lshlrev_b32 v2, 4, v1
	v_mov_b32_e32 v6, s37
	v_mov_b32_e32 v8, s39
	s_delay_alu instid0(VALU_DEP_4) | instskip(NEXT) | instid1(VALU_DEP_4)
	v_lshlrev_b32_e32 v0, 4, v4
	v_add_lshl_u32 v3, v2, v4, 4
	s_waitcnt lgkmcnt(0)
	s_add_u32 s2, s22, s34
	s_addc_u32 s3, s23, s35
	s_add_u32 s12, s28, s34
	s_addc_u32 s13, s29, s35
	s_load_b64 s[22:23], s[2:3], 0x0
	s_load_b64 s[12:13], s[12:13], 0x0
	v_cmp_gt_i32_e32 vcc_lo, s11, v1
	v_cmp_gt_i32_e64 s2, s11, v4
	ds_store_b128 v3, v[5:8]
	ds_store_b128 v3, v[5:8] offset:4096
	s_and_b32 s2, vcc_lo, s2
	s_delay_alu instid0(SALU_CYCLE_1)
	s_and_saveexec_b32 s3, s2
	s_cbranch_execz .LBB191_3
; %bb.2:
	v_mad_u64_u32 v[5:6], null, v1, s18, 0
	s_add_u32 s16, s16, s34
	s_addc_u32 s17, s17, s35
	s_load_b64 s[16:17], s[16:17], 0x0
	s_delay_alu instid0(VALU_DEP_1) | instskip(SKIP_1) | instid1(VALU_DEP_1)
	v_mad_u64_u32 v[7:8], null, v1, s19, v[6:7]
	s_lshl_b64 s[18:19], s[20:21], 4
	v_mov_b32_e32 v6, v7
	s_delay_alu instid0(VALU_DEP_1) | instskip(SKIP_3) | instid1(VALU_DEP_1)
	v_lshlrev_b64 v[5:6], 4, v[5:6]
	s_waitcnt lgkmcnt(0)
	s_add_u32 s2, s16, s18
	s_addc_u32 s11, s17, s19
	v_add_co_u32 v5, s2, s2, v5
	s_delay_alu instid0(VALU_DEP_1) | instskip(NEXT) | instid1(VALU_DEP_2)
	v_add_co_ci_u32_e64 v6, s2, s11, v6, s2
	v_add_co_u32 v5, s2, v5, v0
	s_delay_alu instid0(VALU_DEP_1)
	v_add_co_ci_u32_e64 v6, s2, 0, v6, s2
	global_load_b128 v[5:8], v[5:6], off
	s_waitcnt vmcnt(0)
	v_xor_b32_e32 v8, 0x80000000, v8
	ds_store_b128 v3, v[5:8]
.LBB191_3:
	s_or_b32 exec_lo, exec_lo, s3
	s_add_i32 s2, s10, -1
	s_delay_alu instid0(SALU_CYCLE_1) | instskip(NEXT) | instid1(SALU_CYCLE_1)
	s_ashr_i32 s3, s2, 31
	s_lshr_b32 s3, s3, 28
	s_delay_alu instid0(SALU_CYCLE_1) | instskip(NEXT) | instid1(SALU_CYCLE_1)
	s_add_i32 s2, s2, s3
	s_and_b32 s3, s2, -16
	s_ashr_i32 s2, s2, 4
	s_sub_i32 s3, s10, s3
	s_cmp_ge_i32 s14, s2
	s_cselect_b32 s2, s3, 16
	s_lshl_b32 s10, s14, 4
	v_cmp_gt_i32_e64 s2, s2, v4
	s_ashr_i32 s11, s10, 31
	s_delay_alu instid0(VALU_DEP_1) | instskip(NEXT) | instid1(SALU_CYCLE_1)
	s_and_b32 s2, vcc_lo, s2
	s_and_saveexec_b32 s3, s2
	s_cbranch_execz .LBB191_5
; %bb.4:
	v_mad_u64_u32 v[5:6], null, v1, s24, 0
	s_lshl_b64 s[14:15], s[26:27], 4
	v_add_nc_u32_e32 v9, 0x1000, v3
	s_waitcnt lgkmcnt(0)
	s_add_u32 s16, s22, s14
	s_addc_u32 s17, s23, s15
	s_lshl_b64 s[14:15], s[10:11], 4
	s_delay_alu instid0(VALU_DEP_2) | instskip(SKIP_2) | instid1(VALU_DEP_1)
	v_mad_u64_u32 v[7:8], null, v1, s25, v[6:7]
	s_add_u32 s14, s16, s14
	s_addc_u32 s15, s17, s15
	v_mov_b32_e32 v6, v7
	s_delay_alu instid0(VALU_DEP_1) | instskip(NEXT) | instid1(VALU_DEP_1)
	v_lshlrev_b64 v[5:6], 4, v[5:6]
	v_add_co_u32 v5, vcc_lo, s14, v5
	s_delay_alu instid0(VALU_DEP_2) | instskip(NEXT) | instid1(VALU_DEP_2)
	v_add_co_ci_u32_e32 v6, vcc_lo, s15, v6, vcc_lo
	v_add_co_u32 v5, vcc_lo, v5, v0
	s_delay_alu instid0(VALU_DEP_2)
	v_add_co_ci_u32_e32 v6, vcc_lo, 0, v6, vcc_lo
	global_load_b128 v[5:8], v[5:6], off
	s_waitcnt vmcnt(0)
	ds_store_2addr_b64 v9, v[5:6], v[7:8] offset1:1
.LBB191_5:
	s_or_b32 exec_lo, exec_lo, s3
	v_cmp_eq_u32_e32 vcc_lo, v1, v4
	s_cmpk_eq_i32 s9, 0x84
	s_cselect_b32 s3, -1, 0
	s_delay_alu instid0(SALU_CYCLE_1) | instskip(NEXT) | instid1(SALU_CYCLE_1)
	s_and_b32 s9, vcc_lo, s3
	s_and_saveexec_b32 s3, s9
	s_cbranch_execz .LBB191_7
; %bb.6:
	v_dual_mov_b32 v5, 0 :: v_dual_mov_b32 v6, 0x3ff00000
	s_delay_alu instid0(VALU_DEP_1)
	v_mov_b32_e32 v7, v5
	v_mov_b32_e32 v8, v5
	ds_store_b128 v3, v[5:8]
.LBB191_7:
	s_or_b32 exec_lo, exec_lo, s3
	s_cmpk_lg_i32 s8, 0x79
	s_cbranch_scc0 .LBB191_9
; %bb.8:
	v_cmp_lt_u32_e32 vcc_lo, v4, v1
	s_and_b32 s3, vcc_lo, exec_lo
	s_cbranch_execz .LBB191_10
	s_branch .LBB191_11
.LBB191_9:
	s_mov_b32 s3, 0
.LBB191_10:
	v_cmp_gt_u32_e32 vcc_lo, v4, v1
	s_and_not1_b32 s3, s3, exec_lo
	s_and_b32 s8, vcc_lo, exec_lo
	s_delay_alu instid0(SALU_CYCLE_1)
	s_or_b32 s3, s3, s8
.LBB191_11:
	s_delay_alu instid0(SALU_CYCLE_1)
	s_and_saveexec_b32 s8, s3
	s_cbranch_execz .LBB191_13
; %bb.12:
	v_mov_b32_e32 v4, 0
	s_delay_alu instid0(VALU_DEP_1)
	v_mov_b32_e32 v5, v4
	v_mov_b32_e32 v6, v4
	;; [unrolled: 1-line block ×3, first 2 shown]
	ds_store_b128 v3, v[4:7]
.LBB191_13:
	s_or_b32 exec_lo, exec_lo, s8
	s_waitcnt lgkmcnt(0)
	s_barrier
	buffer_gl0_inv
	s_and_saveexec_b32 s3, s2
	s_cbranch_execz .LBB191_15
; %bb.14:
	ds_load_b128 v[3:6], v0 offset:4096
	ds_load_b128 v[7:10], v2
	ds_load_b128 v[11:14], v2 offset:256
	ds_load_b128 v[15:18], v0 offset:4352
	s_load_b64 s[0:1], s[0:1], 0x68
	s_waitcnt lgkmcnt(0)
	v_mul_f64 v[19:20], v[7:8], v[5:6]
	v_mul_f64 v[5:6], v[9:10], v[5:6]
	;; [unrolled: 1-line block ×4, first 2 shown]
	s_lshl_b64 s[0:1], s[0:1], 4
	s_delay_alu instid0(SALU_CYCLE_1) | instskip(SKIP_2) | instid1(SALU_CYCLE_1)
	s_add_u32 s2, s12, s0
	s_addc_u32 s3, s13, s1
	s_lshl_b64 s[0:1], s[10:11], 4
	s_add_u32 s0, s2, s0
	s_addc_u32 s1, s3, s1
	s_delay_alu instid0(VALU_DEP_4)
	v_fma_f64 v[9:10], v[9:10], v[3:4], v[19:20]
	ds_load_b128 v[19:22], v0 offset:4608
	ds_load_b128 v[23:26], v2 offset:512
	;; [unrolled: 1-line block ×4, first 2 shown]
	v_fma_f64 v[13:14], v[13:14], v[15:16], v[35:36]
	v_fma_f64 v[3:4], v[7:8], v[3:4], -v[5:6]
	s_waitcnt lgkmcnt(2)
	v_mul_f64 v[37:38], v[23:24], v[21:22]
	v_mul_f64 v[21:22], v[25:26], v[21:22]
	s_waitcnt lgkmcnt(0)
	v_mul_f64 v[35:36], v[27:28], v[33:34]
	v_mul_f64 v[33:34], v[29:30], v[33:34]
	v_add_f64 v[5:6], v[9:10], 0
	v_add_f64 v[39:40], v[3:4], 0
	v_fma_f64 v[25:26], v[25:26], v[19:20], v[37:38]
	v_fma_f64 v[37:38], v[11:12], v[15:16], -v[17:18]
	v_fma_f64 v[29:30], v[29:30], v[31:32], v[35:36]
	v_fma_f64 v[19:20], v[23:24], v[19:20], -v[21:22]
	v_add_f64 v[41:42], v[5:6], v[13:14]
	ds_load_b128 v[3:6], v0 offset:5120
	ds_load_b128 v[7:10], v2 offset:1024
	ds_load_b128 v[11:14], v2 offset:1280
	ds_load_b128 v[15:18], v0 offset:5376
	s_waitcnt lgkmcnt(2)
	v_mul_f64 v[43:44], v[7:8], v[5:6]
	v_add_f64 v[21:22], v[39:40], v[37:38]
	s_waitcnt lgkmcnt(0)
	v_mul_f64 v[35:36], v[11:12], v[17:18]
	v_mul_f64 v[5:6], v[9:10], v[5:6]
	v_fma_f64 v[37:38], v[27:28], v[31:32], -v[33:34]
	v_mul_f64 v[17:18], v[13:14], v[17:18]
	v_add_f64 v[23:24], v[41:42], v[25:26]
	v_fma_f64 v[9:10], v[9:10], v[3:4], v[43:44]
	v_add_f64 v[39:40], v[21:22], v[19:20]
	v_fma_f64 v[13:14], v[13:14], v[15:16], v[35:36]
	v_fma_f64 v[3:4], v[7:8], v[3:4], -v[5:6]
	v_add_f64 v[41:42], v[23:24], v[29:30]
	ds_load_b128 v[19:22], v0 offset:5632
	ds_load_b128 v[23:26], v2 offset:1536
	ds_load_b128 v[27:30], v2 offset:1792
	ds_load_b128 v[31:34], v0 offset:5888
	s_waitcnt lgkmcnt(2)
	v_mul_f64 v[43:44], v[23:24], v[21:22]
	v_add_f64 v[5:6], v[39:40], v[37:38]
	s_waitcnt lgkmcnt(0)
	v_mul_f64 v[35:36], v[27:28], v[33:34]
	v_mul_f64 v[21:22], v[25:26], v[21:22]
	v_fma_f64 v[37:38], v[11:12], v[15:16], -v[17:18]
	v_mul_f64 v[33:34], v[29:30], v[33:34]
	v_add_f64 v[7:8], v[41:42], v[9:10]
	v_fma_f64 v[25:26], v[25:26], v[19:20], v[43:44]
	v_add_f64 v[39:40], v[5:6], v[3:4]
	;; [unrolled: 18-line block ×5, first 2 shown]
	v_fma_f64 v[13:14], v[13:14], v[15:16], v[35:36]
	s_delay_alu instid0(VALU_DEP_4)
	v_add_f64 v[41:42], v[23:24], v[29:30]
	ds_load_b128 v[19:22], v0 offset:7680
	ds_load_b128 v[23:26], v2 offset:3584
	;; [unrolled: 1-line block ×4, first 2 shown]
	v_fma_f64 v[2:3], v[7:8], v[3:4], -v[5:6]
	s_waitcnt lgkmcnt(2)
	v_mul_f64 v[43:44], v[23:24], v[21:22]
	v_add_f64 v[4:5], v[39:40], v[37:38]
	v_mul_f64 v[21:22], v[25:26], v[21:22]
	v_add_f64 v[6:7], v[41:42], v[9:10]
	s_waitcnt lgkmcnt(0)
	v_mul_f64 v[8:9], v[27:28], v[33:34]
	v_fma_f64 v[10:11], v[11:12], v[15:16], -v[17:18]
	v_fma_f64 v[25:26], v[25:26], v[19:20], v[43:44]
	v_add_f64 v[2:3], v[4:5], v[2:3]
	v_add_f64 v[4:5], v[6:7], v[13:14]
	v_mul_f64 v[6:7], v[29:30], v[33:34]
	v_fma_f64 v[8:9], v[29:30], v[31:32], v[8:9]
	v_fma_f64 v[12:13], v[23:24], v[19:20], -v[21:22]
	v_add_f64 v[2:3], v[2:3], v[10:11]
	v_mad_u64_u32 v[10:11], null, v1, s30, 0
	v_add_f64 v[4:5], v[4:5], v[25:26]
	v_fma_f64 v[6:7], v[27:28], v[31:32], -v[6:7]
	s_delay_alu instid0(VALU_DEP_4) | instskip(NEXT) | instid1(VALU_DEP_3)
	v_add_f64 v[2:3], v[2:3], v[12:13]
	v_add_f64 v[4:5], v[4:5], v[8:9]
	s_delay_alu instid0(VALU_DEP_2) | instskip(NEXT) | instid1(VALU_DEP_2)
	v_add_f64 v[2:3], v[2:3], v[6:7]
	v_mul_f64 v[6:7], s[4:5], v[4:5]
	v_mul_f64 v[8:9], s[6:7], v[4:5]
	s_delay_alu instid0(VALU_DEP_2) | instskip(NEXT) | instid1(VALU_DEP_2)
	v_fma_f64 v[4:5], s[6:7], v[2:3], v[6:7]
	v_fma_f64 v[2:3], s[4:5], v[2:3], -v[8:9]
	v_mov_b32_e32 v6, v11
	s_delay_alu instid0(VALU_DEP_1) | instskip(NEXT) | instid1(VALU_DEP_1)
	v_mad_u64_u32 v[7:8], null, v1, s31, v[6:7]
	v_mov_b32_e32 v11, v7
	s_delay_alu instid0(VALU_DEP_1) | instskip(NEXT) | instid1(VALU_DEP_1)
	v_lshlrev_b64 v[6:7], 4, v[10:11]
	v_add_co_u32 v1, vcc_lo, s0, v6
	s_delay_alu instid0(VALU_DEP_2) | instskip(NEXT) | instid1(VALU_DEP_2)
	v_add_co_ci_u32_e32 v6, vcc_lo, s1, v7, vcc_lo
	v_add_co_u32 v0, vcc_lo, v1, v0
	s_delay_alu instid0(VALU_DEP_2)
	v_add_co_ci_u32_e32 v1, vcc_lo, 0, v6, vcc_lo
	global_store_b128 v[0:1], v[2:5], off
.LBB191_15:
	s_nop 0
	s_sendmsg sendmsg(MSG_DEALLOC_VGPRS)
	s_endpgm
	.section	.rodata,"a",@progbits
	.p2align	6, 0x0
	.amdhsa_kernel _ZL23rocblas_trmm_rTx_kernelILi16ELb1E19rocblas_complex_numIdES1_KPKS1_KPS1_Ev13rocblas_fill_17rocblas_diagonal_iiT2_lPT3_llSB_llPT4_lli
		.amdhsa_group_segment_fixed_size 8192
		.amdhsa_private_segment_fixed_size 0
		.amdhsa_kernarg_size 116
		.amdhsa_user_sgpr_count 14
		.amdhsa_user_sgpr_dispatch_ptr 0
		.amdhsa_user_sgpr_queue_ptr 0
		.amdhsa_user_sgpr_kernarg_segment_ptr 1
		.amdhsa_user_sgpr_dispatch_id 0
		.amdhsa_user_sgpr_private_segment_size 0
		.amdhsa_wavefront_size32 1
		.amdhsa_uses_dynamic_stack 0
		.amdhsa_enable_private_segment 0
		.amdhsa_system_sgpr_workgroup_id_x 1
		.amdhsa_system_sgpr_workgroup_id_y 0
		.amdhsa_system_sgpr_workgroup_id_z 1
		.amdhsa_system_sgpr_workgroup_info 0
		.amdhsa_system_vgpr_workitem_id 1
		.amdhsa_next_free_vgpr 45
		.amdhsa_next_free_sgpr 40
		.amdhsa_reserve_vcc 1
		.amdhsa_float_round_mode_32 0
		.amdhsa_float_round_mode_16_64 0
		.amdhsa_float_denorm_mode_32 3
		.amdhsa_float_denorm_mode_16_64 3
		.amdhsa_dx10_clamp 1
		.amdhsa_ieee_mode 1
		.amdhsa_fp16_overflow 0
		.amdhsa_workgroup_processor_mode 1
		.amdhsa_memory_ordered 1
		.amdhsa_forward_progress 0
		.amdhsa_shared_vgpr_count 0
		.amdhsa_exception_fp_ieee_invalid_op 0
		.amdhsa_exception_fp_denorm_src 0
		.amdhsa_exception_fp_ieee_div_zero 0
		.amdhsa_exception_fp_ieee_overflow 0
		.amdhsa_exception_fp_ieee_underflow 0
		.amdhsa_exception_fp_ieee_inexact 0
		.amdhsa_exception_int_div_zero 0
	.end_amdhsa_kernel
	.section	.text._ZL23rocblas_trmm_rTx_kernelILi16ELb1E19rocblas_complex_numIdES1_KPKS1_KPS1_Ev13rocblas_fill_17rocblas_diagonal_iiT2_lPT3_llSB_llPT4_lli,"axG",@progbits,_ZL23rocblas_trmm_rTx_kernelILi16ELb1E19rocblas_complex_numIdES1_KPKS1_KPS1_Ev13rocblas_fill_17rocblas_diagonal_iiT2_lPT3_llSB_llPT4_lli,comdat
.Lfunc_end191:
	.size	_ZL23rocblas_trmm_rTx_kernelILi16ELb1E19rocblas_complex_numIdES1_KPKS1_KPS1_Ev13rocblas_fill_17rocblas_diagonal_iiT2_lPT3_llSB_llPT4_lli, .Lfunc_end191-_ZL23rocblas_trmm_rTx_kernelILi16ELb1E19rocblas_complex_numIdES1_KPKS1_KPS1_Ev13rocblas_fill_17rocblas_diagonal_iiT2_lPT3_llSB_llPT4_lli
                                        ; -- End function
	.section	.AMDGPU.csdata,"",@progbits
; Kernel info:
; codeLenInByte = 2008
; NumSgprs: 42
; NumVgprs: 45
; ScratchSize: 0
; MemoryBound: 0
; FloatMode: 240
; IeeeMode: 1
; LDSByteSize: 8192 bytes/workgroup (compile time only)
; SGPRBlocks: 5
; VGPRBlocks: 5
; NumSGPRsForWavesPerEU: 42
; NumVGPRsForWavesPerEU: 45
; Occupancy: 16
; WaveLimiterHint : 1
; COMPUTE_PGM_RSRC2:SCRATCH_EN: 0
; COMPUTE_PGM_RSRC2:USER_SGPR: 14
; COMPUTE_PGM_RSRC2:TRAP_HANDLER: 0
; COMPUTE_PGM_RSRC2:TGID_X_EN: 1
; COMPUTE_PGM_RSRC2:TGID_Y_EN: 0
; COMPUTE_PGM_RSRC2:TGID_Z_EN: 1
; COMPUTE_PGM_RSRC2:TIDIG_COMP_CNT: 1
	.section	.text._ZL44rocblas_set_matrix_zero_if_alpha_zero_kernelILi16ELi16EPKfPKPfEviiT1_lT2_lli,"axG",@progbits,_ZL44rocblas_set_matrix_zero_if_alpha_zero_kernelILi16ELi16EPKfPKPfEviiT1_lT2_lli,comdat
	.globl	_ZL44rocblas_set_matrix_zero_if_alpha_zero_kernelILi16ELi16EPKfPKPfEviiT1_lT2_lli ; -- Begin function _ZL44rocblas_set_matrix_zero_if_alpha_zero_kernelILi16ELi16EPKfPKPfEviiT1_lT2_lli
	.p2align	8
	.type	_ZL44rocblas_set_matrix_zero_if_alpha_zero_kernelILi16ELi16EPKfPKPfEviiT1_lT2_lli,@function
_ZL44rocblas_set_matrix_zero_if_alpha_zero_kernelILi16ELi16EPKfPKPfEviiT1_lT2_lli: ; @_ZL44rocblas_set_matrix_zero_if_alpha_zero_kernelILi16ELi16EPKfPKPfEviiT1_lT2_lli
; %bb.0:
	s_load_b256 s[4:11], s[0:1], 0x8
	s_mov_b32 s17, 0
	s_waitcnt lgkmcnt(0)
	s_mul_i32 s2, s15, s7
	s_mul_hi_u32 s3, s15, s6
	s_delay_alu instid0(SALU_CYCLE_1) | instskip(SKIP_1) | instid1(SALU_CYCLE_1)
	s_add_i32 s3, s3, s2
	s_mul_i32 s2, s15, s6
	s_lshl_b64 s[2:3], s[2:3], 2
	s_delay_alu instid0(SALU_CYCLE_1) | instskip(SKIP_4) | instid1(VALU_DEP_1)
	s_add_u32 s2, s4, s2
	s_addc_u32 s3, s5, s3
	s_load_b32 s2, s[2:3], 0x0
	s_waitcnt lgkmcnt(0)
	v_cmp_neq_f32_e64 s2, s2, 0
	s_and_b32 vcc_lo, exec_lo, s2
	s_cbranch_vccnz .LBB192_4
; %bb.1:
	s_load_b64 s[2:3], s[0:1], 0x0
	v_dual_mov_b32 v1, 0 :: v_dual_and_b32 v2, 0x3ff, v0
	v_bfe_u32 v3, v0, 10, 10
	s_delay_alu instid0(VALU_DEP_2) | instskip(NEXT) | instid1(VALU_DEP_2)
	v_lshl_add_u32 v0, s13, 4, v2
	v_lshl_add_u32 v2, s14, 4, v3
	s_delay_alu instid0(VALU_DEP_4)
	v_mov_b32_e32 v3, v1
	s_waitcnt lgkmcnt(0)
	s_ashr_i32 s7, s2, 31
	s_mov_b32 s6, s2
	s_ashr_i32 s5, s3, 31
	s_mov_b32 s4, s3
	v_cmp_gt_i64_e32 vcc_lo, s[6:7], v[0:1]
	v_cmp_gt_i64_e64 s2, s[4:5], v[2:3]
	s_delay_alu instid0(VALU_DEP_1) | instskip(NEXT) | instid1(SALU_CYCLE_1)
	s_and_b32 s2, vcc_lo, s2
	s_and_saveexec_b32 s3, s2
	s_cbranch_execz .LBB192_4
; %bb.2:
	v_mad_u64_u32 v[4:5], null, s10, v2, 0
	s_clause 0x1
	s_load_b32 s12, s[0:1], 0x3c
	s_load_b64 s[2:3], s[0:1], 0x28
	s_mov_b32 s16, s15
	s_delay_alu instid0(SALU_CYCLE_1) | instskip(NEXT) | instid1(SALU_CYCLE_1)
	s_lshl_b64 s[0:1], s[16:17], 3
	s_add_u32 s0, s8, s0
	s_delay_alu instid0(VALU_DEP_1) | instskip(SKIP_2) | instid1(VALU_DEP_1)
	v_mad_u64_u32 v[6:7], null, s11, v2, v[5:6]
	s_addc_u32 s1, s9, s1
	s_load_b64 s[6:7], s[0:1], 0x0
	v_mov_b32_e32 v5, v6
	v_lshlrev_b64 v[6:7], 2, v[0:1]
	s_waitcnt lgkmcnt(0)
	s_lshl_b32 s1, s12, 4
	s_delay_alu instid0(VALU_DEP_2) | instskip(SKIP_2) | instid1(VALU_DEP_1)
	v_lshlrev_b64 v[4:5], 2, v[4:5]
	s_lshl_b64 s[2:3], s[2:3], 2
	s_mul_i32 s0, s11, s1
	v_add_co_u32 v0, vcc_lo, v4, s2
	s_delay_alu instid0(VALU_DEP_2) | instskip(SKIP_1) | instid1(VALU_DEP_2)
	v_add_co_ci_u32_e32 v4, vcc_lo, s3, v5, vcc_lo
	s_mul_hi_u32 s2, s10, s1
	v_add_co_u32 v0, vcc_lo, v0, v6
	s_delay_alu instid0(VALU_DEP_2) | instskip(SKIP_1) | instid1(VALU_DEP_2)
	v_add_co_ci_u32_e32 v5, vcc_lo, v4, v7, vcc_lo
	s_add_i32 s3, s2, s0
	v_add_co_u32 v4, vcc_lo, s6, v0
	s_delay_alu instid0(VALU_DEP_2) | instskip(SKIP_1) | instid1(SALU_CYCLE_1)
	v_add_co_ci_u32_e32 v5, vcc_lo, s7, v5, vcc_lo
	s_mul_i32 s2, s10, s1
	s_lshl_b64 s[2:3], s[2:3], 2
.LBB192_3:                              ; =>This Inner Loop Header: Depth=1
	v_add_co_u32 v2, vcc_lo, v2, s1
	v_add_co_ci_u32_e32 v3, vcc_lo, 0, v3, vcc_lo
	global_store_b32 v[4:5], v1, off
	v_add_co_u32 v4, s0, v4, s2
	v_cmp_le_i64_e32 vcc_lo, s[4:5], v[2:3]
	v_add_co_ci_u32_e64 v5, s0, s3, v5, s0
	s_or_b32 s17, vcc_lo, s17
	s_delay_alu instid0(SALU_CYCLE_1)
	s_and_not1_b32 exec_lo, exec_lo, s17
	s_cbranch_execnz .LBB192_3
.LBB192_4:
	s_nop 0
	s_sendmsg sendmsg(MSG_DEALLOC_VGPRS)
	s_endpgm
	.section	.rodata,"a",@progbits
	.p2align	6, 0x0
	.amdhsa_kernel _ZL44rocblas_set_matrix_zero_if_alpha_zero_kernelILi16ELi16EPKfPKPfEviiT1_lT2_lli
		.amdhsa_group_segment_fixed_size 0
		.amdhsa_private_segment_fixed_size 0
		.amdhsa_kernarg_size 312
		.amdhsa_user_sgpr_count 13
		.amdhsa_user_sgpr_dispatch_ptr 0
		.amdhsa_user_sgpr_queue_ptr 0
		.amdhsa_user_sgpr_kernarg_segment_ptr 1
		.amdhsa_user_sgpr_dispatch_id 0
		.amdhsa_user_sgpr_private_segment_size 0
		.amdhsa_wavefront_size32 1
		.amdhsa_uses_dynamic_stack 0
		.amdhsa_enable_private_segment 0
		.amdhsa_system_sgpr_workgroup_id_x 1
		.amdhsa_system_sgpr_workgroup_id_y 1
		.amdhsa_system_sgpr_workgroup_id_z 1
		.amdhsa_system_sgpr_workgroup_info 0
		.amdhsa_system_vgpr_workitem_id 1
		.amdhsa_next_free_vgpr 8
		.amdhsa_next_free_sgpr 18
		.amdhsa_reserve_vcc 1
		.amdhsa_float_round_mode_32 0
		.amdhsa_float_round_mode_16_64 0
		.amdhsa_float_denorm_mode_32 3
		.amdhsa_float_denorm_mode_16_64 3
		.amdhsa_dx10_clamp 1
		.amdhsa_ieee_mode 1
		.amdhsa_fp16_overflow 0
		.amdhsa_workgroup_processor_mode 1
		.amdhsa_memory_ordered 1
		.amdhsa_forward_progress 0
		.amdhsa_shared_vgpr_count 0
		.amdhsa_exception_fp_ieee_invalid_op 0
		.amdhsa_exception_fp_denorm_src 0
		.amdhsa_exception_fp_ieee_div_zero 0
		.amdhsa_exception_fp_ieee_overflow 0
		.amdhsa_exception_fp_ieee_underflow 0
		.amdhsa_exception_fp_ieee_inexact 0
		.amdhsa_exception_int_div_zero 0
	.end_amdhsa_kernel
	.section	.text._ZL44rocblas_set_matrix_zero_if_alpha_zero_kernelILi16ELi16EPKfPKPfEviiT1_lT2_lli,"axG",@progbits,_ZL44rocblas_set_matrix_zero_if_alpha_zero_kernelILi16ELi16EPKfPKPfEviiT1_lT2_lli,comdat
.Lfunc_end192:
	.size	_ZL44rocblas_set_matrix_zero_if_alpha_zero_kernelILi16ELi16EPKfPKPfEviiT1_lT2_lli, .Lfunc_end192-_ZL44rocblas_set_matrix_zero_if_alpha_zero_kernelILi16ELi16EPKfPKPfEviiT1_lT2_lli
                                        ; -- End function
	.section	.AMDGPU.csdata,"",@progbits
; Kernel info:
; codeLenInByte = 424
; NumSgprs: 20
; NumVgprs: 8
; ScratchSize: 0
; MemoryBound: 0
; FloatMode: 240
; IeeeMode: 1
; LDSByteSize: 0 bytes/workgroup (compile time only)
; SGPRBlocks: 2
; VGPRBlocks: 0
; NumSGPRsForWavesPerEU: 20
; NumVGPRsForWavesPerEU: 8
; Occupancy: 16
; WaveLimiterHint : 0
; COMPUTE_PGM_RSRC2:SCRATCH_EN: 0
; COMPUTE_PGM_RSRC2:USER_SGPR: 13
; COMPUTE_PGM_RSRC2:TRAP_HANDLER: 0
; COMPUTE_PGM_RSRC2:TGID_X_EN: 1
; COMPUTE_PGM_RSRC2:TGID_Y_EN: 1
; COMPUTE_PGM_RSRC2:TGID_Z_EN: 1
; COMPUTE_PGM_RSRC2:TIDIG_COMP_CNT: 1
	.section	.text._ZL44rocblas_set_matrix_zero_if_alpha_zero_kernelILi16ELi16EfPKPfEviiT1_lT2_lli,"axG",@progbits,_ZL44rocblas_set_matrix_zero_if_alpha_zero_kernelILi16ELi16EfPKPfEviiT1_lT2_lli,comdat
	.globl	_ZL44rocblas_set_matrix_zero_if_alpha_zero_kernelILi16ELi16EfPKPfEviiT1_lT2_lli ; -- Begin function _ZL44rocblas_set_matrix_zero_if_alpha_zero_kernelILi16ELi16EfPKPfEviiT1_lT2_lli
	.p2align	8
	.type	_ZL44rocblas_set_matrix_zero_if_alpha_zero_kernelILi16ELi16EfPKPfEviiT1_lT2_lli,@function
_ZL44rocblas_set_matrix_zero_if_alpha_zero_kernelILi16ELi16EfPKPfEviiT1_lT2_lli: ; @_ZL44rocblas_set_matrix_zero_if_alpha_zero_kernelILi16ELi16EfPKPfEviiT1_lT2_lli
; %bb.0:
	s_load_b128 s[4:7], s[0:1], 0x0
	s_waitcnt lgkmcnt(0)
	v_cmp_neq_f32_e64 s2, s6, 0
	s_delay_alu instid0(VALU_DEP_1)
	s_and_b32 vcc_lo, exec_lo, s2
	s_cbranch_vccnz .LBB193_4
; %bb.1:
	v_dual_mov_b32 v1, 0 :: v_dual_and_b32 v2, 0x3ff, v0
	v_bfe_u32 v3, v0, 10, 10
	s_ashr_i32 s3, s4, 31
	s_mov_b32 s2, s4
	s_delay_alu instid0(VALU_DEP_2)
	v_lshl_add_u32 v0, s13, 4, v2
	s_ashr_i32 s7, s5, 31
	v_lshl_add_u32 v2, s14, 4, v3
	v_mov_b32_e32 v3, v1
	s_mov_b32 s6, s5
	v_cmp_gt_i64_e32 vcc_lo, s[2:3], v[0:1]
	s_mov_b32 s9, 0
	s_delay_alu instid0(VALU_DEP_2) | instskip(NEXT) | instid1(VALU_DEP_1)
	v_cmp_gt_i64_e64 s2, s[6:7], v[2:3]
	s_and_b32 s2, vcc_lo, s2
	s_delay_alu instid0(SALU_CYCLE_1)
	s_and_saveexec_b32 s3, s2
	s_cbranch_execz .LBB193_4
; %bb.2:
	s_mov_b32 s8, s15
	s_clause 0x2
	s_load_b128 s[12:15], s[0:1], 0x18
	s_load_b64 s[2:3], s[0:1], 0x28
	s_load_b32 s10, s[0:1], 0x3c
	s_lshl_b64 s[0:1], s[8:9], 3
	s_waitcnt lgkmcnt(0)
	v_mad_u64_u32 v[4:5], null, s14, v2, 0
	s_add_u32 s0, s12, s0
	s_addc_u32 s1, s13, s1
	s_lshl_b64 s[2:3], s[2:3], 2
	s_load_b64 s[4:5], s[0:1], 0x0
	s_lshl_b32 s1, s10, 4
	s_delay_alu instid0(VALU_DEP_1) | instskip(SKIP_1) | instid1(VALU_DEP_1)
	v_mad_u64_u32 v[6:7], null, s15, v2, v[5:6]
	s_mul_i32 s0, s15, s1
	v_mov_b32_e32 v5, v6
	v_lshlrev_b64 v[6:7], 2, v[0:1]
	s_delay_alu instid0(VALU_DEP_2) | instskip(NEXT) | instid1(VALU_DEP_1)
	v_lshlrev_b64 v[4:5], 2, v[4:5]
	v_add_co_u32 v0, vcc_lo, v4, s2
	s_delay_alu instid0(VALU_DEP_2) | instskip(SKIP_1) | instid1(VALU_DEP_2)
	v_add_co_ci_u32_e32 v4, vcc_lo, s3, v5, vcc_lo
	s_mul_hi_u32 s2, s14, s1
	v_add_co_u32 v0, vcc_lo, v0, v6
	s_delay_alu instid0(VALU_DEP_2) | instskip(SKIP_2) | instid1(VALU_DEP_2)
	v_add_co_ci_u32_e32 v5, vcc_lo, v4, v7, vcc_lo
	s_add_i32 s3, s2, s0
	s_waitcnt lgkmcnt(0)
	v_add_co_u32 v4, vcc_lo, s4, v0
	s_delay_alu instid0(VALU_DEP_2) | instskip(SKIP_1) | instid1(SALU_CYCLE_1)
	v_add_co_ci_u32_e32 v5, vcc_lo, s5, v5, vcc_lo
	s_mul_i32 s2, s14, s1
	s_lshl_b64 s[2:3], s[2:3], 2
.LBB193_3:                              ; =>This Inner Loop Header: Depth=1
	v_add_co_u32 v2, vcc_lo, v2, s1
	v_add_co_ci_u32_e32 v3, vcc_lo, 0, v3, vcc_lo
	global_store_b32 v[4:5], v1, off
	v_add_co_u32 v4, s0, v4, s2
	v_cmp_le_i64_e32 vcc_lo, s[6:7], v[2:3]
	v_add_co_ci_u32_e64 v5, s0, s3, v5, s0
	s_or_b32 s9, vcc_lo, s9
	s_delay_alu instid0(SALU_CYCLE_1)
	s_and_not1_b32 exec_lo, exec_lo, s9
	s_cbranch_execnz .LBB193_3
.LBB193_4:
	s_nop 0
	s_sendmsg sendmsg(MSG_DEALLOC_VGPRS)
	s_endpgm
	.section	.rodata,"a",@progbits
	.p2align	6, 0x0
	.amdhsa_kernel _ZL44rocblas_set_matrix_zero_if_alpha_zero_kernelILi16ELi16EfPKPfEviiT1_lT2_lli
		.amdhsa_group_segment_fixed_size 0
		.amdhsa_private_segment_fixed_size 0
		.amdhsa_kernarg_size 312
		.amdhsa_user_sgpr_count 13
		.amdhsa_user_sgpr_dispatch_ptr 0
		.amdhsa_user_sgpr_queue_ptr 0
		.amdhsa_user_sgpr_kernarg_segment_ptr 1
		.amdhsa_user_sgpr_dispatch_id 0
		.amdhsa_user_sgpr_private_segment_size 0
		.amdhsa_wavefront_size32 1
		.amdhsa_uses_dynamic_stack 0
		.amdhsa_enable_private_segment 0
		.amdhsa_system_sgpr_workgroup_id_x 1
		.amdhsa_system_sgpr_workgroup_id_y 1
		.amdhsa_system_sgpr_workgroup_id_z 1
		.amdhsa_system_sgpr_workgroup_info 0
		.amdhsa_system_vgpr_workitem_id 1
		.amdhsa_next_free_vgpr 8
		.amdhsa_next_free_sgpr 16
		.amdhsa_reserve_vcc 1
		.amdhsa_float_round_mode_32 0
		.amdhsa_float_round_mode_16_64 0
		.amdhsa_float_denorm_mode_32 3
		.amdhsa_float_denorm_mode_16_64 3
		.amdhsa_dx10_clamp 1
		.amdhsa_ieee_mode 1
		.amdhsa_fp16_overflow 0
		.amdhsa_workgroup_processor_mode 1
		.amdhsa_memory_ordered 1
		.amdhsa_forward_progress 0
		.amdhsa_shared_vgpr_count 0
		.amdhsa_exception_fp_ieee_invalid_op 0
		.amdhsa_exception_fp_denorm_src 0
		.amdhsa_exception_fp_ieee_div_zero 0
		.amdhsa_exception_fp_ieee_overflow 0
		.amdhsa_exception_fp_ieee_underflow 0
		.amdhsa_exception_fp_ieee_inexact 0
		.amdhsa_exception_int_div_zero 0
	.end_amdhsa_kernel
	.section	.text._ZL44rocblas_set_matrix_zero_if_alpha_zero_kernelILi16ELi16EfPKPfEviiT1_lT2_lli,"axG",@progbits,_ZL44rocblas_set_matrix_zero_if_alpha_zero_kernelILi16ELi16EfPKPfEviiT1_lT2_lli,comdat
.Lfunc_end193:
	.size	_ZL44rocblas_set_matrix_zero_if_alpha_zero_kernelILi16ELi16EfPKPfEviiT1_lT2_lli, .Lfunc_end193-_ZL44rocblas_set_matrix_zero_if_alpha_zero_kernelILi16ELi16EfPKPfEviiT1_lT2_lli
                                        ; -- End function
	.section	.AMDGPU.csdata,"",@progbits
; Kernel info:
; codeLenInByte = 376
; NumSgprs: 18
; NumVgprs: 8
; ScratchSize: 0
; MemoryBound: 0
; FloatMode: 240
; IeeeMode: 1
; LDSByteSize: 0 bytes/workgroup (compile time only)
; SGPRBlocks: 2
; VGPRBlocks: 0
; NumSGPRsForWavesPerEU: 18
; NumVGPRsForWavesPerEU: 8
; Occupancy: 16
; WaveLimiterHint : 0
; COMPUTE_PGM_RSRC2:SCRATCH_EN: 0
; COMPUTE_PGM_RSRC2:USER_SGPR: 13
; COMPUTE_PGM_RSRC2:TRAP_HANDLER: 0
; COMPUTE_PGM_RSRC2:TGID_X_EN: 1
; COMPUTE_PGM_RSRC2:TGID_Y_EN: 1
; COMPUTE_PGM_RSRC2:TGID_Z_EN: 1
; COMPUTE_PGM_RSRC2:TIDIG_COMP_CNT: 1
	.section	.text._ZL44rocblas_set_matrix_zero_if_alpha_zero_kernelILi16ELi16EPKfPfEviiT1_lT2_lli,"axG",@progbits,_ZL44rocblas_set_matrix_zero_if_alpha_zero_kernelILi16ELi16EPKfPfEviiT1_lT2_lli,comdat
	.globl	_ZL44rocblas_set_matrix_zero_if_alpha_zero_kernelILi16ELi16EPKfPfEviiT1_lT2_lli ; -- Begin function _ZL44rocblas_set_matrix_zero_if_alpha_zero_kernelILi16ELi16EPKfPfEviiT1_lT2_lli
	.p2align	8
	.type	_ZL44rocblas_set_matrix_zero_if_alpha_zero_kernelILi16ELi16EPKfPfEviiT1_lT2_lli,@function
_ZL44rocblas_set_matrix_zero_if_alpha_zero_kernelILi16ELi16EPKfPfEviiT1_lT2_lli: ; @_ZL44rocblas_set_matrix_zero_if_alpha_zero_kernelILi16ELi16EPKfPfEviiT1_lT2_lli
; %bb.0:
	s_load_b256 s[4:11], s[0:1], 0x8
	s_waitcnt lgkmcnt(0)
	s_mul_i32 s2, s15, s7
	s_mul_hi_u32 s3, s15, s6
	s_delay_alu instid0(SALU_CYCLE_1) | instskip(SKIP_3) | instid1(SALU_CYCLE_1)
	s_add_i32 s3, s3, s2
	s_mul_i32 s2, s15, s6
	s_mov_b32 s6, 0
	s_lshl_b64 s[2:3], s[2:3], 2
	s_add_u32 s2, s4, s2
	s_addc_u32 s3, s5, s3
	s_load_b32 s2, s[2:3], 0x0
	s_waitcnt lgkmcnt(0)
	v_cmp_neq_f32_e64 s2, s2, 0
	s_delay_alu instid0(VALU_DEP_1)
	s_and_b32 vcc_lo, exec_lo, s2
	s_cbranch_vccnz .LBB194_4
; %bb.1:
	s_load_b64 s[2:3], s[0:1], 0x0
	v_dual_mov_b32 v1, 0 :: v_dual_and_b32 v2, 0x3ff, v0
	v_bfe_u32 v3, v0, 10, 10
	s_delay_alu instid0(VALU_DEP_2) | instskip(NEXT) | instid1(VALU_DEP_2)
	v_lshl_add_u32 v0, s13, 4, v2
	v_lshl_add_u32 v2, s14, 4, v3
	s_delay_alu instid0(VALU_DEP_4)
	v_mov_b32_e32 v3, v1
	s_waitcnt lgkmcnt(0)
	s_ashr_i32 s13, s2, 31
	s_mov_b32 s12, s2
	s_ashr_i32 s5, s3, 31
	s_mov_b32 s4, s3
	v_cmp_gt_i64_e32 vcc_lo, s[12:13], v[0:1]
	v_cmp_gt_i64_e64 s2, s[4:5], v[2:3]
	s_delay_alu instid0(VALU_DEP_1) | instskip(NEXT) | instid1(SALU_CYCLE_1)
	s_and_b32 s2, vcc_lo, s2
	s_and_saveexec_b32 s3, s2
	s_cbranch_execz .LBB194_4
; %bb.2:
	v_mad_u64_u32 v[4:5], null, s10, v2, 0
	s_clause 0x1
	s_load_b64 s[2:3], s[0:1], 0x28
	s_load_b32 s0, s[0:1], 0x3c
	s_delay_alu instid0(VALU_DEP_1) | instskip(NEXT) | instid1(VALU_DEP_1)
	v_mad_u64_u32 v[6:7], null, s11, v2, v[5:6]
	v_mov_b32_e32 v5, v6
	v_lshlrev_b64 v[6:7], 2, v[0:1]
	s_waitcnt lgkmcnt(0)
	s_mul_i32 s1, s3, s15
	s_mul_hi_u32 s3, s2, s15
	v_lshlrev_b64 v[4:5], 2, v[4:5]
	s_mul_i32 s2, s2, s15
	s_add_i32 s3, s3, s1
	s_lshl_b32 s1, s0, 4
	s_lshl_b64 s[2:3], s[2:3], 2
	s_mul_i32 s0, s11, s1
	v_add_co_u32 v0, vcc_lo, s2, v4
	v_add_co_ci_u32_e32 v4, vcc_lo, s3, v5, vcc_lo
	s_mul_hi_u32 s2, s10, s1
	s_delay_alu instid0(VALU_DEP_2) | instskip(NEXT) | instid1(VALU_DEP_2)
	v_add_co_u32 v0, vcc_lo, v0, v6
	v_add_co_ci_u32_e32 v5, vcc_lo, v4, v7, vcc_lo
	s_add_i32 s3, s2, s0
	s_delay_alu instid0(VALU_DEP_2) | instskip(NEXT) | instid1(VALU_DEP_2)
	v_add_co_u32 v4, vcc_lo, s8, v0
	v_add_co_ci_u32_e32 v5, vcc_lo, s9, v5, vcc_lo
	s_mul_i32 s2, s10, s1
	s_delay_alu instid0(SALU_CYCLE_1)
	s_lshl_b64 s[2:3], s[2:3], 2
.LBB194_3:                              ; =>This Inner Loop Header: Depth=1
	v_add_co_u32 v2, vcc_lo, v2, s1
	v_add_co_ci_u32_e32 v3, vcc_lo, 0, v3, vcc_lo
	global_store_b32 v[4:5], v1, off
	v_add_co_u32 v4, s0, v4, s2
	v_cmp_le_i64_e32 vcc_lo, s[4:5], v[2:3]
	v_add_co_ci_u32_e64 v5, s0, s3, v5, s0
	s_or_b32 s6, vcc_lo, s6
	s_delay_alu instid0(SALU_CYCLE_1)
	s_and_not1_b32 exec_lo, exec_lo, s6
	s_cbranch_execnz .LBB194_3
.LBB194_4:
	s_nop 0
	s_sendmsg sendmsg(MSG_DEALLOC_VGPRS)
	s_endpgm
	.section	.rodata,"a",@progbits
	.p2align	6, 0x0
	.amdhsa_kernel _ZL44rocblas_set_matrix_zero_if_alpha_zero_kernelILi16ELi16EPKfPfEviiT1_lT2_lli
		.amdhsa_group_segment_fixed_size 0
		.amdhsa_private_segment_fixed_size 0
		.amdhsa_kernarg_size 312
		.amdhsa_user_sgpr_count 13
		.amdhsa_user_sgpr_dispatch_ptr 0
		.amdhsa_user_sgpr_queue_ptr 0
		.amdhsa_user_sgpr_kernarg_segment_ptr 1
		.amdhsa_user_sgpr_dispatch_id 0
		.amdhsa_user_sgpr_private_segment_size 0
		.amdhsa_wavefront_size32 1
		.amdhsa_uses_dynamic_stack 0
		.amdhsa_enable_private_segment 0
		.amdhsa_system_sgpr_workgroup_id_x 1
		.amdhsa_system_sgpr_workgroup_id_y 1
		.amdhsa_system_sgpr_workgroup_id_z 1
		.amdhsa_system_sgpr_workgroup_info 0
		.amdhsa_system_vgpr_workitem_id 1
		.amdhsa_next_free_vgpr 8
		.amdhsa_next_free_sgpr 16
		.amdhsa_reserve_vcc 1
		.amdhsa_float_round_mode_32 0
		.amdhsa_float_round_mode_16_64 0
		.amdhsa_float_denorm_mode_32 3
		.amdhsa_float_denorm_mode_16_64 3
		.amdhsa_dx10_clamp 1
		.amdhsa_ieee_mode 1
		.amdhsa_fp16_overflow 0
		.amdhsa_workgroup_processor_mode 1
		.amdhsa_memory_ordered 1
		.amdhsa_forward_progress 0
		.amdhsa_shared_vgpr_count 0
		.amdhsa_exception_fp_ieee_invalid_op 0
		.amdhsa_exception_fp_denorm_src 0
		.amdhsa_exception_fp_ieee_div_zero 0
		.amdhsa_exception_fp_ieee_overflow 0
		.amdhsa_exception_fp_ieee_underflow 0
		.amdhsa_exception_fp_ieee_inexact 0
		.amdhsa_exception_int_div_zero 0
	.end_amdhsa_kernel
	.section	.text._ZL44rocblas_set_matrix_zero_if_alpha_zero_kernelILi16ELi16EPKfPfEviiT1_lT2_lli,"axG",@progbits,_ZL44rocblas_set_matrix_zero_if_alpha_zero_kernelILi16ELi16EPKfPfEviiT1_lT2_lli,comdat
.Lfunc_end194:
	.size	_ZL44rocblas_set_matrix_zero_if_alpha_zero_kernelILi16ELi16EPKfPfEviiT1_lT2_lli, .Lfunc_end194-_ZL44rocblas_set_matrix_zero_if_alpha_zero_kernelILi16ELi16EPKfPfEviiT1_lT2_lli
                                        ; -- End function
	.section	.AMDGPU.csdata,"",@progbits
; Kernel info:
; codeLenInByte = 408
; NumSgprs: 18
; NumVgprs: 8
; ScratchSize: 0
; MemoryBound: 0
; FloatMode: 240
; IeeeMode: 1
; LDSByteSize: 0 bytes/workgroup (compile time only)
; SGPRBlocks: 2
; VGPRBlocks: 0
; NumSGPRsForWavesPerEU: 18
; NumVGPRsForWavesPerEU: 8
; Occupancy: 16
; WaveLimiterHint : 0
; COMPUTE_PGM_RSRC2:SCRATCH_EN: 0
; COMPUTE_PGM_RSRC2:USER_SGPR: 13
; COMPUTE_PGM_RSRC2:TRAP_HANDLER: 0
; COMPUTE_PGM_RSRC2:TGID_X_EN: 1
; COMPUTE_PGM_RSRC2:TGID_Y_EN: 1
; COMPUTE_PGM_RSRC2:TGID_Z_EN: 1
; COMPUTE_PGM_RSRC2:TIDIG_COMP_CNT: 1
	.section	.text._ZL44rocblas_set_matrix_zero_if_alpha_zero_kernelILi16ELi16EfPfEviiT1_lT2_lli,"axG",@progbits,_ZL44rocblas_set_matrix_zero_if_alpha_zero_kernelILi16ELi16EfPfEviiT1_lT2_lli,comdat
	.globl	_ZL44rocblas_set_matrix_zero_if_alpha_zero_kernelILi16ELi16EfPfEviiT1_lT2_lli ; -- Begin function _ZL44rocblas_set_matrix_zero_if_alpha_zero_kernelILi16ELi16EfPfEviiT1_lT2_lli
	.p2align	8
	.type	_ZL44rocblas_set_matrix_zero_if_alpha_zero_kernelILi16ELi16EfPfEviiT1_lT2_lli,@function
_ZL44rocblas_set_matrix_zero_if_alpha_zero_kernelILi16ELi16EfPfEviiT1_lT2_lli: ; @_ZL44rocblas_set_matrix_zero_if_alpha_zero_kernelILi16ELi16EfPfEviiT1_lT2_lli
; %bb.0:
	s_load_b128 s[4:7], s[0:1], 0x0
	s_waitcnt lgkmcnt(0)
	v_cmp_neq_f32_e64 s2, s6, 0
	s_delay_alu instid0(VALU_DEP_1)
	s_and_b32 vcc_lo, exec_lo, s2
	s_cbranch_vccnz .LBB195_4
; %bb.1:
	v_dual_mov_b32 v1, 0 :: v_dual_and_b32 v2, 0x3ff, v0
	v_bfe_u32 v3, v0, 10, 10
	s_ashr_i32 s3, s4, 31
	s_mov_b32 s2, s4
	s_delay_alu instid0(VALU_DEP_2)
	v_lshl_add_u32 v0, s13, 4, v2
	s_ashr_i32 s7, s5, 31
	v_lshl_add_u32 v2, s14, 4, v3
	v_mov_b32_e32 v3, v1
	s_mov_b32 s6, s5
	v_cmp_gt_i64_e32 vcc_lo, s[2:3], v[0:1]
	s_mov_b32 s4, 0
	s_delay_alu instid0(VALU_DEP_2) | instskip(NEXT) | instid1(VALU_DEP_1)
	v_cmp_gt_i64_e64 s2, s[6:7], v[2:3]
	s_and_b32 s2, vcc_lo, s2
	s_delay_alu instid0(SALU_CYCLE_1)
	s_and_saveexec_b32 s3, s2
	s_cbranch_execz .LBB195_4
; %bb.2:
	s_clause 0x2
	s_load_b128 s[8:11], s[0:1], 0x18
	s_load_b64 s[2:3], s[0:1], 0x28
	s_load_b32 s0, s[0:1], 0x3c
	s_waitcnt lgkmcnt(0)
	v_mad_u64_u32 v[4:5], null, s10, v2, 0
	s_mul_i32 s1, s3, s15
	s_mul_hi_u32 s3, s2, s15
	s_mul_i32 s2, s2, s15
	s_add_i32 s3, s3, s1
	s_lshl_b32 s1, s0, 4
	s_lshl_b64 s[2:3], s[2:3], 2
	s_delay_alu instid0(VALU_DEP_1) | instskip(SKIP_1) | instid1(VALU_DEP_1)
	v_mad_u64_u32 v[6:7], null, s11, v2, v[5:6]
	s_mul_i32 s0, s11, s1
	v_mov_b32_e32 v5, v6
	v_lshlrev_b64 v[6:7], 2, v[0:1]
	s_delay_alu instid0(VALU_DEP_2) | instskip(NEXT) | instid1(VALU_DEP_1)
	v_lshlrev_b64 v[4:5], 2, v[4:5]
	v_add_co_u32 v0, vcc_lo, s2, v4
	s_delay_alu instid0(VALU_DEP_2) | instskip(SKIP_1) | instid1(VALU_DEP_2)
	v_add_co_ci_u32_e32 v4, vcc_lo, s3, v5, vcc_lo
	s_mul_hi_u32 s2, s10, s1
	v_add_co_u32 v0, vcc_lo, v0, v6
	s_delay_alu instid0(VALU_DEP_2) | instskip(SKIP_1) | instid1(VALU_DEP_2)
	v_add_co_ci_u32_e32 v5, vcc_lo, v4, v7, vcc_lo
	s_add_i32 s3, s2, s0
	v_add_co_u32 v4, vcc_lo, s8, v0
	s_delay_alu instid0(VALU_DEP_2) | instskip(SKIP_1) | instid1(SALU_CYCLE_1)
	v_add_co_ci_u32_e32 v5, vcc_lo, s9, v5, vcc_lo
	s_mul_i32 s2, s10, s1
	s_lshl_b64 s[2:3], s[2:3], 2
.LBB195_3:                              ; =>This Inner Loop Header: Depth=1
	v_add_co_u32 v2, vcc_lo, v2, s1
	v_add_co_ci_u32_e32 v3, vcc_lo, 0, v3, vcc_lo
	global_store_b32 v[4:5], v1, off
	v_add_co_u32 v4, s0, v4, s2
	v_cmp_le_i64_e32 vcc_lo, s[6:7], v[2:3]
	v_add_co_ci_u32_e64 v5, s0, s3, v5, s0
	s_or_b32 s4, vcc_lo, s4
	s_delay_alu instid0(SALU_CYCLE_1)
	s_and_not1_b32 exec_lo, exec_lo, s4
	s_cbranch_execnz .LBB195_3
.LBB195_4:
	s_nop 0
	s_sendmsg sendmsg(MSG_DEALLOC_VGPRS)
	s_endpgm
	.section	.rodata,"a",@progbits
	.p2align	6, 0x0
	.amdhsa_kernel _ZL44rocblas_set_matrix_zero_if_alpha_zero_kernelILi16ELi16EfPfEviiT1_lT2_lli
		.amdhsa_group_segment_fixed_size 0
		.amdhsa_private_segment_fixed_size 0
		.amdhsa_kernarg_size 312
		.amdhsa_user_sgpr_count 13
		.amdhsa_user_sgpr_dispatch_ptr 0
		.amdhsa_user_sgpr_queue_ptr 0
		.amdhsa_user_sgpr_kernarg_segment_ptr 1
		.amdhsa_user_sgpr_dispatch_id 0
		.amdhsa_user_sgpr_private_segment_size 0
		.amdhsa_wavefront_size32 1
		.amdhsa_uses_dynamic_stack 0
		.amdhsa_enable_private_segment 0
		.amdhsa_system_sgpr_workgroup_id_x 1
		.amdhsa_system_sgpr_workgroup_id_y 1
		.amdhsa_system_sgpr_workgroup_id_z 1
		.amdhsa_system_sgpr_workgroup_info 0
		.amdhsa_system_vgpr_workitem_id 1
		.amdhsa_next_free_vgpr 8
		.amdhsa_next_free_sgpr 16
		.amdhsa_reserve_vcc 1
		.amdhsa_float_round_mode_32 0
		.amdhsa_float_round_mode_16_64 0
		.amdhsa_float_denorm_mode_32 3
		.amdhsa_float_denorm_mode_16_64 3
		.amdhsa_dx10_clamp 1
		.amdhsa_ieee_mode 1
		.amdhsa_fp16_overflow 0
		.amdhsa_workgroup_processor_mode 1
		.amdhsa_memory_ordered 1
		.amdhsa_forward_progress 0
		.amdhsa_shared_vgpr_count 0
		.amdhsa_exception_fp_ieee_invalid_op 0
		.amdhsa_exception_fp_denorm_src 0
		.amdhsa_exception_fp_ieee_div_zero 0
		.amdhsa_exception_fp_ieee_overflow 0
		.amdhsa_exception_fp_ieee_underflow 0
		.amdhsa_exception_fp_ieee_inexact 0
		.amdhsa_exception_int_div_zero 0
	.end_amdhsa_kernel
	.section	.text._ZL44rocblas_set_matrix_zero_if_alpha_zero_kernelILi16ELi16EfPfEviiT1_lT2_lli,"axG",@progbits,_ZL44rocblas_set_matrix_zero_if_alpha_zero_kernelILi16ELi16EfPfEviiT1_lT2_lli,comdat
.Lfunc_end195:
	.size	_ZL44rocblas_set_matrix_zero_if_alpha_zero_kernelILi16ELi16EfPfEviiT1_lT2_lli, .Lfunc_end195-_ZL44rocblas_set_matrix_zero_if_alpha_zero_kernelILi16ELi16EfPfEviiT1_lT2_lli
                                        ; -- End function
	.section	.AMDGPU.csdata,"",@progbits
; Kernel info:
; codeLenInByte = 364
; NumSgprs: 18
; NumVgprs: 8
; ScratchSize: 0
; MemoryBound: 0
; FloatMode: 240
; IeeeMode: 1
; LDSByteSize: 0 bytes/workgroup (compile time only)
; SGPRBlocks: 2
; VGPRBlocks: 0
; NumSGPRsForWavesPerEU: 18
; NumVGPRsForWavesPerEU: 8
; Occupancy: 16
; WaveLimiterHint : 0
; COMPUTE_PGM_RSRC2:SCRATCH_EN: 0
; COMPUTE_PGM_RSRC2:USER_SGPR: 13
; COMPUTE_PGM_RSRC2:TRAP_HANDLER: 0
; COMPUTE_PGM_RSRC2:TGID_X_EN: 1
; COMPUTE_PGM_RSRC2:TGID_Y_EN: 1
; COMPUTE_PGM_RSRC2:TGID_Z_EN: 1
; COMPUTE_PGM_RSRC2:TIDIG_COMP_CNT: 1
	.section	.text._ZL44rocblas_set_matrix_zero_if_alpha_zero_kernelILi16ELi16EPKdPdEviiT1_lT2_lli,"axG",@progbits,_ZL44rocblas_set_matrix_zero_if_alpha_zero_kernelILi16ELi16EPKdPdEviiT1_lT2_lli,comdat
	.globl	_ZL44rocblas_set_matrix_zero_if_alpha_zero_kernelILi16ELi16EPKdPdEviiT1_lT2_lli ; -- Begin function _ZL44rocblas_set_matrix_zero_if_alpha_zero_kernelILi16ELi16EPKdPdEviiT1_lT2_lli
	.p2align	8
	.type	_ZL44rocblas_set_matrix_zero_if_alpha_zero_kernelILi16ELi16EPKdPdEviiT1_lT2_lli,@function
_ZL44rocblas_set_matrix_zero_if_alpha_zero_kernelILi16ELi16EPKdPdEviiT1_lT2_lli: ; @_ZL44rocblas_set_matrix_zero_if_alpha_zero_kernelILi16ELi16EPKdPdEviiT1_lT2_lli
; %bb.0:
	s_load_b256 s[4:11], s[0:1], 0x8
	s_waitcnt lgkmcnt(0)
	s_mul_i32 s2, s15, s7
	s_mul_hi_u32 s3, s15, s6
	s_delay_alu instid0(SALU_CYCLE_1) | instskip(SKIP_1) | instid1(SALU_CYCLE_1)
	s_add_i32 s3, s3, s2
	s_mul_i32 s2, s15, s6
	s_lshl_b64 s[2:3], s[2:3], 3
	s_delay_alu instid0(SALU_CYCLE_1) | instskip(SKIP_4) | instid1(VALU_DEP_1)
	s_add_u32 s2, s4, s2
	s_addc_u32 s3, s5, s3
	s_load_b64 s[2:3], s[2:3], 0x0
	s_waitcnt lgkmcnt(0)
	v_cmp_neq_f64_e64 s2, s[2:3], 0
	s_and_b32 vcc_lo, exec_lo, s2
	s_cbranch_vccnz .LBB196_4
; %bb.1:
	s_load_b64 s[2:3], s[0:1], 0x0
	v_dual_mov_b32 v1, 0 :: v_dual_and_b32 v2, 0x3ff, v0
	v_bfe_u32 v3, v0, 10, 10
	s_delay_alu instid0(VALU_DEP_2) | instskip(NEXT) | instid1(VALU_DEP_2)
	v_lshl_add_u32 v0, s13, 4, v2
	v_lshl_add_u32 v2, s14, 4, v3
	s_delay_alu instid0(VALU_DEP_4)
	v_mov_b32_e32 v3, v1
	s_waitcnt lgkmcnt(0)
	s_ashr_i32 s7, s2, 31
	s_mov_b32 s6, s2
	s_ashr_i32 s5, s3, 31
	s_mov_b32 s4, s3
	v_cmp_gt_i64_e32 vcc_lo, s[6:7], v[0:1]
	v_cmp_gt_i64_e64 s2, s[4:5], v[2:3]
	s_mov_b32 s6, 0
	s_delay_alu instid0(VALU_DEP_1) | instskip(NEXT) | instid1(SALU_CYCLE_1)
	s_and_b32 s2, vcc_lo, s2
	s_and_saveexec_b32 s3, s2
	s_cbranch_execz .LBB196_4
; %bb.2:
	v_mad_u64_u32 v[4:5], null, s10, v2, 0
	s_clause 0x1
	s_load_b32 s7, s[0:1], 0x3c
	s_load_b64 s[2:3], s[0:1], 0x28
	s_delay_alu instid0(VALU_DEP_1) | instskip(NEXT) | instid1(VALU_DEP_1)
	v_mad_u64_u32 v[6:7], null, s11, v2, v[5:6]
	v_mov_b32_e32 v5, v6
	v_lshlrev_b64 v[6:7], 3, v[0:1]
	s_waitcnt lgkmcnt(0)
	s_lshl_b32 s1, s7, 4
	s_mul_i32 s0, s3, s15
	s_mul_hi_u32 s3, s2, s15
	v_lshlrev_b64 v[4:5], 3, v[4:5]
	s_mul_i32 s2, s2, s15
	s_add_i32 s3, s3, s0
	s_mul_i32 s0, s11, s1
	s_lshl_b64 s[2:3], s[2:3], 3
	s_delay_alu instid0(VALU_DEP_1) | instid1(SALU_CYCLE_1)
	v_add_co_u32 v0, vcc_lo, s2, v4
	v_add_co_ci_u32_e32 v4, vcc_lo, s3, v5, vcc_lo
	s_mul_hi_u32 s2, s10, s1
	s_delay_alu instid0(VALU_DEP_2) | instskip(NEXT) | instid1(VALU_DEP_2)
	v_add_co_u32 v0, vcc_lo, v0, v6
	v_add_co_ci_u32_e32 v5, vcc_lo, v4, v7, vcc_lo
	s_add_i32 s3, s2, s0
	s_delay_alu instid0(VALU_DEP_2) | instskip(SKIP_1) | instid1(VALU_DEP_3)
	v_add_co_u32 v4, vcc_lo, s8, v0
	v_mov_b32_e32 v0, v1
	v_add_co_ci_u32_e32 v5, vcc_lo, s9, v5, vcc_lo
	s_mul_i32 s2, s10, s1
	s_delay_alu instid0(SALU_CYCLE_1)
	s_lshl_b64 s[2:3], s[2:3], 3
.LBB196_3:                              ; =>This Inner Loop Header: Depth=1
	v_add_co_u32 v2, vcc_lo, v2, s1
	v_add_co_ci_u32_e32 v3, vcc_lo, 0, v3, vcc_lo
	global_store_b64 v[4:5], v[0:1], off
	v_add_co_u32 v4, s0, v4, s2
	v_cmp_le_i64_e32 vcc_lo, s[4:5], v[2:3]
	v_add_co_ci_u32_e64 v5, s0, s3, v5, s0
	s_or_b32 s6, vcc_lo, s6
	s_delay_alu instid0(SALU_CYCLE_1)
	s_and_not1_b32 exec_lo, exec_lo, s6
	s_cbranch_execnz .LBB196_3
.LBB196_4:
	s_nop 0
	s_sendmsg sendmsg(MSG_DEALLOC_VGPRS)
	s_endpgm
	.section	.rodata,"a",@progbits
	.p2align	6, 0x0
	.amdhsa_kernel _ZL44rocblas_set_matrix_zero_if_alpha_zero_kernelILi16ELi16EPKdPdEviiT1_lT2_lli
		.amdhsa_group_segment_fixed_size 0
		.amdhsa_private_segment_fixed_size 0
		.amdhsa_kernarg_size 312
		.amdhsa_user_sgpr_count 13
		.amdhsa_user_sgpr_dispatch_ptr 0
		.amdhsa_user_sgpr_queue_ptr 0
		.amdhsa_user_sgpr_kernarg_segment_ptr 1
		.amdhsa_user_sgpr_dispatch_id 0
		.amdhsa_user_sgpr_private_segment_size 0
		.amdhsa_wavefront_size32 1
		.amdhsa_uses_dynamic_stack 0
		.amdhsa_enable_private_segment 0
		.amdhsa_system_sgpr_workgroup_id_x 1
		.amdhsa_system_sgpr_workgroup_id_y 1
		.amdhsa_system_sgpr_workgroup_id_z 1
		.amdhsa_system_sgpr_workgroup_info 0
		.amdhsa_system_vgpr_workitem_id 1
		.amdhsa_next_free_vgpr 8
		.amdhsa_next_free_sgpr 16
		.amdhsa_reserve_vcc 1
		.amdhsa_float_round_mode_32 0
		.amdhsa_float_round_mode_16_64 0
		.amdhsa_float_denorm_mode_32 3
		.amdhsa_float_denorm_mode_16_64 3
		.amdhsa_dx10_clamp 1
		.amdhsa_ieee_mode 1
		.amdhsa_fp16_overflow 0
		.amdhsa_workgroup_processor_mode 1
		.amdhsa_memory_ordered 1
		.amdhsa_forward_progress 0
		.amdhsa_shared_vgpr_count 0
		.amdhsa_exception_fp_ieee_invalid_op 0
		.amdhsa_exception_fp_denorm_src 0
		.amdhsa_exception_fp_ieee_div_zero 0
		.amdhsa_exception_fp_ieee_overflow 0
		.amdhsa_exception_fp_ieee_underflow 0
		.amdhsa_exception_fp_ieee_inexact 0
		.amdhsa_exception_int_div_zero 0
	.end_amdhsa_kernel
	.section	.text._ZL44rocblas_set_matrix_zero_if_alpha_zero_kernelILi16ELi16EPKdPdEviiT1_lT2_lli,"axG",@progbits,_ZL44rocblas_set_matrix_zero_if_alpha_zero_kernelILi16ELi16EPKdPdEviiT1_lT2_lli,comdat
.Lfunc_end196:
	.size	_ZL44rocblas_set_matrix_zero_if_alpha_zero_kernelILi16ELi16EPKdPdEviiT1_lT2_lli, .Lfunc_end196-_ZL44rocblas_set_matrix_zero_if_alpha_zero_kernelILi16ELi16EPKdPdEviiT1_lT2_lli
                                        ; -- End function
	.section	.AMDGPU.csdata,"",@progbits
; Kernel info:
; codeLenInByte = 416
; NumSgprs: 18
; NumVgprs: 8
; ScratchSize: 0
; MemoryBound: 0
; FloatMode: 240
; IeeeMode: 1
; LDSByteSize: 0 bytes/workgroup (compile time only)
; SGPRBlocks: 2
; VGPRBlocks: 0
; NumSGPRsForWavesPerEU: 18
; NumVGPRsForWavesPerEU: 8
; Occupancy: 16
; WaveLimiterHint : 0
; COMPUTE_PGM_RSRC2:SCRATCH_EN: 0
; COMPUTE_PGM_RSRC2:USER_SGPR: 13
; COMPUTE_PGM_RSRC2:TRAP_HANDLER: 0
; COMPUTE_PGM_RSRC2:TGID_X_EN: 1
; COMPUTE_PGM_RSRC2:TGID_Y_EN: 1
; COMPUTE_PGM_RSRC2:TGID_Z_EN: 1
; COMPUTE_PGM_RSRC2:TIDIG_COMP_CNT: 1
	.section	.text._ZL44rocblas_set_matrix_zero_if_alpha_zero_kernelILi16ELi16EdPdEviiT1_lT2_lli,"axG",@progbits,_ZL44rocblas_set_matrix_zero_if_alpha_zero_kernelILi16ELi16EdPdEviiT1_lT2_lli,comdat
	.globl	_ZL44rocblas_set_matrix_zero_if_alpha_zero_kernelILi16ELi16EdPdEviiT1_lT2_lli ; -- Begin function _ZL44rocblas_set_matrix_zero_if_alpha_zero_kernelILi16ELi16EdPdEviiT1_lT2_lli
	.p2align	8
	.type	_ZL44rocblas_set_matrix_zero_if_alpha_zero_kernelILi16ELi16EdPdEviiT1_lT2_lli,@function
_ZL44rocblas_set_matrix_zero_if_alpha_zero_kernelILi16ELi16EdPdEviiT1_lT2_lli: ; @_ZL44rocblas_set_matrix_zero_if_alpha_zero_kernelILi16ELi16EdPdEviiT1_lT2_lli
; %bb.0:
	s_load_b64 s[2:3], s[0:1], 0x8
	s_waitcnt lgkmcnt(0)
	v_cmp_neq_f64_e64 s2, s[2:3], 0
	s_delay_alu instid0(VALU_DEP_1)
	s_and_b32 vcc_lo, exec_lo, s2
	s_cbranch_vccnz .LBB197_4
; %bb.1:
	s_load_b64 s[2:3], s[0:1], 0x0
	v_dual_mov_b32 v1, 0 :: v_dual_and_b32 v2, 0x3ff, v0
	v_bfe_u32 v3, v0, 10, 10
	s_delay_alu instid0(VALU_DEP_2) | instskip(NEXT) | instid1(VALU_DEP_2)
	v_lshl_add_u32 v0, s13, 4, v2
	v_lshl_add_u32 v2, s14, 4, v3
	s_delay_alu instid0(VALU_DEP_4)
	v_mov_b32_e32 v3, v1
	s_waitcnt lgkmcnt(0)
	s_ashr_i32 s7, s2, 31
	s_mov_b32 s6, s2
	s_ashr_i32 s5, s3, 31
	s_mov_b32 s4, s3
	v_cmp_gt_i64_e32 vcc_lo, s[6:7], v[0:1]
	v_cmp_gt_i64_e64 s2, s[4:5], v[2:3]
	s_mov_b32 s6, 0
	s_delay_alu instid0(VALU_DEP_1) | instskip(NEXT) | instid1(SALU_CYCLE_1)
	s_and_b32 s2, vcc_lo, s2
	s_and_saveexec_b32 s3, s2
	s_cbranch_execz .LBB197_4
; %bb.2:
	s_clause 0x2
	s_load_b128 s[8:11], s[0:1], 0x18
	s_load_b64 s[2:3], s[0:1], 0x28
	s_load_b32 s0, s[0:1], 0x3c
	s_waitcnt lgkmcnt(0)
	v_mad_u64_u32 v[4:5], null, s10, v2, 0
	s_lshl_b32 s1, s0, 4
	s_mul_i32 s0, s3, s15
	s_mul_hi_u32 s3, s2, s15
	s_mul_i32 s2, s2, s15
	s_add_i32 s3, s3, s0
	s_mul_i32 s0, s11, s1
	s_delay_alu instid0(VALU_DEP_1) | instskip(SKIP_1) | instid1(VALU_DEP_1)
	v_mad_u64_u32 v[6:7], null, s11, v2, v[5:6]
	s_lshl_b64 s[2:3], s[2:3], 3
	v_mov_b32_e32 v5, v6
	v_lshlrev_b64 v[6:7], 3, v[0:1]
	s_delay_alu instid0(VALU_DEP_2) | instskip(NEXT) | instid1(VALU_DEP_1)
	v_lshlrev_b64 v[4:5], 3, v[4:5]
	v_add_co_u32 v0, vcc_lo, s2, v4
	s_delay_alu instid0(VALU_DEP_2) | instskip(SKIP_1) | instid1(VALU_DEP_2)
	v_add_co_ci_u32_e32 v4, vcc_lo, s3, v5, vcc_lo
	s_mul_hi_u32 s2, s10, s1
	v_add_co_u32 v0, vcc_lo, v0, v6
	s_delay_alu instid0(VALU_DEP_2) | instskip(SKIP_1) | instid1(VALU_DEP_2)
	v_add_co_ci_u32_e32 v5, vcc_lo, v4, v7, vcc_lo
	s_add_i32 s3, s2, s0
	v_add_co_u32 v4, vcc_lo, s8, v0
	v_mov_b32_e32 v0, v1
	s_delay_alu instid0(VALU_DEP_3) | instskip(SKIP_1) | instid1(SALU_CYCLE_1)
	v_add_co_ci_u32_e32 v5, vcc_lo, s9, v5, vcc_lo
	s_mul_i32 s2, s10, s1
	s_lshl_b64 s[2:3], s[2:3], 3
.LBB197_3:                              ; =>This Inner Loop Header: Depth=1
	v_add_co_u32 v2, vcc_lo, v2, s1
	v_add_co_ci_u32_e32 v3, vcc_lo, 0, v3, vcc_lo
	global_store_b64 v[4:5], v[0:1], off
	v_add_co_u32 v4, s0, v4, s2
	v_cmp_le_i64_e32 vcc_lo, s[4:5], v[2:3]
	v_add_co_ci_u32_e64 v5, s0, s3, v5, s0
	s_or_b32 s6, vcc_lo, s6
	s_delay_alu instid0(SALU_CYCLE_1)
	s_and_not1_b32 exec_lo, exec_lo, s6
	s_cbranch_execnz .LBB197_3
.LBB197_4:
	s_nop 0
	s_sendmsg sendmsg(MSG_DEALLOC_VGPRS)
	s_endpgm
	.section	.rodata,"a",@progbits
	.p2align	6, 0x0
	.amdhsa_kernel _ZL44rocblas_set_matrix_zero_if_alpha_zero_kernelILi16ELi16EdPdEviiT1_lT2_lli
		.amdhsa_group_segment_fixed_size 0
		.amdhsa_private_segment_fixed_size 0
		.amdhsa_kernarg_size 312
		.amdhsa_user_sgpr_count 13
		.amdhsa_user_sgpr_dispatch_ptr 0
		.amdhsa_user_sgpr_queue_ptr 0
		.amdhsa_user_sgpr_kernarg_segment_ptr 1
		.amdhsa_user_sgpr_dispatch_id 0
		.amdhsa_user_sgpr_private_segment_size 0
		.amdhsa_wavefront_size32 1
		.amdhsa_uses_dynamic_stack 0
		.amdhsa_enable_private_segment 0
		.amdhsa_system_sgpr_workgroup_id_x 1
		.amdhsa_system_sgpr_workgroup_id_y 1
		.amdhsa_system_sgpr_workgroup_id_z 1
		.amdhsa_system_sgpr_workgroup_info 0
		.amdhsa_system_vgpr_workitem_id 1
		.amdhsa_next_free_vgpr 8
		.amdhsa_next_free_sgpr 16
		.amdhsa_reserve_vcc 1
		.amdhsa_float_round_mode_32 0
		.amdhsa_float_round_mode_16_64 0
		.amdhsa_float_denorm_mode_32 3
		.amdhsa_float_denorm_mode_16_64 3
		.amdhsa_dx10_clamp 1
		.amdhsa_ieee_mode 1
		.amdhsa_fp16_overflow 0
		.amdhsa_workgroup_processor_mode 1
		.amdhsa_memory_ordered 1
		.amdhsa_forward_progress 0
		.amdhsa_shared_vgpr_count 0
		.amdhsa_exception_fp_ieee_invalid_op 0
		.amdhsa_exception_fp_denorm_src 0
		.amdhsa_exception_fp_ieee_div_zero 0
		.amdhsa_exception_fp_ieee_overflow 0
		.amdhsa_exception_fp_ieee_underflow 0
		.amdhsa_exception_fp_ieee_inexact 0
		.amdhsa_exception_int_div_zero 0
	.end_amdhsa_kernel
	.section	.text._ZL44rocblas_set_matrix_zero_if_alpha_zero_kernelILi16ELi16EdPdEviiT1_lT2_lli,"axG",@progbits,_ZL44rocblas_set_matrix_zero_if_alpha_zero_kernelILi16ELi16EdPdEviiT1_lT2_lli,comdat
.Lfunc_end197:
	.size	_ZL44rocblas_set_matrix_zero_if_alpha_zero_kernelILi16ELi16EdPdEviiT1_lT2_lli, .Lfunc_end197-_ZL44rocblas_set_matrix_zero_if_alpha_zero_kernelILi16ELi16EdPdEviiT1_lT2_lli
                                        ; -- End function
	.section	.AMDGPU.csdata,"",@progbits
; Kernel info:
; codeLenInByte = 380
; NumSgprs: 18
; NumVgprs: 8
; ScratchSize: 0
; MemoryBound: 0
; FloatMode: 240
; IeeeMode: 1
; LDSByteSize: 0 bytes/workgroup (compile time only)
; SGPRBlocks: 2
; VGPRBlocks: 0
; NumSGPRsForWavesPerEU: 18
; NumVGPRsForWavesPerEU: 8
; Occupancy: 16
; WaveLimiterHint : 0
; COMPUTE_PGM_RSRC2:SCRATCH_EN: 0
; COMPUTE_PGM_RSRC2:USER_SGPR: 13
; COMPUTE_PGM_RSRC2:TRAP_HANDLER: 0
; COMPUTE_PGM_RSRC2:TGID_X_EN: 1
; COMPUTE_PGM_RSRC2:TGID_Y_EN: 1
; COMPUTE_PGM_RSRC2:TGID_Z_EN: 1
; COMPUTE_PGM_RSRC2:TIDIG_COMP_CNT: 1
	.section	.text._ZL44rocblas_set_matrix_zero_if_alpha_zero_kernelILi16ELi16EPKdPKPdEviiT1_lT2_lli,"axG",@progbits,_ZL44rocblas_set_matrix_zero_if_alpha_zero_kernelILi16ELi16EPKdPKPdEviiT1_lT2_lli,comdat
	.globl	_ZL44rocblas_set_matrix_zero_if_alpha_zero_kernelILi16ELi16EPKdPKPdEviiT1_lT2_lli ; -- Begin function _ZL44rocblas_set_matrix_zero_if_alpha_zero_kernelILi16ELi16EPKdPKPdEviiT1_lT2_lli
	.p2align	8
	.type	_ZL44rocblas_set_matrix_zero_if_alpha_zero_kernelILi16ELi16EPKdPKPdEviiT1_lT2_lli,@function
_ZL44rocblas_set_matrix_zero_if_alpha_zero_kernelILi16ELi16EPKdPKPdEviiT1_lT2_lli: ; @_ZL44rocblas_set_matrix_zero_if_alpha_zero_kernelILi16ELi16EPKdPKPdEviiT1_lT2_lli
; %bb.0:
	s_load_b256 s[4:11], s[0:1], 0x8
	s_waitcnt lgkmcnt(0)
	s_mul_i32 s2, s15, s7
	s_mul_hi_u32 s3, s15, s6
	s_delay_alu instid0(SALU_CYCLE_1) | instskip(SKIP_1) | instid1(SALU_CYCLE_1)
	s_add_i32 s3, s3, s2
	s_mul_i32 s2, s15, s6
	s_lshl_b64 s[2:3], s[2:3], 3
	s_delay_alu instid0(SALU_CYCLE_1) | instskip(SKIP_4) | instid1(VALU_DEP_1)
	s_add_u32 s2, s4, s2
	s_addc_u32 s3, s5, s3
	s_load_b64 s[2:3], s[2:3], 0x0
	s_waitcnt lgkmcnt(0)
	v_cmp_neq_f64_e64 s2, s[2:3], 0
	s_and_b32 vcc_lo, exec_lo, s2
	s_cbranch_vccnz .LBB198_4
; %bb.1:
	s_load_b64 s[2:3], s[0:1], 0x0
	v_dual_mov_b32 v1, 0 :: v_dual_and_b32 v2, 0x3ff, v0
	v_bfe_u32 v3, v0, 10, 10
	s_delay_alu instid0(VALU_DEP_2) | instskip(SKIP_1) | instid1(VALU_DEP_2)
	v_lshl_add_u32 v0, s13, 4, v2
	s_mov_b32 s13, 0
	v_lshl_add_u32 v2, s14, 4, v3
	v_mov_b32_e32 v3, v1
	s_waitcnt lgkmcnt(0)
	s_ashr_i32 s7, s2, 31
	s_mov_b32 s6, s2
	s_ashr_i32 s5, s3, 31
	s_mov_b32 s4, s3
	v_cmp_gt_i64_e32 vcc_lo, s[6:7], v[0:1]
	v_cmp_gt_i64_e64 s2, s[4:5], v[2:3]
	s_delay_alu instid0(VALU_DEP_1) | instskip(NEXT) | instid1(SALU_CYCLE_1)
	s_and_b32 s2, vcc_lo, s2
	s_and_saveexec_b32 s3, s2
	s_cbranch_execz .LBB198_4
; %bb.2:
	v_mad_u64_u32 v[4:5], null, s10, v2, 0
	s_clause 0x1
	s_load_b32 s14, s[0:1], 0x3c
	s_load_b64 s[2:3], s[0:1], 0x28
	s_mov_b32 s12, s15
	s_delay_alu instid0(SALU_CYCLE_1) | instskip(NEXT) | instid1(SALU_CYCLE_1)
	s_lshl_b64 s[0:1], s[12:13], 3
	s_add_u32 s0, s8, s0
	s_delay_alu instid0(VALU_DEP_1) | instskip(SKIP_2) | instid1(VALU_DEP_1)
	v_mad_u64_u32 v[6:7], null, s11, v2, v[5:6]
	s_addc_u32 s1, s9, s1
	s_load_b64 s[6:7], s[0:1], 0x0
	v_mov_b32_e32 v5, v6
	v_lshlrev_b64 v[6:7], 3, v[0:1]
	s_waitcnt lgkmcnt(0)
	s_lshl_b32 s1, s14, 4
	s_delay_alu instid0(VALU_DEP_2) | instskip(SKIP_2) | instid1(VALU_DEP_1)
	v_lshlrev_b64 v[4:5], 3, v[4:5]
	s_lshl_b64 s[2:3], s[2:3], 3
	s_mul_i32 s0, s11, s1
	v_add_co_u32 v0, vcc_lo, v4, s2
	s_delay_alu instid0(VALU_DEP_2) | instskip(SKIP_1) | instid1(VALU_DEP_2)
	v_add_co_ci_u32_e32 v4, vcc_lo, s3, v5, vcc_lo
	s_mul_hi_u32 s2, s10, s1
	v_add_co_u32 v0, vcc_lo, v0, v6
	s_delay_alu instid0(VALU_DEP_2) | instskip(SKIP_1) | instid1(VALU_DEP_2)
	v_add_co_ci_u32_e32 v5, vcc_lo, v4, v7, vcc_lo
	s_add_i32 s3, s2, s0
	v_add_co_u32 v4, vcc_lo, s6, v0
	v_mov_b32_e32 v0, v1
	s_delay_alu instid0(VALU_DEP_3) | instskip(SKIP_1) | instid1(SALU_CYCLE_1)
	v_add_co_ci_u32_e32 v5, vcc_lo, s7, v5, vcc_lo
	s_mul_i32 s2, s10, s1
	s_lshl_b64 s[2:3], s[2:3], 3
.LBB198_3:                              ; =>This Inner Loop Header: Depth=1
	v_add_co_u32 v2, vcc_lo, v2, s1
	v_add_co_ci_u32_e32 v3, vcc_lo, 0, v3, vcc_lo
	global_store_b64 v[4:5], v[0:1], off
	v_add_co_u32 v4, s0, v4, s2
	v_cmp_le_i64_e32 vcc_lo, s[4:5], v[2:3]
	v_add_co_ci_u32_e64 v5, s0, s3, v5, s0
	s_or_b32 s13, vcc_lo, s13
	s_delay_alu instid0(SALU_CYCLE_1)
	s_and_not1_b32 exec_lo, exec_lo, s13
	s_cbranch_execnz .LBB198_3
.LBB198_4:
	s_nop 0
	s_sendmsg sendmsg(MSG_DEALLOC_VGPRS)
	s_endpgm
	.section	.rodata,"a",@progbits
	.p2align	6, 0x0
	.amdhsa_kernel _ZL44rocblas_set_matrix_zero_if_alpha_zero_kernelILi16ELi16EPKdPKPdEviiT1_lT2_lli
		.amdhsa_group_segment_fixed_size 0
		.amdhsa_private_segment_fixed_size 0
		.amdhsa_kernarg_size 312
		.amdhsa_user_sgpr_count 13
		.amdhsa_user_sgpr_dispatch_ptr 0
		.amdhsa_user_sgpr_queue_ptr 0
		.amdhsa_user_sgpr_kernarg_segment_ptr 1
		.amdhsa_user_sgpr_dispatch_id 0
		.amdhsa_user_sgpr_private_segment_size 0
		.amdhsa_wavefront_size32 1
		.amdhsa_uses_dynamic_stack 0
		.amdhsa_enable_private_segment 0
		.amdhsa_system_sgpr_workgroup_id_x 1
		.amdhsa_system_sgpr_workgroup_id_y 1
		.amdhsa_system_sgpr_workgroup_id_z 1
		.amdhsa_system_sgpr_workgroup_info 0
		.amdhsa_system_vgpr_workitem_id 1
		.amdhsa_next_free_vgpr 8
		.amdhsa_next_free_sgpr 16
		.amdhsa_reserve_vcc 1
		.amdhsa_float_round_mode_32 0
		.amdhsa_float_round_mode_16_64 0
		.amdhsa_float_denorm_mode_32 3
		.amdhsa_float_denorm_mode_16_64 3
		.amdhsa_dx10_clamp 1
		.amdhsa_ieee_mode 1
		.amdhsa_fp16_overflow 0
		.amdhsa_workgroup_processor_mode 1
		.amdhsa_memory_ordered 1
		.amdhsa_forward_progress 0
		.amdhsa_shared_vgpr_count 0
		.amdhsa_exception_fp_ieee_invalid_op 0
		.amdhsa_exception_fp_denorm_src 0
		.amdhsa_exception_fp_ieee_div_zero 0
		.amdhsa_exception_fp_ieee_overflow 0
		.amdhsa_exception_fp_ieee_underflow 0
		.amdhsa_exception_fp_ieee_inexact 0
		.amdhsa_exception_int_div_zero 0
	.end_amdhsa_kernel
	.section	.text._ZL44rocblas_set_matrix_zero_if_alpha_zero_kernelILi16ELi16EPKdPKPdEviiT1_lT2_lli,"axG",@progbits,_ZL44rocblas_set_matrix_zero_if_alpha_zero_kernelILi16ELi16EPKdPKPdEviiT1_lT2_lli,comdat
.Lfunc_end198:
	.size	_ZL44rocblas_set_matrix_zero_if_alpha_zero_kernelILi16ELi16EPKdPKPdEviiT1_lT2_lli, .Lfunc_end198-_ZL44rocblas_set_matrix_zero_if_alpha_zero_kernelILi16ELi16EPKdPKPdEviiT1_lT2_lli
                                        ; -- End function
	.section	.AMDGPU.csdata,"",@progbits
; Kernel info:
; codeLenInByte = 424
; NumSgprs: 18
; NumVgprs: 8
; ScratchSize: 0
; MemoryBound: 0
; FloatMode: 240
; IeeeMode: 1
; LDSByteSize: 0 bytes/workgroup (compile time only)
; SGPRBlocks: 2
; VGPRBlocks: 0
; NumSGPRsForWavesPerEU: 18
; NumVGPRsForWavesPerEU: 8
; Occupancy: 16
; WaveLimiterHint : 0
; COMPUTE_PGM_RSRC2:SCRATCH_EN: 0
; COMPUTE_PGM_RSRC2:USER_SGPR: 13
; COMPUTE_PGM_RSRC2:TRAP_HANDLER: 0
; COMPUTE_PGM_RSRC2:TGID_X_EN: 1
; COMPUTE_PGM_RSRC2:TGID_Y_EN: 1
; COMPUTE_PGM_RSRC2:TGID_Z_EN: 1
; COMPUTE_PGM_RSRC2:TIDIG_COMP_CNT: 1
	.section	.text._ZL44rocblas_set_matrix_zero_if_alpha_zero_kernelILi16ELi16EdPKPdEviiT1_lT2_lli,"axG",@progbits,_ZL44rocblas_set_matrix_zero_if_alpha_zero_kernelILi16ELi16EdPKPdEviiT1_lT2_lli,comdat
	.globl	_ZL44rocblas_set_matrix_zero_if_alpha_zero_kernelILi16ELi16EdPKPdEviiT1_lT2_lli ; -- Begin function _ZL44rocblas_set_matrix_zero_if_alpha_zero_kernelILi16ELi16EdPKPdEviiT1_lT2_lli
	.p2align	8
	.type	_ZL44rocblas_set_matrix_zero_if_alpha_zero_kernelILi16ELi16EdPKPdEviiT1_lT2_lli,@function
_ZL44rocblas_set_matrix_zero_if_alpha_zero_kernelILi16ELi16EdPKPdEviiT1_lT2_lli: ; @_ZL44rocblas_set_matrix_zero_if_alpha_zero_kernelILi16ELi16EdPKPdEviiT1_lT2_lli
; %bb.0:
	s_load_b64 s[2:3], s[0:1], 0x8
	s_waitcnt lgkmcnt(0)
	v_cmp_neq_f64_e64 s2, s[2:3], 0
	s_delay_alu instid0(VALU_DEP_1)
	s_and_b32 vcc_lo, exec_lo, s2
	s_cbranch_vccnz .LBB199_4
; %bb.1:
	s_load_b64 s[2:3], s[0:1], 0x0
	v_dual_mov_b32 v1, 0 :: v_dual_and_b32 v2, 0x3ff, v0
	v_bfe_u32 v3, v0, 10, 10
	s_mov_b32 s9, 0
	s_delay_alu instid0(VALU_DEP_2) | instskip(NEXT) | instid1(VALU_DEP_2)
	v_lshl_add_u32 v0, s13, 4, v2
	v_lshl_add_u32 v2, s14, 4, v3
	v_mov_b32_e32 v3, v1
	s_waitcnt lgkmcnt(0)
	s_ashr_i32 s5, s2, 31
	s_mov_b32 s4, s2
	s_ashr_i32 s11, s3, 31
	s_mov_b32 s10, s3
	v_cmp_gt_i64_e32 vcc_lo, s[4:5], v[0:1]
	v_cmp_gt_i64_e64 s2, s[10:11], v[2:3]
	s_delay_alu instid0(VALU_DEP_1) | instskip(NEXT) | instid1(SALU_CYCLE_1)
	s_and_b32 s2, vcc_lo, s2
	s_and_saveexec_b32 s3, s2
	s_cbranch_execz .LBB199_4
; %bb.2:
	s_clause 0x1
	s_load_b128 s[4:7], s[0:1], 0x18
	s_load_b64 s[2:3], s[0:1], 0x28
	s_mov_b32 s8, s15
	s_load_b32 s12, s[0:1], 0x3c
	s_lshl_b64 s[0:1], s[8:9], 3
	s_waitcnt lgkmcnt(0)
	v_mad_u64_u32 v[4:5], null, s6, v2, 0
	s_add_u32 s0, s4, s0
	s_addc_u32 s1, s5, s1
	s_lshl_b64 s[2:3], s[2:3], 3
	s_load_b64 s[4:5], s[0:1], 0x0
	s_lshl_b32 s1, s12, 4
	s_delay_alu instid0(SALU_CYCLE_1) | instskip(NEXT) | instid1(VALU_DEP_1)
	s_mul_i32 s0, s7, s1
	v_mad_u64_u32 v[6:7], null, s7, v2, v[5:6]
	s_delay_alu instid0(VALU_DEP_1) | instskip(SKIP_1) | instid1(VALU_DEP_2)
	v_mov_b32_e32 v5, v6
	v_lshlrev_b64 v[6:7], 3, v[0:1]
	v_lshlrev_b64 v[4:5], 3, v[4:5]
	s_delay_alu instid0(VALU_DEP_1) | instskip(NEXT) | instid1(VALU_DEP_2)
	v_add_co_u32 v0, vcc_lo, v4, s2
	v_add_co_ci_u32_e32 v4, vcc_lo, s3, v5, vcc_lo
	s_mul_hi_u32 s2, s6, s1
	s_delay_alu instid0(VALU_DEP_2) | instskip(NEXT) | instid1(VALU_DEP_2)
	v_add_co_u32 v0, vcc_lo, v0, v6
	v_add_co_ci_u32_e32 v5, vcc_lo, v4, v7, vcc_lo
	s_add_i32 s3, s2, s0
	s_waitcnt lgkmcnt(0)
	s_delay_alu instid0(VALU_DEP_2) | instskip(SKIP_3) | instid1(SALU_CYCLE_1)
	v_add_co_u32 v4, vcc_lo, s4, v0
	v_mov_b32_e32 v0, v1
	v_add_co_ci_u32_e32 v5, vcc_lo, s5, v5, vcc_lo
	s_mul_i32 s2, s6, s1
	s_lshl_b64 s[2:3], s[2:3], 3
.LBB199_3:                              ; =>This Inner Loop Header: Depth=1
	v_add_co_u32 v2, vcc_lo, v2, s1
	v_add_co_ci_u32_e32 v3, vcc_lo, 0, v3, vcc_lo
	global_store_b64 v[4:5], v[0:1], off
	v_add_co_u32 v4, s0, v4, s2
	v_cmp_le_i64_e32 vcc_lo, s[10:11], v[2:3]
	v_add_co_ci_u32_e64 v5, s0, s3, v5, s0
	s_or_b32 s9, vcc_lo, s9
	s_delay_alu instid0(SALU_CYCLE_1)
	s_and_not1_b32 exec_lo, exec_lo, s9
	s_cbranch_execnz .LBB199_3
.LBB199_4:
	s_nop 0
	s_sendmsg sendmsg(MSG_DEALLOC_VGPRS)
	s_endpgm
	.section	.rodata,"a",@progbits
	.p2align	6, 0x0
	.amdhsa_kernel _ZL44rocblas_set_matrix_zero_if_alpha_zero_kernelILi16ELi16EdPKPdEviiT1_lT2_lli
		.amdhsa_group_segment_fixed_size 0
		.amdhsa_private_segment_fixed_size 0
		.amdhsa_kernarg_size 312
		.amdhsa_user_sgpr_count 13
		.amdhsa_user_sgpr_dispatch_ptr 0
		.amdhsa_user_sgpr_queue_ptr 0
		.amdhsa_user_sgpr_kernarg_segment_ptr 1
		.amdhsa_user_sgpr_dispatch_id 0
		.amdhsa_user_sgpr_private_segment_size 0
		.amdhsa_wavefront_size32 1
		.amdhsa_uses_dynamic_stack 0
		.amdhsa_enable_private_segment 0
		.amdhsa_system_sgpr_workgroup_id_x 1
		.amdhsa_system_sgpr_workgroup_id_y 1
		.amdhsa_system_sgpr_workgroup_id_z 1
		.amdhsa_system_sgpr_workgroup_info 0
		.amdhsa_system_vgpr_workitem_id 1
		.amdhsa_next_free_vgpr 8
		.amdhsa_next_free_sgpr 16
		.amdhsa_reserve_vcc 1
		.amdhsa_float_round_mode_32 0
		.amdhsa_float_round_mode_16_64 0
		.amdhsa_float_denorm_mode_32 3
		.amdhsa_float_denorm_mode_16_64 3
		.amdhsa_dx10_clamp 1
		.amdhsa_ieee_mode 1
		.amdhsa_fp16_overflow 0
		.amdhsa_workgroup_processor_mode 1
		.amdhsa_memory_ordered 1
		.amdhsa_forward_progress 0
		.amdhsa_shared_vgpr_count 0
		.amdhsa_exception_fp_ieee_invalid_op 0
		.amdhsa_exception_fp_denorm_src 0
		.amdhsa_exception_fp_ieee_div_zero 0
		.amdhsa_exception_fp_ieee_overflow 0
		.amdhsa_exception_fp_ieee_underflow 0
		.amdhsa_exception_fp_ieee_inexact 0
		.amdhsa_exception_int_div_zero 0
	.end_amdhsa_kernel
	.section	.text._ZL44rocblas_set_matrix_zero_if_alpha_zero_kernelILi16ELi16EdPKPdEviiT1_lT2_lli,"axG",@progbits,_ZL44rocblas_set_matrix_zero_if_alpha_zero_kernelILi16ELi16EdPKPdEviiT1_lT2_lli,comdat
.Lfunc_end199:
	.size	_ZL44rocblas_set_matrix_zero_if_alpha_zero_kernelILi16ELi16EdPKPdEviiT1_lT2_lli, .Lfunc_end199-_ZL44rocblas_set_matrix_zero_if_alpha_zero_kernelILi16ELi16EdPKPdEviiT1_lT2_lli
                                        ; -- End function
	.section	.AMDGPU.csdata,"",@progbits
; Kernel info:
; codeLenInByte = 388
; NumSgprs: 18
; NumVgprs: 8
; ScratchSize: 0
; MemoryBound: 0
; FloatMode: 240
; IeeeMode: 1
; LDSByteSize: 0 bytes/workgroup (compile time only)
; SGPRBlocks: 2
; VGPRBlocks: 0
; NumSGPRsForWavesPerEU: 18
; NumVGPRsForWavesPerEU: 8
; Occupancy: 16
; WaveLimiterHint : 0
; COMPUTE_PGM_RSRC2:SCRATCH_EN: 0
; COMPUTE_PGM_RSRC2:USER_SGPR: 13
; COMPUTE_PGM_RSRC2:TRAP_HANDLER: 0
; COMPUTE_PGM_RSRC2:TGID_X_EN: 1
; COMPUTE_PGM_RSRC2:TGID_Y_EN: 1
; COMPUTE_PGM_RSRC2:TGID_Z_EN: 1
; COMPUTE_PGM_RSRC2:TIDIG_COMP_CNT: 1
	.section	.text._ZL44rocblas_set_matrix_zero_if_alpha_zero_kernelILi16ELi16EPK19rocblas_complex_numIfEPKPS1_EviiT1_lT2_lli,"axG",@progbits,_ZL44rocblas_set_matrix_zero_if_alpha_zero_kernelILi16ELi16EPK19rocblas_complex_numIfEPKPS1_EviiT1_lT2_lli,comdat
	.globl	_ZL44rocblas_set_matrix_zero_if_alpha_zero_kernelILi16ELi16EPK19rocblas_complex_numIfEPKPS1_EviiT1_lT2_lli ; -- Begin function _ZL44rocblas_set_matrix_zero_if_alpha_zero_kernelILi16ELi16EPK19rocblas_complex_numIfEPKPS1_EviiT1_lT2_lli
	.p2align	8
	.type	_ZL44rocblas_set_matrix_zero_if_alpha_zero_kernelILi16ELi16EPK19rocblas_complex_numIfEPKPS1_EviiT1_lT2_lli,@function
_ZL44rocblas_set_matrix_zero_if_alpha_zero_kernelILi16ELi16EPK19rocblas_complex_numIfEPKPS1_EviiT1_lT2_lli: ; @_ZL44rocblas_set_matrix_zero_if_alpha_zero_kernelILi16ELi16EPK19rocblas_complex_numIfEPKPS1_EviiT1_lT2_lli
; %bb.0:
	s_load_b256 s[4:11], s[0:1], 0x8
	s_mov_b32 s17, 0
	s_waitcnt lgkmcnt(0)
	s_mul_i32 s3, s15, s7
	s_mul_hi_u32 s7, s15, s6
	s_mul_i32 s2, s15, s6
	s_add_i32 s3, s7, s3
	s_delay_alu instid0(SALU_CYCLE_1) | instskip(NEXT) | instid1(SALU_CYCLE_1)
	s_lshl_b64 s[2:3], s[2:3], 3
	s_add_u32 s2, s4, s2
	s_addc_u32 s3, s5, s3
	s_load_b64 s[2:3], s[2:3], 0x0
	s_waitcnt lgkmcnt(0)
	v_cmp_eq_f32_e64 s2, s2, 0
	v_cmp_eq_f32_e64 s3, s3, 0
	s_delay_alu instid0(VALU_DEP_1) | instskip(NEXT) | instid1(SALU_CYCLE_1)
	s_and_b32 s2, s2, s3
	s_and_not1_b32 vcc_lo, exec_lo, s2
	s_cbranch_vccnz .LBB200_4
; %bb.1:
	s_load_b64 s[2:3], s[0:1], 0x0
	v_dual_mov_b32 v1, 0 :: v_dual_and_b32 v2, 0x3ff, v0
	v_bfe_u32 v3, v0, 10, 10
	s_delay_alu instid0(VALU_DEP_2) | instskip(NEXT) | instid1(VALU_DEP_2)
	v_lshl_add_u32 v0, s13, 4, v2
	v_lshl_add_u32 v2, s14, 4, v3
	s_delay_alu instid0(VALU_DEP_4)
	v_mov_b32_e32 v3, v1
	s_waitcnt lgkmcnt(0)
	s_ashr_i32 s7, s2, 31
	s_mov_b32 s6, s2
	s_ashr_i32 s5, s3, 31
	s_mov_b32 s4, s3
	v_cmp_gt_i64_e32 vcc_lo, s[6:7], v[0:1]
	v_cmp_gt_i64_e64 s2, s[4:5], v[2:3]
	s_delay_alu instid0(VALU_DEP_1) | instskip(NEXT) | instid1(SALU_CYCLE_1)
	s_and_b32 s2, vcc_lo, s2
	s_and_saveexec_b32 s3, s2
	s_cbranch_execz .LBB200_4
; %bb.2:
	v_mad_u64_u32 v[4:5], null, s10, v2, 0
	s_clause 0x1
	s_load_b32 s12, s[0:1], 0x3c
	s_load_b64 s[2:3], s[0:1], 0x28
	s_mov_b32 s16, s15
	s_delay_alu instid0(SALU_CYCLE_1) | instskip(NEXT) | instid1(SALU_CYCLE_1)
	s_lshl_b64 s[0:1], s[16:17], 3
	s_add_u32 s0, s8, s0
	s_delay_alu instid0(VALU_DEP_1) | instskip(SKIP_2) | instid1(VALU_DEP_1)
	v_mad_u64_u32 v[6:7], null, s11, v2, v[5:6]
	s_addc_u32 s1, s9, s1
	s_load_b64 s[6:7], s[0:1], 0x0
	v_mov_b32_e32 v5, v6
	v_lshlrev_b64 v[6:7], 3, v[0:1]
	s_waitcnt lgkmcnt(0)
	s_lshl_b32 s1, s12, 4
	s_delay_alu instid0(VALU_DEP_2) | instskip(SKIP_2) | instid1(VALU_DEP_1)
	v_lshlrev_b64 v[4:5], 3, v[4:5]
	s_lshl_b64 s[2:3], s[2:3], 3
	s_mul_i32 s0, s11, s1
	v_add_co_u32 v0, vcc_lo, v4, s2
	s_delay_alu instid0(VALU_DEP_2) | instskip(SKIP_1) | instid1(VALU_DEP_2)
	v_add_co_ci_u32_e32 v4, vcc_lo, s3, v5, vcc_lo
	s_mul_hi_u32 s2, s10, s1
	v_add_co_u32 v0, vcc_lo, v0, v6
	s_delay_alu instid0(VALU_DEP_2) | instskip(SKIP_1) | instid1(VALU_DEP_2)
	v_add_co_ci_u32_e32 v5, vcc_lo, v4, v7, vcc_lo
	s_add_i32 s3, s2, s0
	v_add_co_u32 v4, vcc_lo, s6, v0
	v_mov_b32_e32 v0, v1
	s_delay_alu instid0(VALU_DEP_3) | instskip(SKIP_1) | instid1(SALU_CYCLE_1)
	v_add_co_ci_u32_e32 v5, vcc_lo, s7, v5, vcc_lo
	s_mul_i32 s2, s10, s1
	s_lshl_b64 s[2:3], s[2:3], 3
.LBB200_3:                              ; =>This Inner Loop Header: Depth=1
	v_add_co_u32 v2, vcc_lo, v2, s1
	v_add_co_ci_u32_e32 v3, vcc_lo, 0, v3, vcc_lo
	flat_store_b64 v[4:5], v[0:1]
	v_add_co_u32 v4, s0, v4, s2
	v_cmp_le_i64_e32 vcc_lo, s[4:5], v[2:3]
	v_add_co_ci_u32_e64 v5, s0, s3, v5, s0
	s_or_b32 s17, vcc_lo, s17
	s_delay_alu instid0(SALU_CYCLE_1)
	s_and_not1_b32 exec_lo, exec_lo, s17
	s_cbranch_execnz .LBB200_3
.LBB200_4:
	s_endpgm
	.section	.rodata,"a",@progbits
	.p2align	6, 0x0
	.amdhsa_kernel _ZL44rocblas_set_matrix_zero_if_alpha_zero_kernelILi16ELi16EPK19rocblas_complex_numIfEPKPS1_EviiT1_lT2_lli
		.amdhsa_group_segment_fixed_size 0
		.amdhsa_private_segment_fixed_size 0
		.amdhsa_kernarg_size 312
		.amdhsa_user_sgpr_count 13
		.amdhsa_user_sgpr_dispatch_ptr 0
		.amdhsa_user_sgpr_queue_ptr 0
		.amdhsa_user_sgpr_kernarg_segment_ptr 1
		.amdhsa_user_sgpr_dispatch_id 0
		.amdhsa_user_sgpr_private_segment_size 0
		.amdhsa_wavefront_size32 1
		.amdhsa_uses_dynamic_stack 0
		.amdhsa_enable_private_segment 0
		.amdhsa_system_sgpr_workgroup_id_x 1
		.amdhsa_system_sgpr_workgroup_id_y 1
		.amdhsa_system_sgpr_workgroup_id_z 1
		.amdhsa_system_sgpr_workgroup_info 0
		.amdhsa_system_vgpr_workitem_id 1
		.amdhsa_next_free_vgpr 8
		.amdhsa_next_free_sgpr 18
		.amdhsa_reserve_vcc 1
		.amdhsa_float_round_mode_32 0
		.amdhsa_float_round_mode_16_64 0
		.amdhsa_float_denorm_mode_32 3
		.amdhsa_float_denorm_mode_16_64 3
		.amdhsa_dx10_clamp 1
		.amdhsa_ieee_mode 1
		.amdhsa_fp16_overflow 0
		.amdhsa_workgroup_processor_mode 1
		.amdhsa_memory_ordered 1
		.amdhsa_forward_progress 0
		.amdhsa_shared_vgpr_count 0
		.amdhsa_exception_fp_ieee_invalid_op 0
		.amdhsa_exception_fp_denorm_src 0
		.amdhsa_exception_fp_ieee_div_zero 0
		.amdhsa_exception_fp_ieee_overflow 0
		.amdhsa_exception_fp_ieee_underflow 0
		.amdhsa_exception_fp_ieee_inexact 0
		.amdhsa_exception_int_div_zero 0
	.end_amdhsa_kernel
	.section	.text._ZL44rocblas_set_matrix_zero_if_alpha_zero_kernelILi16ELi16EPK19rocblas_complex_numIfEPKPS1_EviiT1_lT2_lli,"axG",@progbits,_ZL44rocblas_set_matrix_zero_if_alpha_zero_kernelILi16ELi16EPK19rocblas_complex_numIfEPKPS1_EviiT1_lT2_lli,comdat
.Lfunc_end200:
	.size	_ZL44rocblas_set_matrix_zero_if_alpha_zero_kernelILi16ELi16EPK19rocblas_complex_numIfEPKPS1_EviiT1_lT2_lli, .Lfunc_end200-_ZL44rocblas_set_matrix_zero_if_alpha_zero_kernelILi16ELi16EPK19rocblas_complex_numIfEPKPS1_EviiT1_lT2_lli
                                        ; -- End function
	.section	.AMDGPU.csdata,"",@progbits
; Kernel info:
; codeLenInByte = 432
; NumSgprs: 20
; NumVgprs: 8
; ScratchSize: 0
; MemoryBound: 0
; FloatMode: 240
; IeeeMode: 1
; LDSByteSize: 0 bytes/workgroup (compile time only)
; SGPRBlocks: 2
; VGPRBlocks: 0
; NumSGPRsForWavesPerEU: 20
; NumVGPRsForWavesPerEU: 8
; Occupancy: 16
; WaveLimiterHint : 0
; COMPUTE_PGM_RSRC2:SCRATCH_EN: 0
; COMPUTE_PGM_RSRC2:USER_SGPR: 13
; COMPUTE_PGM_RSRC2:TRAP_HANDLER: 0
; COMPUTE_PGM_RSRC2:TGID_X_EN: 1
; COMPUTE_PGM_RSRC2:TGID_Y_EN: 1
; COMPUTE_PGM_RSRC2:TGID_Z_EN: 1
; COMPUTE_PGM_RSRC2:TIDIG_COMP_CNT: 1
	.section	.text._ZL44rocblas_set_matrix_zero_if_alpha_zero_kernelILi16ELi16E19rocblas_complex_numIfEPKPS1_EviiT1_lT2_lli,"axG",@progbits,_ZL44rocblas_set_matrix_zero_if_alpha_zero_kernelILi16ELi16E19rocblas_complex_numIfEPKPS1_EviiT1_lT2_lli,comdat
	.globl	_ZL44rocblas_set_matrix_zero_if_alpha_zero_kernelILi16ELi16E19rocblas_complex_numIfEPKPS1_EviiT1_lT2_lli ; -- Begin function _ZL44rocblas_set_matrix_zero_if_alpha_zero_kernelILi16ELi16E19rocblas_complex_numIfEPKPS1_EviiT1_lT2_lli
	.p2align	8
	.type	_ZL44rocblas_set_matrix_zero_if_alpha_zero_kernelILi16ELi16E19rocblas_complex_numIfEPKPS1_EviiT1_lT2_lli,@function
_ZL44rocblas_set_matrix_zero_if_alpha_zero_kernelILi16ELi16E19rocblas_complex_numIfEPKPS1_EviiT1_lT2_lli: ; @_ZL44rocblas_set_matrix_zero_if_alpha_zero_kernelILi16ELi16E19rocblas_complex_numIfEPKPS1_EviiT1_lT2_lli
; %bb.0:
	s_load_b128 s[4:7], s[0:1], 0x0
	s_waitcnt lgkmcnt(0)
	v_cmp_eq_f32_e64 s2, s6, 0
	v_cmp_eq_f32_e64 s3, s7, 0
	s_delay_alu instid0(VALU_DEP_1) | instskip(NEXT) | instid1(SALU_CYCLE_1)
	s_and_b32 s2, s2, s3
	s_and_not1_b32 vcc_lo, exec_lo, s2
	s_cbranch_vccnz .LBB201_4
; %bb.1:
	v_dual_mov_b32 v1, 0 :: v_dual_and_b32 v2, 0x3ff, v0
	v_bfe_u32 v3, v0, 10, 10
	s_ashr_i32 s3, s4, 31
	s_mov_b32 s2, s4
	s_delay_alu instid0(VALU_DEP_2)
	v_lshl_add_u32 v0, s13, 4, v2
	s_ashr_i32 s11, s5, 31
	v_lshl_add_u32 v2, s14, 4, v3
	v_mov_b32_e32 v3, v1
	s_mov_b32 s10, s5
	v_cmp_gt_i64_e32 vcc_lo, s[2:3], v[0:1]
	s_mov_b32 s9, 0
	s_delay_alu instid0(VALU_DEP_2) | instskip(NEXT) | instid1(VALU_DEP_1)
	v_cmp_gt_i64_e64 s2, s[10:11], v[2:3]
	s_and_b32 s2, vcc_lo, s2
	s_delay_alu instid0(SALU_CYCLE_1)
	s_and_saveexec_b32 s3, s2
	s_cbranch_execz .LBB201_4
; %bb.2:
	s_clause 0x1
	s_load_b128 s[4:7], s[0:1], 0x18
	s_load_b64 s[2:3], s[0:1], 0x28
	s_mov_b32 s8, s15
	s_load_b32 s12, s[0:1], 0x3c
	s_lshl_b64 s[0:1], s[8:9], 3
	s_waitcnt lgkmcnt(0)
	v_mad_u64_u32 v[4:5], null, s6, v2, 0
	s_add_u32 s0, s4, s0
	s_addc_u32 s1, s5, s1
	s_lshl_b64 s[2:3], s[2:3], 3
	s_load_b64 s[4:5], s[0:1], 0x0
	s_lshl_b32 s1, s12, 4
	s_delay_alu instid0(SALU_CYCLE_1) | instskip(NEXT) | instid1(VALU_DEP_1)
	s_mul_i32 s0, s7, s1
	v_mad_u64_u32 v[6:7], null, s7, v2, v[5:6]
	s_delay_alu instid0(VALU_DEP_1) | instskip(SKIP_1) | instid1(VALU_DEP_2)
	v_mov_b32_e32 v5, v6
	v_lshlrev_b64 v[6:7], 3, v[0:1]
	v_lshlrev_b64 v[4:5], 3, v[4:5]
	s_delay_alu instid0(VALU_DEP_1) | instskip(NEXT) | instid1(VALU_DEP_2)
	v_add_co_u32 v0, vcc_lo, v4, s2
	v_add_co_ci_u32_e32 v4, vcc_lo, s3, v5, vcc_lo
	s_mul_hi_u32 s2, s6, s1
	s_delay_alu instid0(VALU_DEP_2) | instskip(NEXT) | instid1(VALU_DEP_2)
	v_add_co_u32 v0, vcc_lo, v0, v6
	v_add_co_ci_u32_e32 v5, vcc_lo, v4, v7, vcc_lo
	s_add_i32 s3, s2, s0
	s_waitcnt lgkmcnt(0)
	s_delay_alu instid0(VALU_DEP_2) | instskip(SKIP_3) | instid1(SALU_CYCLE_1)
	v_add_co_u32 v4, vcc_lo, s4, v0
	v_mov_b32_e32 v0, v1
	v_add_co_ci_u32_e32 v5, vcc_lo, s5, v5, vcc_lo
	s_mul_i32 s2, s6, s1
	s_lshl_b64 s[2:3], s[2:3], 3
.LBB201_3:                              ; =>This Inner Loop Header: Depth=1
	v_add_co_u32 v2, vcc_lo, v2, s1
	v_add_co_ci_u32_e32 v3, vcc_lo, 0, v3, vcc_lo
	flat_store_b64 v[4:5], v[0:1]
	v_add_co_u32 v4, s0, v4, s2
	v_cmp_le_i64_e32 vcc_lo, s[10:11], v[2:3]
	v_add_co_ci_u32_e64 v5, s0, s3, v5, s0
	s_or_b32 s9, vcc_lo, s9
	s_delay_alu instid0(SALU_CYCLE_1)
	s_and_not1_b32 exec_lo, exec_lo, s9
	s_cbranch_execnz .LBB201_3
.LBB201_4:
	s_endpgm
	.section	.rodata,"a",@progbits
	.p2align	6, 0x0
	.amdhsa_kernel _ZL44rocblas_set_matrix_zero_if_alpha_zero_kernelILi16ELi16E19rocblas_complex_numIfEPKPS1_EviiT1_lT2_lli
		.amdhsa_group_segment_fixed_size 0
		.amdhsa_private_segment_fixed_size 0
		.amdhsa_kernarg_size 312
		.amdhsa_user_sgpr_count 13
		.amdhsa_user_sgpr_dispatch_ptr 0
		.amdhsa_user_sgpr_queue_ptr 0
		.amdhsa_user_sgpr_kernarg_segment_ptr 1
		.amdhsa_user_sgpr_dispatch_id 0
		.amdhsa_user_sgpr_private_segment_size 0
		.amdhsa_wavefront_size32 1
		.amdhsa_uses_dynamic_stack 0
		.amdhsa_enable_private_segment 0
		.amdhsa_system_sgpr_workgroup_id_x 1
		.amdhsa_system_sgpr_workgroup_id_y 1
		.amdhsa_system_sgpr_workgroup_id_z 1
		.amdhsa_system_sgpr_workgroup_info 0
		.amdhsa_system_vgpr_workitem_id 1
		.amdhsa_next_free_vgpr 8
		.amdhsa_next_free_sgpr 16
		.amdhsa_reserve_vcc 1
		.amdhsa_float_round_mode_32 0
		.amdhsa_float_round_mode_16_64 0
		.amdhsa_float_denorm_mode_32 3
		.amdhsa_float_denorm_mode_16_64 3
		.amdhsa_dx10_clamp 1
		.amdhsa_ieee_mode 1
		.amdhsa_fp16_overflow 0
		.amdhsa_workgroup_processor_mode 1
		.amdhsa_memory_ordered 1
		.amdhsa_forward_progress 0
		.amdhsa_shared_vgpr_count 0
		.amdhsa_exception_fp_ieee_invalid_op 0
		.amdhsa_exception_fp_denorm_src 0
		.amdhsa_exception_fp_ieee_div_zero 0
		.amdhsa_exception_fp_ieee_overflow 0
		.amdhsa_exception_fp_ieee_underflow 0
		.amdhsa_exception_fp_ieee_inexact 0
		.amdhsa_exception_int_div_zero 0
	.end_amdhsa_kernel
	.section	.text._ZL44rocblas_set_matrix_zero_if_alpha_zero_kernelILi16ELi16E19rocblas_complex_numIfEPKPS1_EviiT1_lT2_lli,"axG",@progbits,_ZL44rocblas_set_matrix_zero_if_alpha_zero_kernelILi16ELi16E19rocblas_complex_numIfEPKPS1_EviiT1_lT2_lli,comdat
.Lfunc_end201:
	.size	_ZL44rocblas_set_matrix_zero_if_alpha_zero_kernelILi16ELi16E19rocblas_complex_numIfEPKPS1_EviiT1_lT2_lli, .Lfunc_end201-_ZL44rocblas_set_matrix_zero_if_alpha_zero_kernelILi16ELi16E19rocblas_complex_numIfEPKPS1_EviiT1_lT2_lli
                                        ; -- End function
	.section	.AMDGPU.csdata,"",@progbits
; Kernel info:
; codeLenInByte = 384
; NumSgprs: 18
; NumVgprs: 8
; ScratchSize: 0
; MemoryBound: 0
; FloatMode: 240
; IeeeMode: 1
; LDSByteSize: 0 bytes/workgroup (compile time only)
; SGPRBlocks: 2
; VGPRBlocks: 0
; NumSGPRsForWavesPerEU: 18
; NumVGPRsForWavesPerEU: 8
; Occupancy: 16
; WaveLimiterHint : 0
; COMPUTE_PGM_RSRC2:SCRATCH_EN: 0
; COMPUTE_PGM_RSRC2:USER_SGPR: 13
; COMPUTE_PGM_RSRC2:TRAP_HANDLER: 0
; COMPUTE_PGM_RSRC2:TGID_X_EN: 1
; COMPUTE_PGM_RSRC2:TGID_Y_EN: 1
; COMPUTE_PGM_RSRC2:TGID_Z_EN: 1
; COMPUTE_PGM_RSRC2:TIDIG_COMP_CNT: 1
	.section	.text._ZL44rocblas_set_matrix_zero_if_alpha_zero_kernelILi16ELi16EPK19rocblas_complex_numIfEPS1_EviiT1_lT2_lli,"axG",@progbits,_ZL44rocblas_set_matrix_zero_if_alpha_zero_kernelILi16ELi16EPK19rocblas_complex_numIfEPS1_EviiT1_lT2_lli,comdat
	.globl	_ZL44rocblas_set_matrix_zero_if_alpha_zero_kernelILi16ELi16EPK19rocblas_complex_numIfEPS1_EviiT1_lT2_lli ; -- Begin function _ZL44rocblas_set_matrix_zero_if_alpha_zero_kernelILi16ELi16EPK19rocblas_complex_numIfEPS1_EviiT1_lT2_lli
	.p2align	8
	.type	_ZL44rocblas_set_matrix_zero_if_alpha_zero_kernelILi16ELi16EPK19rocblas_complex_numIfEPS1_EviiT1_lT2_lli,@function
_ZL44rocblas_set_matrix_zero_if_alpha_zero_kernelILi16ELi16EPK19rocblas_complex_numIfEPS1_EviiT1_lT2_lli: ; @_ZL44rocblas_set_matrix_zero_if_alpha_zero_kernelILi16ELi16EPK19rocblas_complex_numIfEPS1_EviiT1_lT2_lli
; %bb.0:
	s_load_b256 s[4:11], s[0:1], 0x8
	s_waitcnt lgkmcnt(0)
	s_mul_i32 s3, s15, s7
	s_mul_hi_u32 s7, s15, s6
	s_mul_i32 s2, s15, s6
	s_add_i32 s3, s7, s3
	s_mov_b32 s6, 0
	s_lshl_b64 s[2:3], s[2:3], 3
	s_delay_alu instid0(SALU_CYCLE_1)
	s_add_u32 s2, s4, s2
	s_addc_u32 s3, s5, s3
	s_load_b64 s[2:3], s[2:3], 0x0
	s_waitcnt lgkmcnt(0)
	v_cmp_eq_f32_e64 s2, s2, 0
	v_cmp_eq_f32_e64 s3, s3, 0
	s_delay_alu instid0(VALU_DEP_1) | instskip(NEXT) | instid1(SALU_CYCLE_1)
	s_and_b32 s2, s2, s3
	s_and_not1_b32 vcc_lo, exec_lo, s2
	s_cbranch_vccnz .LBB202_4
; %bb.1:
	s_load_b64 s[2:3], s[0:1], 0x0
	v_dual_mov_b32 v1, 0 :: v_dual_and_b32 v2, 0x3ff, v0
	v_bfe_u32 v3, v0, 10, 10
	s_delay_alu instid0(VALU_DEP_2) | instskip(NEXT) | instid1(VALU_DEP_2)
	v_lshl_add_u32 v0, s13, 4, v2
	v_lshl_add_u32 v2, s14, 4, v3
	s_delay_alu instid0(VALU_DEP_4)
	v_mov_b32_e32 v3, v1
	s_waitcnt lgkmcnt(0)
	s_ashr_i32 s13, s2, 31
	s_mov_b32 s12, s2
	s_ashr_i32 s5, s3, 31
	s_mov_b32 s4, s3
	v_cmp_gt_i64_e32 vcc_lo, s[12:13], v[0:1]
	v_cmp_gt_i64_e64 s2, s[4:5], v[2:3]
	s_delay_alu instid0(VALU_DEP_1) | instskip(NEXT) | instid1(SALU_CYCLE_1)
	s_and_b32 s2, vcc_lo, s2
	s_and_saveexec_b32 s3, s2
	s_cbranch_execz .LBB202_4
; %bb.2:
	v_mad_u64_u32 v[4:5], null, s10, v2, 0
	s_clause 0x1
	s_load_b64 s[2:3], s[0:1], 0x28
	s_load_b32 s0, s[0:1], 0x3c
	s_delay_alu instid0(VALU_DEP_1) | instskip(NEXT) | instid1(VALU_DEP_1)
	v_mad_u64_u32 v[6:7], null, s11, v2, v[5:6]
	v_mov_b32_e32 v5, v6
	v_lshlrev_b64 v[6:7], 3, v[0:1]
	s_waitcnt lgkmcnt(0)
	s_mul_i32 s1, s3, s15
	s_mul_hi_u32 s3, s2, s15
	v_lshlrev_b64 v[4:5], 3, v[4:5]
	s_mul_i32 s2, s2, s15
	s_add_i32 s3, s3, s1
	s_lshl_b32 s1, s0, 4
	s_lshl_b64 s[2:3], s[2:3], 3
	s_mul_i32 s0, s11, s1
	v_add_co_u32 v0, vcc_lo, s2, v4
	v_add_co_ci_u32_e32 v4, vcc_lo, s3, v5, vcc_lo
	s_mul_hi_u32 s2, s10, s1
	s_delay_alu instid0(VALU_DEP_2) | instskip(NEXT) | instid1(VALU_DEP_2)
	v_add_co_u32 v0, vcc_lo, v0, v6
	v_add_co_ci_u32_e32 v4, vcc_lo, v4, v7, vcc_lo
	s_add_i32 s3, s2, s0
	s_delay_alu instid0(VALU_DEP_2) | instskip(NEXT) | instid1(VALU_DEP_2)
	v_add_co_u32 v0, vcc_lo, v0, s8
	v_add_co_ci_u32_e32 v5, vcc_lo, s9, v4, vcc_lo
	s_mul_i32 s2, s10, s1
	s_delay_alu instid0(VALU_DEP_2) | instskip(SKIP_1) | instid1(VALU_DEP_3)
	v_add_co_u32 v4, vcc_lo, v0, 4
	v_mov_b32_e32 v0, v1
	v_add_co_ci_u32_e32 v5, vcc_lo, 0, v5, vcc_lo
	s_lshl_b64 s[2:3], s[2:3], 3
.LBB202_3:                              ; =>This Inner Loop Header: Depth=1
	v_add_co_u32 v2, vcc_lo, v2, s1
	v_add_co_ci_u32_e32 v3, vcc_lo, 0, v3, vcc_lo
	global_store_b64 v[4:5], v[0:1], off offset:-4
	v_add_co_u32 v4, s0, v4, s2
	v_cmp_le_i64_e32 vcc_lo, s[4:5], v[2:3]
	v_add_co_ci_u32_e64 v5, s0, s3, v5, s0
	s_or_b32 s6, vcc_lo, s6
	s_delay_alu instid0(SALU_CYCLE_1)
	s_and_not1_b32 exec_lo, exec_lo, s6
	s_cbranch_execnz .LBB202_3
.LBB202_4:
	s_nop 0
	s_sendmsg sendmsg(MSG_DEALLOC_VGPRS)
	s_endpgm
	.section	.rodata,"a",@progbits
	.p2align	6, 0x0
	.amdhsa_kernel _ZL44rocblas_set_matrix_zero_if_alpha_zero_kernelILi16ELi16EPK19rocblas_complex_numIfEPS1_EviiT1_lT2_lli
		.amdhsa_group_segment_fixed_size 0
		.amdhsa_private_segment_fixed_size 0
		.amdhsa_kernarg_size 312
		.amdhsa_user_sgpr_count 13
		.amdhsa_user_sgpr_dispatch_ptr 0
		.amdhsa_user_sgpr_queue_ptr 0
		.amdhsa_user_sgpr_kernarg_segment_ptr 1
		.amdhsa_user_sgpr_dispatch_id 0
		.amdhsa_user_sgpr_private_segment_size 0
		.amdhsa_wavefront_size32 1
		.amdhsa_uses_dynamic_stack 0
		.amdhsa_enable_private_segment 0
		.amdhsa_system_sgpr_workgroup_id_x 1
		.amdhsa_system_sgpr_workgroup_id_y 1
		.amdhsa_system_sgpr_workgroup_id_z 1
		.amdhsa_system_sgpr_workgroup_info 0
		.amdhsa_system_vgpr_workitem_id 1
		.amdhsa_next_free_vgpr 8
		.amdhsa_next_free_sgpr 16
		.amdhsa_reserve_vcc 1
		.amdhsa_float_round_mode_32 0
		.amdhsa_float_round_mode_16_64 0
		.amdhsa_float_denorm_mode_32 3
		.amdhsa_float_denorm_mode_16_64 3
		.amdhsa_dx10_clamp 1
		.amdhsa_ieee_mode 1
		.amdhsa_fp16_overflow 0
		.amdhsa_workgroup_processor_mode 1
		.amdhsa_memory_ordered 1
		.amdhsa_forward_progress 0
		.amdhsa_shared_vgpr_count 0
		.amdhsa_exception_fp_ieee_invalid_op 0
		.amdhsa_exception_fp_denorm_src 0
		.amdhsa_exception_fp_ieee_div_zero 0
		.amdhsa_exception_fp_ieee_overflow 0
		.amdhsa_exception_fp_ieee_underflow 0
		.amdhsa_exception_fp_ieee_inexact 0
		.amdhsa_exception_int_div_zero 0
	.end_amdhsa_kernel
	.section	.text._ZL44rocblas_set_matrix_zero_if_alpha_zero_kernelILi16ELi16EPK19rocblas_complex_numIfEPS1_EviiT1_lT2_lli,"axG",@progbits,_ZL44rocblas_set_matrix_zero_if_alpha_zero_kernelILi16ELi16EPK19rocblas_complex_numIfEPS1_EviiT1_lT2_lli,comdat
.Lfunc_end202:
	.size	_ZL44rocblas_set_matrix_zero_if_alpha_zero_kernelILi16ELi16EPK19rocblas_complex_numIfEPS1_EviiT1_lT2_lli, .Lfunc_end202-_ZL44rocblas_set_matrix_zero_if_alpha_zero_kernelILi16ELi16EPK19rocblas_complex_numIfEPS1_EviiT1_lT2_lli
                                        ; -- End function
	.section	.AMDGPU.csdata,"",@progbits
; Kernel info:
; codeLenInByte = 436
; NumSgprs: 18
; NumVgprs: 8
; ScratchSize: 0
; MemoryBound: 0
; FloatMode: 240
; IeeeMode: 1
; LDSByteSize: 0 bytes/workgroup (compile time only)
; SGPRBlocks: 2
; VGPRBlocks: 0
; NumSGPRsForWavesPerEU: 18
; NumVGPRsForWavesPerEU: 8
; Occupancy: 16
; WaveLimiterHint : 0
; COMPUTE_PGM_RSRC2:SCRATCH_EN: 0
; COMPUTE_PGM_RSRC2:USER_SGPR: 13
; COMPUTE_PGM_RSRC2:TRAP_HANDLER: 0
; COMPUTE_PGM_RSRC2:TGID_X_EN: 1
; COMPUTE_PGM_RSRC2:TGID_Y_EN: 1
; COMPUTE_PGM_RSRC2:TGID_Z_EN: 1
; COMPUTE_PGM_RSRC2:TIDIG_COMP_CNT: 1
	.section	.text._ZL44rocblas_set_matrix_zero_if_alpha_zero_kernelILi16ELi16E19rocblas_complex_numIfEPS1_EviiT1_lT2_lli,"axG",@progbits,_ZL44rocblas_set_matrix_zero_if_alpha_zero_kernelILi16ELi16E19rocblas_complex_numIfEPS1_EviiT1_lT2_lli,comdat
	.globl	_ZL44rocblas_set_matrix_zero_if_alpha_zero_kernelILi16ELi16E19rocblas_complex_numIfEPS1_EviiT1_lT2_lli ; -- Begin function _ZL44rocblas_set_matrix_zero_if_alpha_zero_kernelILi16ELi16E19rocblas_complex_numIfEPS1_EviiT1_lT2_lli
	.p2align	8
	.type	_ZL44rocblas_set_matrix_zero_if_alpha_zero_kernelILi16ELi16E19rocblas_complex_numIfEPS1_EviiT1_lT2_lli,@function
_ZL44rocblas_set_matrix_zero_if_alpha_zero_kernelILi16ELi16E19rocblas_complex_numIfEPS1_EviiT1_lT2_lli: ; @_ZL44rocblas_set_matrix_zero_if_alpha_zero_kernelILi16ELi16E19rocblas_complex_numIfEPS1_EviiT1_lT2_lli
; %bb.0:
	s_load_b128 s[4:7], s[0:1], 0x0
	s_waitcnt lgkmcnt(0)
	v_cmp_eq_f32_e64 s2, s6, 0
	v_cmp_eq_f32_e64 s3, s7, 0
	s_delay_alu instid0(VALU_DEP_1) | instskip(NEXT) | instid1(SALU_CYCLE_1)
	s_and_b32 s2, s2, s3
	s_and_not1_b32 vcc_lo, exec_lo, s2
	s_cbranch_vccnz .LBB203_4
; %bb.1:
	v_dual_mov_b32 v1, 0 :: v_dual_and_b32 v2, 0x3ff, v0
	v_bfe_u32 v3, v0, 10, 10
	s_ashr_i32 s3, s4, 31
	s_mov_b32 s2, s4
	s_delay_alu instid0(VALU_DEP_2)
	v_lshl_add_u32 v0, s13, 4, v2
	s_ashr_i32 s9, s5, 31
	v_lshl_add_u32 v2, s14, 4, v3
	v_mov_b32_e32 v3, v1
	s_mov_b32 s8, s5
	v_cmp_gt_i64_e32 vcc_lo, s[2:3], v[0:1]
	s_mov_b32 s10, 0
	s_delay_alu instid0(VALU_DEP_2) | instskip(NEXT) | instid1(VALU_DEP_1)
	v_cmp_gt_i64_e64 s2, s[8:9], v[2:3]
	s_and_b32 s2, vcc_lo, s2
	s_delay_alu instid0(SALU_CYCLE_1)
	s_and_saveexec_b32 s3, s2
	s_cbranch_execz .LBB203_4
; %bb.2:
	s_clause 0x2
	s_load_b128 s[4:7], s[0:1], 0x18
	s_load_b64 s[2:3], s[0:1], 0x28
	s_load_b32 s0, s[0:1], 0x3c
	s_waitcnt lgkmcnt(0)
	v_mad_u64_u32 v[4:5], null, s6, v2, 0
	s_mul_i32 s1, s3, s15
	s_mul_hi_u32 s3, s2, s15
	s_mul_i32 s2, s2, s15
	s_add_i32 s3, s3, s1
	s_lshl_b32 s1, s0, 4
	s_lshl_b64 s[2:3], s[2:3], 3
	s_delay_alu instid0(VALU_DEP_1) | instskip(SKIP_1) | instid1(VALU_DEP_1)
	v_mad_u64_u32 v[6:7], null, s7, v2, v[5:6]
	s_mul_i32 s0, s7, s1
	v_mov_b32_e32 v5, v6
	v_lshlrev_b64 v[6:7], 3, v[0:1]
	s_delay_alu instid0(VALU_DEP_2) | instskip(NEXT) | instid1(VALU_DEP_1)
	v_lshlrev_b64 v[4:5], 3, v[4:5]
	v_add_co_u32 v0, vcc_lo, s2, v4
	s_delay_alu instid0(VALU_DEP_2) | instskip(SKIP_1) | instid1(VALU_DEP_2)
	v_add_co_ci_u32_e32 v4, vcc_lo, s3, v5, vcc_lo
	s_mul_hi_u32 s2, s6, s1
	v_add_co_u32 v0, vcc_lo, v0, v6
	s_delay_alu instid0(VALU_DEP_2) | instskip(SKIP_1) | instid1(VALU_DEP_2)
	v_add_co_ci_u32_e32 v4, vcc_lo, v4, v7, vcc_lo
	s_add_i32 s3, s2, s0
	v_add_co_u32 v0, vcc_lo, v0, s4
	s_delay_alu instid0(VALU_DEP_2) | instskip(SKIP_1) | instid1(VALU_DEP_2)
	v_add_co_ci_u32_e32 v5, vcc_lo, s5, v4, vcc_lo
	s_mul_i32 s2, s6, s1
	v_add_co_u32 v4, vcc_lo, v0, 4
	v_mov_b32_e32 v0, v1
	s_delay_alu instid0(VALU_DEP_3)
	v_add_co_ci_u32_e32 v5, vcc_lo, 0, v5, vcc_lo
	s_lshl_b64 s[2:3], s[2:3], 3
.LBB203_3:                              ; =>This Inner Loop Header: Depth=1
	v_add_co_u32 v2, vcc_lo, v2, s1
	v_add_co_ci_u32_e32 v3, vcc_lo, 0, v3, vcc_lo
	global_store_b64 v[4:5], v[0:1], off offset:-4
	v_add_co_u32 v4, s0, v4, s2
	v_cmp_le_i64_e32 vcc_lo, s[8:9], v[2:3]
	v_add_co_ci_u32_e64 v5, s0, s3, v5, s0
	s_or_b32 s10, vcc_lo, s10
	s_delay_alu instid0(SALU_CYCLE_1)
	s_and_not1_b32 exec_lo, exec_lo, s10
	s_cbranch_execnz .LBB203_3
.LBB203_4:
	s_nop 0
	s_sendmsg sendmsg(MSG_DEALLOC_VGPRS)
	s_endpgm
	.section	.rodata,"a",@progbits
	.p2align	6, 0x0
	.amdhsa_kernel _ZL44rocblas_set_matrix_zero_if_alpha_zero_kernelILi16ELi16E19rocblas_complex_numIfEPS1_EviiT1_lT2_lli
		.amdhsa_group_segment_fixed_size 0
		.amdhsa_private_segment_fixed_size 0
		.amdhsa_kernarg_size 312
		.amdhsa_user_sgpr_count 13
		.amdhsa_user_sgpr_dispatch_ptr 0
		.amdhsa_user_sgpr_queue_ptr 0
		.amdhsa_user_sgpr_kernarg_segment_ptr 1
		.amdhsa_user_sgpr_dispatch_id 0
		.amdhsa_user_sgpr_private_segment_size 0
		.amdhsa_wavefront_size32 1
		.amdhsa_uses_dynamic_stack 0
		.amdhsa_enable_private_segment 0
		.amdhsa_system_sgpr_workgroup_id_x 1
		.amdhsa_system_sgpr_workgroup_id_y 1
		.amdhsa_system_sgpr_workgroup_id_z 1
		.amdhsa_system_sgpr_workgroup_info 0
		.amdhsa_system_vgpr_workitem_id 1
		.amdhsa_next_free_vgpr 8
		.amdhsa_next_free_sgpr 16
		.amdhsa_reserve_vcc 1
		.amdhsa_float_round_mode_32 0
		.amdhsa_float_round_mode_16_64 0
		.amdhsa_float_denorm_mode_32 3
		.amdhsa_float_denorm_mode_16_64 3
		.amdhsa_dx10_clamp 1
		.amdhsa_ieee_mode 1
		.amdhsa_fp16_overflow 0
		.amdhsa_workgroup_processor_mode 1
		.amdhsa_memory_ordered 1
		.amdhsa_forward_progress 0
		.amdhsa_shared_vgpr_count 0
		.amdhsa_exception_fp_ieee_invalid_op 0
		.amdhsa_exception_fp_denorm_src 0
		.amdhsa_exception_fp_ieee_div_zero 0
		.amdhsa_exception_fp_ieee_overflow 0
		.amdhsa_exception_fp_ieee_underflow 0
		.amdhsa_exception_fp_ieee_inexact 0
		.amdhsa_exception_int_div_zero 0
	.end_amdhsa_kernel
	.section	.text._ZL44rocblas_set_matrix_zero_if_alpha_zero_kernelILi16ELi16E19rocblas_complex_numIfEPS1_EviiT1_lT2_lli,"axG",@progbits,_ZL44rocblas_set_matrix_zero_if_alpha_zero_kernelILi16ELi16E19rocblas_complex_numIfEPS1_EviiT1_lT2_lli,comdat
.Lfunc_end203:
	.size	_ZL44rocblas_set_matrix_zero_if_alpha_zero_kernelILi16ELi16E19rocblas_complex_numIfEPS1_EviiT1_lT2_lli, .Lfunc_end203-_ZL44rocblas_set_matrix_zero_if_alpha_zero_kernelILi16ELi16E19rocblas_complex_numIfEPS1_EviiT1_lT2_lli
                                        ; -- End function
	.section	.AMDGPU.csdata,"",@progbits
; Kernel info:
; codeLenInByte = 396
; NumSgprs: 18
; NumVgprs: 8
; ScratchSize: 0
; MemoryBound: 0
; FloatMode: 240
; IeeeMode: 1
; LDSByteSize: 0 bytes/workgroup (compile time only)
; SGPRBlocks: 2
; VGPRBlocks: 0
; NumSGPRsForWavesPerEU: 18
; NumVGPRsForWavesPerEU: 8
; Occupancy: 16
; WaveLimiterHint : 0
; COMPUTE_PGM_RSRC2:SCRATCH_EN: 0
; COMPUTE_PGM_RSRC2:USER_SGPR: 13
; COMPUTE_PGM_RSRC2:TRAP_HANDLER: 0
; COMPUTE_PGM_RSRC2:TGID_X_EN: 1
; COMPUTE_PGM_RSRC2:TGID_Y_EN: 1
; COMPUTE_PGM_RSRC2:TGID_Z_EN: 1
; COMPUTE_PGM_RSRC2:TIDIG_COMP_CNT: 1
	.section	.text._ZL44rocblas_set_matrix_zero_if_alpha_zero_kernelILi16ELi16EPK19rocblas_complex_numIdEPKPS1_EviiT1_lT2_lli,"axG",@progbits,_ZL44rocblas_set_matrix_zero_if_alpha_zero_kernelILi16ELi16EPK19rocblas_complex_numIdEPKPS1_EviiT1_lT2_lli,comdat
	.globl	_ZL44rocblas_set_matrix_zero_if_alpha_zero_kernelILi16ELi16EPK19rocblas_complex_numIdEPKPS1_EviiT1_lT2_lli ; -- Begin function _ZL44rocblas_set_matrix_zero_if_alpha_zero_kernelILi16ELi16EPK19rocblas_complex_numIdEPKPS1_EviiT1_lT2_lli
	.p2align	8
	.type	_ZL44rocblas_set_matrix_zero_if_alpha_zero_kernelILi16ELi16EPK19rocblas_complex_numIdEPKPS1_EviiT1_lT2_lli,@function
_ZL44rocblas_set_matrix_zero_if_alpha_zero_kernelILi16ELi16EPK19rocblas_complex_numIdEPKPS1_EviiT1_lT2_lli: ; @_ZL44rocblas_set_matrix_zero_if_alpha_zero_kernelILi16ELi16EPK19rocblas_complex_numIdEPKPS1_EviiT1_lT2_lli
; %bb.0:
	s_load_b256 s[4:11], s[0:1], 0x8
	s_waitcnt lgkmcnt(0)
	s_mul_i32 s3, s15, s7
	s_mul_hi_u32 s7, s15, s6
	s_mul_i32 s2, s15, s6
	s_add_i32 s3, s7, s3
	s_delay_alu instid0(SALU_CYCLE_1) | instskip(NEXT) | instid1(SALU_CYCLE_1)
	s_lshl_b64 s[2:3], s[2:3], 4
	s_add_u32 s2, s4, s2
	s_addc_u32 s3, s5, s3
	s_load_b128 s[4:7], s[2:3], 0x0
	s_waitcnt lgkmcnt(0)
	v_cmp_eq_f64_e64 s2, s[4:5], 0
	v_cmp_eq_f64_e64 s3, s[6:7], 0
	s_delay_alu instid0(VALU_DEP_1) | instskip(NEXT) | instid1(SALU_CYCLE_1)
	s_and_b32 s2, s2, s3
	s_and_not1_b32 vcc_lo, exec_lo, s2
	s_cbranch_vccnz .LBB204_4
; %bb.1:
	s_load_b64 s[2:3], s[0:1], 0x0
	v_dual_mov_b32 v1, 0 :: v_dual_and_b32 v2, 0x3ff, v0
	v_bfe_u32 v3, v0, 10, 10
	s_delay_alu instid0(VALU_DEP_2) | instskip(NEXT) | instid1(VALU_DEP_3)
	v_lshl_add_u32 v0, s13, 4, v2
	v_mov_b32_e32 v5, v1
	s_delay_alu instid0(VALU_DEP_3)
	v_lshl_add_u32 v4, s14, 4, v3
	s_mov_b32 s13, 0
	s_waitcnt lgkmcnt(0)
	s_ashr_i32 s7, s2, 31
	s_mov_b32 s6, s2
	s_ashr_i32 s5, s3, 31
	s_mov_b32 s4, s3
	v_cmp_gt_i64_e32 vcc_lo, s[6:7], v[0:1]
	v_cmp_gt_i64_e64 s2, s[4:5], v[4:5]
	s_delay_alu instid0(VALU_DEP_1) | instskip(NEXT) | instid1(SALU_CYCLE_1)
	s_and_b32 s2, vcc_lo, s2
	s_and_saveexec_b32 s3, s2
	s_cbranch_execz .LBB204_4
; %bb.2:
	v_mad_u64_u32 v[2:3], null, s10, v4, 0
	s_clause 0x1
	s_load_b32 s14, s[0:1], 0x3c
	s_load_b64 s[2:3], s[0:1], 0x28
	s_mov_b32 s12, s15
	s_delay_alu instid0(SALU_CYCLE_1) | instskip(NEXT) | instid1(SALU_CYCLE_1)
	s_lshl_b64 s[0:1], s[12:13], 3
	s_add_u32 s0, s8, s0
	s_delay_alu instid0(VALU_DEP_1) | instskip(SKIP_2) | instid1(VALU_DEP_1)
	v_mad_u64_u32 v[6:7], null, s11, v4, v[3:4]
	s_addc_u32 s1, s9, s1
	s_load_b64 s[6:7], s[0:1], 0x0
	v_mov_b32_e32 v3, v6
	v_lshlrev_b64 v[6:7], 4, v[0:1]
	v_mov_b32_e32 v0, v1
	s_waitcnt lgkmcnt(0)
	s_lshl_b32 s1, s14, 4
	v_lshlrev_b64 v[8:9], 4, v[2:3]
	s_lshl_b64 s[2:3], s[2:3], 4
	s_mul_i32 s0, s11, s1
	v_mov_b32_e32 v2, v1
	s_delay_alu instid0(VALU_DEP_2) | instskip(NEXT) | instid1(VALU_DEP_3)
	v_add_co_u32 v3, vcc_lo, v8, s2
	v_add_co_ci_u32_e32 v8, vcc_lo, s3, v9, vcc_lo
	s_mul_hi_u32 s2, s10, s1
	s_delay_alu instid0(VALU_DEP_2) | instskip(NEXT) | instid1(VALU_DEP_2)
	v_add_co_u32 v3, vcc_lo, v3, v6
	v_add_co_ci_u32_e32 v7, vcc_lo, v8, v7, vcc_lo
	s_add_i32 s3, s2, s0
	s_delay_alu instid0(VALU_DEP_2) | instskip(NEXT) | instid1(VALU_DEP_2)
	v_add_co_u32 v6, vcc_lo, s6, v3
	v_add_co_ci_u32_e32 v7, vcc_lo, s7, v7, vcc_lo
	v_mov_b32_e32 v3, v1
	s_mul_i32 s2, s10, s1
	s_delay_alu instid0(SALU_CYCLE_1)
	s_lshl_b64 s[2:3], s[2:3], 4
.LBB204_3:                              ; =>This Inner Loop Header: Depth=1
	v_add_co_u32 v4, vcc_lo, v4, s1
	v_add_co_ci_u32_e32 v5, vcc_lo, 0, v5, vcc_lo
	flat_store_b128 v[6:7], v[0:3]
	v_add_co_u32 v6, s0, v6, s2
	v_cmp_le_i64_e32 vcc_lo, s[4:5], v[4:5]
	v_add_co_ci_u32_e64 v7, s0, s3, v7, s0
	s_or_b32 s13, vcc_lo, s13
	s_delay_alu instid0(SALU_CYCLE_1)
	s_and_not1_b32 exec_lo, exec_lo, s13
	s_cbranch_execnz .LBB204_3
.LBB204_4:
	s_endpgm
	.section	.rodata,"a",@progbits
	.p2align	6, 0x0
	.amdhsa_kernel _ZL44rocblas_set_matrix_zero_if_alpha_zero_kernelILi16ELi16EPK19rocblas_complex_numIdEPKPS1_EviiT1_lT2_lli
		.amdhsa_group_segment_fixed_size 0
		.amdhsa_private_segment_fixed_size 0
		.amdhsa_kernarg_size 312
		.amdhsa_user_sgpr_count 13
		.amdhsa_user_sgpr_dispatch_ptr 0
		.amdhsa_user_sgpr_queue_ptr 0
		.amdhsa_user_sgpr_kernarg_segment_ptr 1
		.amdhsa_user_sgpr_dispatch_id 0
		.amdhsa_user_sgpr_private_segment_size 0
		.amdhsa_wavefront_size32 1
		.amdhsa_uses_dynamic_stack 0
		.amdhsa_enable_private_segment 0
		.amdhsa_system_sgpr_workgroup_id_x 1
		.amdhsa_system_sgpr_workgroup_id_y 1
		.amdhsa_system_sgpr_workgroup_id_z 1
		.amdhsa_system_sgpr_workgroup_info 0
		.amdhsa_system_vgpr_workitem_id 1
		.amdhsa_next_free_vgpr 10
		.amdhsa_next_free_sgpr 16
		.amdhsa_reserve_vcc 1
		.amdhsa_float_round_mode_32 0
		.amdhsa_float_round_mode_16_64 0
		.amdhsa_float_denorm_mode_32 3
		.amdhsa_float_denorm_mode_16_64 3
		.amdhsa_dx10_clamp 1
		.amdhsa_ieee_mode 1
		.amdhsa_fp16_overflow 0
		.amdhsa_workgroup_processor_mode 1
		.amdhsa_memory_ordered 1
		.amdhsa_forward_progress 0
		.amdhsa_shared_vgpr_count 0
		.amdhsa_exception_fp_ieee_invalid_op 0
		.amdhsa_exception_fp_denorm_src 0
		.amdhsa_exception_fp_ieee_div_zero 0
		.amdhsa_exception_fp_ieee_overflow 0
		.amdhsa_exception_fp_ieee_underflow 0
		.amdhsa_exception_fp_ieee_inexact 0
		.amdhsa_exception_int_div_zero 0
	.end_amdhsa_kernel
	.section	.text._ZL44rocblas_set_matrix_zero_if_alpha_zero_kernelILi16ELi16EPK19rocblas_complex_numIdEPKPS1_EviiT1_lT2_lli,"axG",@progbits,_ZL44rocblas_set_matrix_zero_if_alpha_zero_kernelILi16ELi16EPK19rocblas_complex_numIdEPKPS1_EviiT1_lT2_lli,comdat
.Lfunc_end204:
	.size	_ZL44rocblas_set_matrix_zero_if_alpha_zero_kernelILi16ELi16EPK19rocblas_complex_numIdEPKPS1_EviiT1_lT2_lli, .Lfunc_end204-_ZL44rocblas_set_matrix_zero_if_alpha_zero_kernelILi16ELi16EPK19rocblas_complex_numIdEPKPS1_EviiT1_lT2_lli
                                        ; -- End function
	.section	.AMDGPU.csdata,"",@progbits
; Kernel info:
; codeLenInByte = 440
; NumSgprs: 18
; NumVgprs: 10
; ScratchSize: 0
; MemoryBound: 0
; FloatMode: 240
; IeeeMode: 1
; LDSByteSize: 0 bytes/workgroup (compile time only)
; SGPRBlocks: 2
; VGPRBlocks: 1
; NumSGPRsForWavesPerEU: 18
; NumVGPRsForWavesPerEU: 10
; Occupancy: 16
; WaveLimiterHint : 0
; COMPUTE_PGM_RSRC2:SCRATCH_EN: 0
; COMPUTE_PGM_RSRC2:USER_SGPR: 13
; COMPUTE_PGM_RSRC2:TRAP_HANDLER: 0
; COMPUTE_PGM_RSRC2:TGID_X_EN: 1
; COMPUTE_PGM_RSRC2:TGID_Y_EN: 1
; COMPUTE_PGM_RSRC2:TGID_Z_EN: 1
; COMPUTE_PGM_RSRC2:TIDIG_COMP_CNT: 1
	.section	.text._ZL44rocblas_set_matrix_zero_if_alpha_zero_kernelILi16ELi16E19rocblas_complex_numIdEPKPS1_EviiT1_lT2_lli,"axG",@progbits,_ZL44rocblas_set_matrix_zero_if_alpha_zero_kernelILi16ELi16E19rocblas_complex_numIdEPKPS1_EviiT1_lT2_lli,comdat
	.globl	_ZL44rocblas_set_matrix_zero_if_alpha_zero_kernelILi16ELi16E19rocblas_complex_numIdEPKPS1_EviiT1_lT2_lli ; -- Begin function _ZL44rocblas_set_matrix_zero_if_alpha_zero_kernelILi16ELi16E19rocblas_complex_numIdEPKPS1_EviiT1_lT2_lli
	.p2align	8
	.type	_ZL44rocblas_set_matrix_zero_if_alpha_zero_kernelILi16ELi16E19rocblas_complex_numIdEPKPS1_EviiT1_lT2_lli,@function
_ZL44rocblas_set_matrix_zero_if_alpha_zero_kernelILi16ELi16E19rocblas_complex_numIdEPKPS1_EviiT1_lT2_lli: ; @_ZL44rocblas_set_matrix_zero_if_alpha_zero_kernelILi16ELi16E19rocblas_complex_numIdEPKPS1_EviiT1_lT2_lli
; %bb.0:
	s_load_b128 s[4:7], s[0:1], 0x8
	s_waitcnt lgkmcnt(0)
	v_cmp_eq_f64_e64 s2, s[4:5], 0
	v_cmp_eq_f64_e64 s3, s[6:7], 0
	s_delay_alu instid0(VALU_DEP_1) | instskip(NEXT) | instid1(SALU_CYCLE_1)
	s_and_b32 s2, s2, s3
	s_and_not1_b32 vcc_lo, exec_lo, s2
	s_cbranch_vccnz .LBB205_4
; %bb.1:
	s_load_b64 s[2:3], s[0:1], 0x0
	v_dual_mov_b32 v1, 0 :: v_dual_and_b32 v2, 0x3ff, v0
	v_bfe_u32 v3, v0, 10, 10
	s_mov_b32 s9, 0
	s_delay_alu instid0(VALU_DEP_2) | instskip(NEXT) | instid1(VALU_DEP_3)
	v_lshl_add_u32 v0, s13, 4, v2
	v_mov_b32_e32 v5, v1
	s_delay_alu instid0(VALU_DEP_3)
	v_lshl_add_u32 v4, s14, 4, v3
	s_waitcnt lgkmcnt(0)
	s_ashr_i32 s5, s2, 31
	s_mov_b32 s4, s2
	s_ashr_i32 s11, s3, 31
	s_mov_b32 s10, s3
	v_cmp_gt_i64_e32 vcc_lo, s[4:5], v[0:1]
	v_cmp_gt_i64_e64 s2, s[10:11], v[4:5]
	s_delay_alu instid0(VALU_DEP_1) | instskip(NEXT) | instid1(SALU_CYCLE_1)
	s_and_b32 s2, vcc_lo, s2
	s_and_saveexec_b32 s3, s2
	s_cbranch_execz .LBB205_4
; %bb.2:
	s_clause 0x1
	s_load_b128 s[4:7], s[0:1], 0x20
	s_load_b64 s[2:3], s[0:1], 0x30
	s_mov_b32 s8, s15
	s_load_b32 s12, s[0:1], 0x44
	s_lshl_b64 s[0:1], s[8:9], 3
	s_waitcnt lgkmcnt(0)
	v_mad_u64_u32 v[2:3], null, s6, v4, 0
	s_add_u32 s0, s4, s0
	s_addc_u32 s1, s5, s1
	s_lshl_b64 s[2:3], s[2:3], 4
	s_load_b64 s[4:5], s[0:1], 0x0
	s_lshl_b32 s1, s12, 4
	s_delay_alu instid0(SALU_CYCLE_1) | instskip(NEXT) | instid1(VALU_DEP_1)
	s_mul_i32 s0, s7, s1
	v_mad_u64_u32 v[6:7], null, s7, v4, v[3:4]
	s_delay_alu instid0(VALU_DEP_1) | instskip(SKIP_2) | instid1(VALU_DEP_3)
	v_mov_b32_e32 v3, v6
	v_lshlrev_b64 v[6:7], 4, v[0:1]
	v_mov_b32_e32 v0, v1
	v_lshlrev_b64 v[8:9], 4, v[2:3]
	v_mov_b32_e32 v2, v1
	s_delay_alu instid0(VALU_DEP_2) | instskip(NEXT) | instid1(VALU_DEP_3)
	v_add_co_u32 v3, vcc_lo, v8, s2
	v_add_co_ci_u32_e32 v8, vcc_lo, s3, v9, vcc_lo
	s_mul_hi_u32 s2, s6, s1
	s_delay_alu instid0(VALU_DEP_2) | instskip(NEXT) | instid1(VALU_DEP_2)
	v_add_co_u32 v3, vcc_lo, v3, v6
	v_add_co_ci_u32_e32 v7, vcc_lo, v8, v7, vcc_lo
	s_add_i32 s3, s2, s0
	s_waitcnt lgkmcnt(0)
	s_delay_alu instid0(VALU_DEP_2) | instskip(NEXT) | instid1(VALU_DEP_2)
	v_add_co_u32 v6, vcc_lo, s4, v3
	v_add_co_ci_u32_e32 v7, vcc_lo, s5, v7, vcc_lo
	v_mov_b32_e32 v3, v1
	s_mul_i32 s2, s6, s1
	s_delay_alu instid0(SALU_CYCLE_1)
	s_lshl_b64 s[2:3], s[2:3], 4
.LBB205_3:                              ; =>This Inner Loop Header: Depth=1
	v_add_co_u32 v4, vcc_lo, v4, s1
	v_add_co_ci_u32_e32 v5, vcc_lo, 0, v5, vcc_lo
	flat_store_b128 v[6:7], v[0:3]
	v_add_co_u32 v6, s0, v6, s2
	v_cmp_le_i64_e32 vcc_lo, s[10:11], v[4:5]
	v_add_co_ci_u32_e64 v7, s0, s3, v7, s0
	s_or_b32 s9, vcc_lo, s9
	s_delay_alu instid0(SALU_CYCLE_1)
	s_and_not1_b32 exec_lo, exec_lo, s9
	s_cbranch_execnz .LBB205_3
.LBB205_4:
	s_endpgm
	.section	.rodata,"a",@progbits
	.p2align	6, 0x0
	.amdhsa_kernel _ZL44rocblas_set_matrix_zero_if_alpha_zero_kernelILi16ELi16E19rocblas_complex_numIdEPKPS1_EviiT1_lT2_lli
		.amdhsa_group_segment_fixed_size 0
		.amdhsa_private_segment_fixed_size 0
		.amdhsa_kernarg_size 320
		.amdhsa_user_sgpr_count 13
		.amdhsa_user_sgpr_dispatch_ptr 0
		.amdhsa_user_sgpr_queue_ptr 0
		.amdhsa_user_sgpr_kernarg_segment_ptr 1
		.amdhsa_user_sgpr_dispatch_id 0
		.amdhsa_user_sgpr_private_segment_size 0
		.amdhsa_wavefront_size32 1
		.amdhsa_uses_dynamic_stack 0
		.amdhsa_enable_private_segment 0
		.amdhsa_system_sgpr_workgroup_id_x 1
		.amdhsa_system_sgpr_workgroup_id_y 1
		.amdhsa_system_sgpr_workgroup_id_z 1
		.amdhsa_system_sgpr_workgroup_info 0
		.amdhsa_system_vgpr_workitem_id 1
		.amdhsa_next_free_vgpr 10
		.amdhsa_next_free_sgpr 16
		.amdhsa_reserve_vcc 1
		.amdhsa_float_round_mode_32 0
		.amdhsa_float_round_mode_16_64 0
		.amdhsa_float_denorm_mode_32 3
		.amdhsa_float_denorm_mode_16_64 3
		.amdhsa_dx10_clamp 1
		.amdhsa_ieee_mode 1
		.amdhsa_fp16_overflow 0
		.amdhsa_workgroup_processor_mode 1
		.amdhsa_memory_ordered 1
		.amdhsa_forward_progress 0
		.amdhsa_shared_vgpr_count 0
		.amdhsa_exception_fp_ieee_invalid_op 0
		.amdhsa_exception_fp_denorm_src 0
		.amdhsa_exception_fp_ieee_div_zero 0
		.amdhsa_exception_fp_ieee_overflow 0
		.amdhsa_exception_fp_ieee_underflow 0
		.amdhsa_exception_fp_ieee_inexact 0
		.amdhsa_exception_int_div_zero 0
	.end_amdhsa_kernel
	.section	.text._ZL44rocblas_set_matrix_zero_if_alpha_zero_kernelILi16ELi16E19rocblas_complex_numIdEPKPS1_EviiT1_lT2_lli,"axG",@progbits,_ZL44rocblas_set_matrix_zero_if_alpha_zero_kernelILi16ELi16E19rocblas_complex_numIdEPKPS1_EviiT1_lT2_lli,comdat
.Lfunc_end205:
	.size	_ZL44rocblas_set_matrix_zero_if_alpha_zero_kernelILi16ELi16E19rocblas_complex_numIdEPKPS1_EviiT1_lT2_lli, .Lfunc_end205-_ZL44rocblas_set_matrix_zero_if_alpha_zero_kernelILi16ELi16E19rocblas_complex_numIdEPKPS1_EviiT1_lT2_lli
                                        ; -- End function
	.section	.AMDGPU.csdata,"",@progbits
; Kernel info:
; codeLenInByte = 408
; NumSgprs: 18
; NumVgprs: 10
; ScratchSize: 0
; MemoryBound: 0
; FloatMode: 240
; IeeeMode: 1
; LDSByteSize: 0 bytes/workgroup (compile time only)
; SGPRBlocks: 2
; VGPRBlocks: 1
; NumSGPRsForWavesPerEU: 18
; NumVGPRsForWavesPerEU: 10
; Occupancy: 16
; WaveLimiterHint : 0
; COMPUTE_PGM_RSRC2:SCRATCH_EN: 0
; COMPUTE_PGM_RSRC2:USER_SGPR: 13
; COMPUTE_PGM_RSRC2:TRAP_HANDLER: 0
; COMPUTE_PGM_RSRC2:TGID_X_EN: 1
; COMPUTE_PGM_RSRC2:TGID_Y_EN: 1
; COMPUTE_PGM_RSRC2:TGID_Z_EN: 1
; COMPUTE_PGM_RSRC2:TIDIG_COMP_CNT: 1
	.section	.text._ZL44rocblas_set_matrix_zero_if_alpha_zero_kernelILi16ELi16EPK19rocblas_complex_numIdEPS1_EviiT1_lT2_lli,"axG",@progbits,_ZL44rocblas_set_matrix_zero_if_alpha_zero_kernelILi16ELi16EPK19rocblas_complex_numIdEPS1_EviiT1_lT2_lli,comdat
	.globl	_ZL44rocblas_set_matrix_zero_if_alpha_zero_kernelILi16ELi16EPK19rocblas_complex_numIdEPS1_EviiT1_lT2_lli ; -- Begin function _ZL44rocblas_set_matrix_zero_if_alpha_zero_kernelILi16ELi16EPK19rocblas_complex_numIdEPS1_EviiT1_lT2_lli
	.p2align	8
	.type	_ZL44rocblas_set_matrix_zero_if_alpha_zero_kernelILi16ELi16EPK19rocblas_complex_numIdEPS1_EviiT1_lT2_lli,@function
_ZL44rocblas_set_matrix_zero_if_alpha_zero_kernelILi16ELi16EPK19rocblas_complex_numIdEPS1_EviiT1_lT2_lli: ; @_ZL44rocblas_set_matrix_zero_if_alpha_zero_kernelILi16ELi16EPK19rocblas_complex_numIdEPS1_EviiT1_lT2_lli
; %bb.0:
	s_load_b256 s[4:11], s[0:1], 0x8
	s_waitcnt lgkmcnt(0)
	s_mul_i32 s3, s15, s7
	s_mul_hi_u32 s7, s15, s6
	s_mul_i32 s2, s15, s6
	s_add_i32 s3, s7, s3
	s_delay_alu instid0(SALU_CYCLE_1) | instskip(NEXT) | instid1(SALU_CYCLE_1)
	s_lshl_b64 s[2:3], s[2:3], 4
	s_add_u32 s2, s4, s2
	s_addc_u32 s3, s5, s3
	s_load_b128 s[4:7], s[2:3], 0x0
	s_waitcnt lgkmcnt(0)
	v_cmp_eq_f64_e64 s2, s[4:5], 0
	v_cmp_eq_f64_e64 s3, s[6:7], 0
	s_delay_alu instid0(VALU_DEP_1) | instskip(NEXT) | instid1(SALU_CYCLE_1)
	s_and_b32 s2, s2, s3
	s_and_not1_b32 vcc_lo, exec_lo, s2
	s_cbranch_vccnz .LBB206_4
; %bb.1:
	s_load_b64 s[2:3], s[0:1], 0x0
	v_dual_mov_b32 v1, 0 :: v_dual_and_b32 v2, 0x3ff, v0
	v_bfe_u32 v3, v0, 10, 10
	s_delay_alu instid0(VALU_DEP_2) | instskip(NEXT) | instid1(VALU_DEP_3)
	v_lshl_add_u32 v0, s13, 4, v2
	v_mov_b32_e32 v5, v1
	s_delay_alu instid0(VALU_DEP_3)
	v_lshl_add_u32 v4, s14, 4, v3
	s_waitcnt lgkmcnt(0)
	s_ashr_i32 s7, s2, 31
	s_mov_b32 s6, s2
	s_ashr_i32 s5, s3, 31
	s_mov_b32 s4, s3
	v_cmp_gt_i64_e32 vcc_lo, s[6:7], v[0:1]
	v_cmp_gt_i64_e64 s2, s[4:5], v[4:5]
	s_mov_b32 s6, 0
	s_delay_alu instid0(VALU_DEP_1) | instskip(NEXT) | instid1(SALU_CYCLE_1)
	s_and_b32 s2, vcc_lo, s2
	s_and_saveexec_b32 s3, s2
	s_cbranch_execz .LBB206_4
; %bb.2:
	v_mad_u64_u32 v[6:7], null, s10, v4, 0
	s_clause 0x1
	s_load_b64 s[2:3], s[0:1], 0x28
	s_load_b32 s0, s[0:1], 0x3c
	s_delay_alu instid0(VALU_DEP_1) | instskip(NEXT) | instid1(VALU_DEP_1)
	v_mov_b32_e32 v2, v7
	v_mad_u64_u32 v[7:8], null, s11, v4, v[2:3]
	v_lshlrev_b64 v[8:9], 4, v[0:1]
	v_mov_b32_e32 v0, v1
	v_mov_b32_e32 v2, v1
	s_delay_alu instid0(VALU_DEP_4)
	v_lshlrev_b64 v[6:7], 4, v[6:7]
	s_waitcnt lgkmcnt(0)
	s_mul_i32 s1, s3, s15
	s_mul_hi_u32 s3, s2, s15
	s_mul_i32 s2, s2, s15
	s_add_i32 s3, s3, s1
	s_lshl_b32 s1, s0, 4
	s_lshl_b64 s[2:3], s[2:3], 4
	s_mul_i32 s0, s11, s1
	v_add_co_u32 v3, vcc_lo, s2, v6
	v_add_co_ci_u32_e32 v6, vcc_lo, s3, v7, vcc_lo
	s_mul_hi_u32 s2, s10, s1
	s_delay_alu instid0(VALU_DEP_2) | instskip(NEXT) | instid1(VALU_DEP_2)
	v_add_co_u32 v3, vcc_lo, v3, v8
	v_add_co_ci_u32_e32 v6, vcc_lo, v6, v9, vcc_lo
	s_add_i32 s3, s2, s0
	s_delay_alu instid0(VALU_DEP_2) | instskip(NEXT) | instid1(VALU_DEP_2)
	v_add_co_u32 v3, vcc_lo, v3, s8
	v_add_co_ci_u32_e32 v7, vcc_lo, s9, v6, vcc_lo
	s_mul_i32 s2, s10, s1
	s_delay_alu instid0(VALU_DEP_2) | instskip(SKIP_1) | instid1(VALU_DEP_3)
	v_add_co_u32 v6, vcc_lo, v3, 8
	v_mov_b32_e32 v3, v1
	v_add_co_ci_u32_e32 v7, vcc_lo, 0, v7, vcc_lo
	s_lshl_b64 s[2:3], s[2:3], 4
.LBB206_3:                              ; =>This Inner Loop Header: Depth=1
	v_add_co_u32 v4, vcc_lo, v4, s1
	v_add_co_ci_u32_e32 v5, vcc_lo, 0, v5, vcc_lo
	global_store_b128 v[6:7], v[0:3], off offset:-8
	v_add_co_u32 v6, s0, v6, s2
	v_cmp_le_i64_e32 vcc_lo, s[4:5], v[4:5]
	v_add_co_ci_u32_e64 v7, s0, s3, v7, s0
	s_or_b32 s6, vcc_lo, s6
	s_delay_alu instid0(SALU_CYCLE_1)
	s_and_not1_b32 exec_lo, exec_lo, s6
	s_cbranch_execnz .LBB206_3
.LBB206_4:
	s_nop 0
	s_sendmsg sendmsg(MSG_DEALLOC_VGPRS)
	s_endpgm
	.section	.rodata,"a",@progbits
	.p2align	6, 0x0
	.amdhsa_kernel _ZL44rocblas_set_matrix_zero_if_alpha_zero_kernelILi16ELi16EPK19rocblas_complex_numIdEPS1_EviiT1_lT2_lli
		.amdhsa_group_segment_fixed_size 0
		.amdhsa_private_segment_fixed_size 0
		.amdhsa_kernarg_size 312
		.amdhsa_user_sgpr_count 13
		.amdhsa_user_sgpr_dispatch_ptr 0
		.amdhsa_user_sgpr_queue_ptr 0
		.amdhsa_user_sgpr_kernarg_segment_ptr 1
		.amdhsa_user_sgpr_dispatch_id 0
		.amdhsa_user_sgpr_private_segment_size 0
		.amdhsa_wavefront_size32 1
		.amdhsa_uses_dynamic_stack 0
		.amdhsa_enable_private_segment 0
		.amdhsa_system_sgpr_workgroup_id_x 1
		.amdhsa_system_sgpr_workgroup_id_y 1
		.amdhsa_system_sgpr_workgroup_id_z 1
		.amdhsa_system_sgpr_workgroup_info 0
		.amdhsa_system_vgpr_workitem_id 1
		.amdhsa_next_free_vgpr 10
		.amdhsa_next_free_sgpr 16
		.amdhsa_reserve_vcc 1
		.amdhsa_float_round_mode_32 0
		.amdhsa_float_round_mode_16_64 0
		.amdhsa_float_denorm_mode_32 3
		.amdhsa_float_denorm_mode_16_64 3
		.amdhsa_dx10_clamp 1
		.amdhsa_ieee_mode 1
		.amdhsa_fp16_overflow 0
		.amdhsa_workgroup_processor_mode 1
		.amdhsa_memory_ordered 1
		.amdhsa_forward_progress 0
		.amdhsa_shared_vgpr_count 0
		.amdhsa_exception_fp_ieee_invalid_op 0
		.amdhsa_exception_fp_denorm_src 0
		.amdhsa_exception_fp_ieee_div_zero 0
		.amdhsa_exception_fp_ieee_overflow 0
		.amdhsa_exception_fp_ieee_underflow 0
		.amdhsa_exception_fp_ieee_inexact 0
		.amdhsa_exception_int_div_zero 0
	.end_amdhsa_kernel
	.section	.text._ZL44rocblas_set_matrix_zero_if_alpha_zero_kernelILi16ELi16EPK19rocblas_complex_numIdEPS1_EviiT1_lT2_lli,"axG",@progbits,_ZL44rocblas_set_matrix_zero_if_alpha_zero_kernelILi16ELi16EPK19rocblas_complex_numIdEPS1_EviiT1_lT2_lli,comdat
.Lfunc_end206:
	.size	_ZL44rocblas_set_matrix_zero_if_alpha_zero_kernelILi16ELi16EPK19rocblas_complex_numIdEPS1_EviiT1_lT2_lli, .Lfunc_end206-_ZL44rocblas_set_matrix_zero_if_alpha_zero_kernelILi16ELi16EPK19rocblas_complex_numIdEPS1_EviiT1_lT2_lli
                                        ; -- End function
	.section	.AMDGPU.csdata,"",@progbits
; Kernel info:
; codeLenInByte = 448
; NumSgprs: 18
; NumVgprs: 10
; ScratchSize: 0
; MemoryBound: 0
; FloatMode: 240
; IeeeMode: 1
; LDSByteSize: 0 bytes/workgroup (compile time only)
; SGPRBlocks: 2
; VGPRBlocks: 1
; NumSGPRsForWavesPerEU: 18
; NumVGPRsForWavesPerEU: 10
; Occupancy: 16
; WaveLimiterHint : 0
; COMPUTE_PGM_RSRC2:SCRATCH_EN: 0
; COMPUTE_PGM_RSRC2:USER_SGPR: 13
; COMPUTE_PGM_RSRC2:TRAP_HANDLER: 0
; COMPUTE_PGM_RSRC2:TGID_X_EN: 1
; COMPUTE_PGM_RSRC2:TGID_Y_EN: 1
; COMPUTE_PGM_RSRC2:TGID_Z_EN: 1
; COMPUTE_PGM_RSRC2:TIDIG_COMP_CNT: 1
	.section	.text._ZL44rocblas_set_matrix_zero_if_alpha_zero_kernelILi16ELi16E19rocblas_complex_numIdEPS1_EviiT1_lT2_lli,"axG",@progbits,_ZL44rocblas_set_matrix_zero_if_alpha_zero_kernelILi16ELi16E19rocblas_complex_numIdEPS1_EviiT1_lT2_lli,comdat
	.globl	_ZL44rocblas_set_matrix_zero_if_alpha_zero_kernelILi16ELi16E19rocblas_complex_numIdEPS1_EviiT1_lT2_lli ; -- Begin function _ZL44rocblas_set_matrix_zero_if_alpha_zero_kernelILi16ELi16E19rocblas_complex_numIdEPS1_EviiT1_lT2_lli
	.p2align	8
	.type	_ZL44rocblas_set_matrix_zero_if_alpha_zero_kernelILi16ELi16E19rocblas_complex_numIdEPS1_EviiT1_lT2_lli,@function
_ZL44rocblas_set_matrix_zero_if_alpha_zero_kernelILi16ELi16E19rocblas_complex_numIdEPS1_EviiT1_lT2_lli: ; @_ZL44rocblas_set_matrix_zero_if_alpha_zero_kernelILi16ELi16E19rocblas_complex_numIdEPS1_EviiT1_lT2_lli
; %bb.0:
	s_load_b128 s[4:7], s[0:1], 0x8
	s_waitcnt lgkmcnt(0)
	v_cmp_eq_f64_e64 s2, s[4:5], 0
	v_cmp_eq_f64_e64 s3, s[6:7], 0
	s_delay_alu instid0(VALU_DEP_1) | instskip(NEXT) | instid1(SALU_CYCLE_1)
	s_and_b32 s2, s2, s3
	s_and_not1_b32 vcc_lo, exec_lo, s2
	s_cbranch_vccnz .LBB207_4
; %bb.1:
	s_load_b64 s[2:3], s[0:1], 0x0
	v_dual_mov_b32 v1, 0 :: v_dual_and_b32 v2, 0x3ff, v0
	v_bfe_u32 v3, v0, 10, 10
	s_mov_b32 s10, 0
	s_delay_alu instid0(VALU_DEP_2) | instskip(NEXT) | instid1(VALU_DEP_3)
	v_lshl_add_u32 v0, s13, 4, v2
	v_mov_b32_e32 v5, v1
	s_delay_alu instid0(VALU_DEP_3)
	v_lshl_add_u32 v4, s14, 4, v3
	s_waitcnt lgkmcnt(0)
	s_ashr_i32 s5, s2, 31
	s_mov_b32 s4, s2
	s_ashr_i32 s9, s3, 31
	s_mov_b32 s8, s3
	v_cmp_gt_i64_e32 vcc_lo, s[4:5], v[0:1]
	v_cmp_gt_i64_e64 s2, s[8:9], v[4:5]
	s_delay_alu instid0(VALU_DEP_1) | instskip(NEXT) | instid1(SALU_CYCLE_1)
	s_and_b32 s2, vcc_lo, s2
	s_and_saveexec_b32 s3, s2
	s_cbranch_execz .LBB207_4
; %bb.2:
	s_clause 0x2
	s_load_b128 s[4:7], s[0:1], 0x20
	s_load_b64 s[2:3], s[0:1], 0x30
	s_load_b32 s0, s[0:1], 0x44
	s_waitcnt lgkmcnt(0)
	v_mad_u64_u32 v[6:7], null, s6, v4, 0
	s_mul_i32 s1, s3, s15
	s_mul_hi_u32 s3, s2, s15
	s_mul_i32 s2, s2, s15
	s_add_i32 s3, s3, s1
	s_lshl_b32 s1, s0, 4
	s_lshl_b64 s[2:3], s[2:3], 4
	s_delay_alu instid0(VALU_DEP_1) | instskip(SKIP_1) | instid1(VALU_DEP_1)
	v_mov_b32_e32 v2, v7
	s_mul_i32 s0, s7, s1
	v_mad_u64_u32 v[7:8], null, s7, v4, v[2:3]
	v_lshlrev_b64 v[8:9], 4, v[0:1]
	v_mov_b32_e32 v0, v1
	v_mov_b32_e32 v2, v1
	s_delay_alu instid0(VALU_DEP_4) | instskip(NEXT) | instid1(VALU_DEP_1)
	v_lshlrev_b64 v[6:7], 4, v[6:7]
	v_add_co_u32 v3, vcc_lo, s2, v6
	s_delay_alu instid0(VALU_DEP_2) | instskip(SKIP_1) | instid1(VALU_DEP_2)
	v_add_co_ci_u32_e32 v6, vcc_lo, s3, v7, vcc_lo
	s_mul_hi_u32 s2, s6, s1
	v_add_co_u32 v3, vcc_lo, v3, v8
	s_delay_alu instid0(VALU_DEP_2) | instskip(SKIP_1) | instid1(VALU_DEP_2)
	v_add_co_ci_u32_e32 v6, vcc_lo, v6, v9, vcc_lo
	s_add_i32 s3, s2, s0
	v_add_co_u32 v3, vcc_lo, v3, s4
	s_delay_alu instid0(VALU_DEP_2) | instskip(SKIP_1) | instid1(VALU_DEP_2)
	v_add_co_ci_u32_e32 v7, vcc_lo, s5, v6, vcc_lo
	s_mul_i32 s2, s6, s1
	v_add_co_u32 v6, vcc_lo, v3, 8
	v_mov_b32_e32 v3, v1
	s_delay_alu instid0(VALU_DEP_3)
	v_add_co_ci_u32_e32 v7, vcc_lo, 0, v7, vcc_lo
	s_lshl_b64 s[2:3], s[2:3], 4
.LBB207_3:                              ; =>This Inner Loop Header: Depth=1
	v_add_co_u32 v4, vcc_lo, v4, s1
	v_add_co_ci_u32_e32 v5, vcc_lo, 0, v5, vcc_lo
	global_store_b128 v[6:7], v[0:3], off offset:-8
	v_add_co_u32 v6, s0, v6, s2
	v_cmp_le_i64_e32 vcc_lo, s[8:9], v[4:5]
	v_add_co_ci_u32_e64 v7, s0, s3, v7, s0
	s_or_b32 s10, vcc_lo, s10
	s_delay_alu instid0(SALU_CYCLE_1)
	s_and_not1_b32 exec_lo, exec_lo, s10
	s_cbranch_execnz .LBB207_3
.LBB207_4:
	s_nop 0
	s_sendmsg sendmsg(MSG_DEALLOC_VGPRS)
	s_endpgm
	.section	.rodata,"a",@progbits
	.p2align	6, 0x0
	.amdhsa_kernel _ZL44rocblas_set_matrix_zero_if_alpha_zero_kernelILi16ELi16E19rocblas_complex_numIdEPS1_EviiT1_lT2_lli
		.amdhsa_group_segment_fixed_size 0
		.amdhsa_private_segment_fixed_size 0
		.amdhsa_kernarg_size 320
		.amdhsa_user_sgpr_count 13
		.amdhsa_user_sgpr_dispatch_ptr 0
		.amdhsa_user_sgpr_queue_ptr 0
		.amdhsa_user_sgpr_kernarg_segment_ptr 1
		.amdhsa_user_sgpr_dispatch_id 0
		.amdhsa_user_sgpr_private_segment_size 0
		.amdhsa_wavefront_size32 1
		.amdhsa_uses_dynamic_stack 0
		.amdhsa_enable_private_segment 0
		.amdhsa_system_sgpr_workgroup_id_x 1
		.amdhsa_system_sgpr_workgroup_id_y 1
		.amdhsa_system_sgpr_workgroup_id_z 1
		.amdhsa_system_sgpr_workgroup_info 0
		.amdhsa_system_vgpr_workitem_id 1
		.amdhsa_next_free_vgpr 10
		.amdhsa_next_free_sgpr 16
		.amdhsa_reserve_vcc 1
		.amdhsa_float_round_mode_32 0
		.amdhsa_float_round_mode_16_64 0
		.amdhsa_float_denorm_mode_32 3
		.amdhsa_float_denorm_mode_16_64 3
		.amdhsa_dx10_clamp 1
		.amdhsa_ieee_mode 1
		.amdhsa_fp16_overflow 0
		.amdhsa_workgroup_processor_mode 1
		.amdhsa_memory_ordered 1
		.amdhsa_forward_progress 0
		.amdhsa_shared_vgpr_count 0
		.amdhsa_exception_fp_ieee_invalid_op 0
		.amdhsa_exception_fp_denorm_src 0
		.amdhsa_exception_fp_ieee_div_zero 0
		.amdhsa_exception_fp_ieee_overflow 0
		.amdhsa_exception_fp_ieee_underflow 0
		.amdhsa_exception_fp_ieee_inexact 0
		.amdhsa_exception_int_div_zero 0
	.end_amdhsa_kernel
	.section	.text._ZL44rocblas_set_matrix_zero_if_alpha_zero_kernelILi16ELi16E19rocblas_complex_numIdEPS1_EviiT1_lT2_lli,"axG",@progbits,_ZL44rocblas_set_matrix_zero_if_alpha_zero_kernelILi16ELi16E19rocblas_complex_numIdEPS1_EviiT1_lT2_lli,comdat
.Lfunc_end207:
	.size	_ZL44rocblas_set_matrix_zero_if_alpha_zero_kernelILi16ELi16E19rocblas_complex_numIdEPS1_EviiT1_lT2_lli, .Lfunc_end207-_ZL44rocblas_set_matrix_zero_if_alpha_zero_kernelILi16ELi16E19rocblas_complex_numIdEPS1_EviiT1_lT2_lli
                                        ; -- End function
	.section	.AMDGPU.csdata,"",@progbits
; Kernel info:
; codeLenInByte = 416
; NumSgprs: 18
; NumVgprs: 10
; ScratchSize: 0
; MemoryBound: 0
; FloatMode: 240
; IeeeMode: 1
; LDSByteSize: 0 bytes/workgroup (compile time only)
; SGPRBlocks: 2
; VGPRBlocks: 1
; NumSGPRsForWavesPerEU: 18
; NumVGPRsForWavesPerEU: 10
; Occupancy: 16
; WaveLimiterHint : 0
; COMPUTE_PGM_RSRC2:SCRATCH_EN: 0
; COMPUTE_PGM_RSRC2:USER_SGPR: 13
; COMPUTE_PGM_RSRC2:TRAP_HANDLER: 0
; COMPUTE_PGM_RSRC2:TGID_X_EN: 1
; COMPUTE_PGM_RSRC2:TGID_Y_EN: 1
; COMPUTE_PGM_RSRC2:TGID_Z_EN: 1
; COMPUTE_PGM_RSRC2:TIDIG_COMP_CNT: 1
	.text
	.p2alignl 7, 3214868480
	.fill 96, 4, 3214868480
	.type	__hip_cuid_d96827cfee8c5d5f,@object ; @__hip_cuid_d96827cfee8c5d5f
	.section	.bss,"aw",@nobits
	.globl	__hip_cuid_d96827cfee8c5d5f
__hip_cuid_d96827cfee8c5d5f:
	.byte	0                               ; 0x0
	.size	__hip_cuid_d96827cfee8c5d5f, 1

	.ident	"AMD clang version 19.0.0git (https://github.com/RadeonOpenCompute/llvm-project roc-6.4.0 25133 c7fe45cf4b819c5991fe208aaa96edf142730f1d)"
	.section	".note.GNU-stack","",@progbits
	.addrsig
	.addrsig_sym __hip_cuid_d96827cfee8c5d5f
	.amdgpu_metadata
---
amdhsa.kernels:
  - .args:
      - .offset:         0
        .size:           4
        .value_kind:     by_value
      - .offset:         4
        .size:           4
        .value_kind:     by_value
      - .offset:         8
        .size:           4
        .value_kind:     by_value
      - .address_space:  global
        .offset:         16
        .size:           8
        .value_kind:     global_buffer
      - .offset:         24
        .size:           8
        .value_kind:     by_value
      - .address_space:  global
        .offset:         32
        .size:           8
        .value_kind:     global_buffer
      - .offset:         40
        .size:           8
        .value_kind:     by_value
      - .offset:         48
        .size:           8
        .value_kind:     by_value
      - .offset:         56
        .size:           8
        .value_kind:     by_value
      - .address_space:  global
        .offset:         64
        .size:           8
        .value_kind:     global_buffer
      - .offset:         72
        .size:           8
        .value_kind:     by_value
      - .offset:         80
        .size:           8
        .value_kind:     by_value
      - .offset:         88
        .size:           8
        .value_kind:     by_value
      - .address_space:  global
        .offset:         96
        .size:           8
        .value_kind:     global_buffer
      - .offset:         104
        .size:           8
        .value_kind:     by_value
      - .offset:         112
        .size:           8
        .value_kind:     by_value
      - .offset:         120
        .size:           8
        .value_kind:     by_value
      - .offset:         128
        .size:           4
        .value_kind:     by_value
      - .offset:         136
        .size:           4
        .value_kind:     hidden_block_count_x
      - .offset:         140
        .size:           4
        .value_kind:     hidden_block_count_y
      - .offset:         144
        .size:           4
        .value_kind:     hidden_block_count_z
      - .offset:         148
        .size:           2
        .value_kind:     hidden_group_size_x
      - .offset:         150
        .size:           2
        .value_kind:     hidden_group_size_y
      - .offset:         152
        .size:           2
        .value_kind:     hidden_group_size_z
      - .offset:         154
        .size:           2
        .value_kind:     hidden_remainder_x
      - .offset:         156
        .size:           2
        .value_kind:     hidden_remainder_y
      - .offset:         158
        .size:           2
        .value_kind:     hidden_remainder_z
      - .offset:         176
        .size:           8
        .value_kind:     hidden_global_offset_x
      - .offset:         184
        .size:           8
        .value_kind:     hidden_global_offset_y
      - .offset:         192
        .size:           8
        .value_kind:     hidden_global_offset_z
      - .offset:         200
        .size:           2
        .value_kind:     hidden_grid_dims
    .group_segment_fixed_size: 8192
    .kernarg_segment_align: 8
    .kernarg_segment_size: 392
    .language:       OpenCL C
    .language_version:
      - 2
      - 0
    .max_flat_workgroup_size: 1024
    .name:           _ZL30rocblas_trmm_outofplace_kernelIfLi32ELi2ELb1ELb0ELb0ELb0EPKfS0_fEv17rocblas_diagonal_iiT6_lPT7_lllS5_lllPT8_llli
    .private_segment_fixed_size: 0
    .sgpr_count:     47
    .sgpr_spill_count: 0
    .symbol:         _ZL30rocblas_trmm_outofplace_kernelIfLi32ELi2ELb1ELb0ELb0ELb0EPKfS0_fEv17rocblas_diagonal_iiT6_lPT7_lllS5_lllPT8_llli.kd
    .uniform_work_group_size: 1
    .uses_dynamic_stack: false
    .vgpr_count:     96
    .vgpr_spill_count: 0
    .wavefront_size: 32
    .workgroup_processor_mode: 1
  - .args:
      - .offset:         0
        .size:           4
        .value_kind:     by_value
      - .offset:         4
        .size:           4
        .value_kind:     by_value
      - .offset:         8
        .size:           4
        .value_kind:     by_value
      - .offset:         12
        .size:           4
        .value_kind:     by_value
      - .offset:         16
        .size:           8
        .value_kind:     by_value
      - .address_space:  global
        .offset:         24
        .size:           8
        .value_kind:     global_buffer
      - .offset:         32
        .size:           8
        .value_kind:     by_value
      - .offset:         40
        .size:           8
        .value_kind:     by_value
      - .offset:         48
        .size:           8
        .value_kind:     by_value
      - .address_space:  global
        .offset:         56
        .size:           8
        .value_kind:     global_buffer
      - .offset:         64
        .size:           8
        .value_kind:     by_value
      - .offset:         72
        .size:           8
        .value_kind:     by_value
      - .offset:         80
        .size:           8
        .value_kind:     by_value
      - .address_space:  global
        .offset:         88
        .size:           8
        .value_kind:     global_buffer
      - .offset:         96
        .size:           8
        .value_kind:     by_value
      - .offset:         104
        .size:           8
        .value_kind:     by_value
      - .offset:         112
        .size:           8
        .value_kind:     by_value
      - .offset:         120
        .size:           4
        .value_kind:     by_value
      - .offset:         128
        .size:           4
        .value_kind:     hidden_block_count_x
      - .offset:         132
        .size:           4
        .value_kind:     hidden_block_count_y
      - .offset:         136
        .size:           4
        .value_kind:     hidden_block_count_z
      - .offset:         140
        .size:           2
        .value_kind:     hidden_group_size_x
      - .offset:         142
        .size:           2
        .value_kind:     hidden_group_size_y
      - .offset:         144
        .size:           2
        .value_kind:     hidden_group_size_z
      - .offset:         146
        .size:           2
        .value_kind:     hidden_remainder_x
      - .offset:         148
        .size:           2
        .value_kind:     hidden_remainder_y
      - .offset:         150
        .size:           2
        .value_kind:     hidden_remainder_z
      - .offset:         168
        .size:           8
        .value_kind:     hidden_global_offset_x
      - .offset:         176
        .size:           8
        .value_kind:     hidden_global_offset_y
      - .offset:         184
        .size:           8
        .value_kind:     hidden_global_offset_z
      - .offset:         192
        .size:           2
        .value_kind:     hidden_grid_dims
    .group_segment_fixed_size: 8192
    .kernarg_segment_align: 8
    .kernarg_segment_size: 384
    .language:       OpenCL C
    .language_version:
      - 2
      - 0
    .max_flat_workgroup_size: 1024
    .name:           _ZL30rocblas_trmm_outofplace_kernelIfLi32ELi2ELb1ELb0ELb0ELb0EfKffEv17rocblas_diagonal_iiT6_lPT7_lllS4_lllPT8_llli
    .private_segment_fixed_size: 0
    .sgpr_count:     46
    .sgpr_spill_count: 0
    .symbol:         _ZL30rocblas_trmm_outofplace_kernelIfLi32ELi2ELb1ELb0ELb0ELb0EfKffEv17rocblas_diagonal_iiT6_lPT7_lllS4_lllPT8_llli.kd
    .uniform_work_group_size: 1
    .uses_dynamic_stack: false
    .vgpr_count:     96
    .vgpr_spill_count: 0
    .wavefront_size: 32
    .workgroup_processor_mode: 1
  - .args:
      - .offset:         0
        .size:           4
        .value_kind:     by_value
      - .offset:         4
        .size:           4
        .value_kind:     by_value
      - .offset:         8
        .size:           4
        .value_kind:     by_value
      - .address_space:  global
        .offset:         16
        .size:           8
        .value_kind:     global_buffer
      - .offset:         24
        .size:           8
        .value_kind:     by_value
      - .address_space:  global
        .offset:         32
        .size:           8
        .value_kind:     global_buffer
      - .offset:         40
        .size:           8
        .value_kind:     by_value
      - .offset:         48
        .size:           8
        .value_kind:     by_value
      - .offset:         56
        .size:           8
        .value_kind:     by_value
      - .address_space:  global
        .offset:         64
        .size:           8
        .value_kind:     global_buffer
      - .offset:         72
        .size:           8
        .value_kind:     by_value
      - .offset:         80
        .size:           8
        .value_kind:     by_value
      - .offset:         88
        .size:           8
        .value_kind:     by_value
      - .address_space:  global
        .offset:         96
        .size:           8
        .value_kind:     global_buffer
      - .offset:         104
        .size:           8
        .value_kind:     by_value
      - .offset:         112
        .size:           8
        .value_kind:     by_value
      - .offset:         120
        .size:           8
        .value_kind:     by_value
      - .offset:         128
        .size:           4
        .value_kind:     by_value
      - .offset:         136
        .size:           4
        .value_kind:     hidden_block_count_x
      - .offset:         140
        .size:           4
        .value_kind:     hidden_block_count_y
      - .offset:         144
        .size:           4
        .value_kind:     hidden_block_count_z
      - .offset:         148
        .size:           2
        .value_kind:     hidden_group_size_x
      - .offset:         150
        .size:           2
        .value_kind:     hidden_group_size_y
      - .offset:         152
        .size:           2
        .value_kind:     hidden_group_size_z
      - .offset:         154
        .size:           2
        .value_kind:     hidden_remainder_x
      - .offset:         156
        .size:           2
        .value_kind:     hidden_remainder_y
      - .offset:         158
        .size:           2
        .value_kind:     hidden_remainder_z
      - .offset:         176
        .size:           8
        .value_kind:     hidden_global_offset_x
      - .offset:         184
        .size:           8
        .value_kind:     hidden_global_offset_y
      - .offset:         192
        .size:           8
        .value_kind:     hidden_global_offset_z
      - .offset:         200
        .size:           2
        .value_kind:     hidden_grid_dims
    .group_segment_fixed_size: 8192
    .kernarg_segment_align: 8
    .kernarg_segment_size: 392
    .language:       OpenCL C
    .language_version:
      - 2
      - 0
    .max_flat_workgroup_size: 1024
    .name:           _ZL30rocblas_trmm_outofplace_kernelIfLi32ELi2ELb1ELb1ELb0ELb0EPKfS0_fEv17rocblas_diagonal_iiT6_lPT7_lllS5_lllPT8_llli
    .private_segment_fixed_size: 0
    .sgpr_count:     47
    .sgpr_spill_count: 0
    .symbol:         _ZL30rocblas_trmm_outofplace_kernelIfLi32ELi2ELb1ELb1ELb0ELb0EPKfS0_fEv17rocblas_diagonal_iiT6_lPT7_lllS5_lllPT8_llli.kd
    .uniform_work_group_size: 1
    .uses_dynamic_stack: false
    .vgpr_count:     95
    .vgpr_spill_count: 0
    .wavefront_size: 32
    .workgroup_processor_mode: 1
  - .args:
      - .offset:         0
        .size:           4
        .value_kind:     by_value
      - .offset:         4
        .size:           4
        .value_kind:     by_value
      - .offset:         8
        .size:           4
        .value_kind:     by_value
      - .offset:         12
        .size:           4
        .value_kind:     by_value
      - .offset:         16
        .size:           8
        .value_kind:     by_value
      - .address_space:  global
        .offset:         24
        .size:           8
        .value_kind:     global_buffer
      - .offset:         32
        .size:           8
        .value_kind:     by_value
      - .offset:         40
        .size:           8
        .value_kind:     by_value
      - .offset:         48
        .size:           8
        .value_kind:     by_value
      - .address_space:  global
        .offset:         56
        .size:           8
        .value_kind:     global_buffer
      - .offset:         64
        .size:           8
        .value_kind:     by_value
      - .offset:         72
        .size:           8
        .value_kind:     by_value
      - .offset:         80
        .size:           8
        .value_kind:     by_value
      - .address_space:  global
        .offset:         88
        .size:           8
        .value_kind:     global_buffer
      - .offset:         96
        .size:           8
        .value_kind:     by_value
      - .offset:         104
        .size:           8
        .value_kind:     by_value
      - .offset:         112
        .size:           8
        .value_kind:     by_value
      - .offset:         120
        .size:           4
        .value_kind:     by_value
      - .offset:         128
        .size:           4
        .value_kind:     hidden_block_count_x
      - .offset:         132
        .size:           4
        .value_kind:     hidden_block_count_y
      - .offset:         136
        .size:           4
        .value_kind:     hidden_block_count_z
      - .offset:         140
        .size:           2
        .value_kind:     hidden_group_size_x
      - .offset:         142
        .size:           2
        .value_kind:     hidden_group_size_y
      - .offset:         144
        .size:           2
        .value_kind:     hidden_group_size_z
      - .offset:         146
        .size:           2
        .value_kind:     hidden_remainder_x
      - .offset:         148
        .size:           2
        .value_kind:     hidden_remainder_y
      - .offset:         150
        .size:           2
        .value_kind:     hidden_remainder_z
      - .offset:         168
        .size:           8
        .value_kind:     hidden_global_offset_x
      - .offset:         176
        .size:           8
        .value_kind:     hidden_global_offset_y
      - .offset:         184
        .size:           8
        .value_kind:     hidden_global_offset_z
      - .offset:         192
        .size:           2
        .value_kind:     hidden_grid_dims
    .group_segment_fixed_size: 8192
    .kernarg_segment_align: 8
    .kernarg_segment_size: 384
    .language:       OpenCL C
    .language_version:
      - 2
      - 0
    .max_flat_workgroup_size: 1024
    .name:           _ZL30rocblas_trmm_outofplace_kernelIfLi32ELi2ELb1ELb1ELb0ELb0EfKffEv17rocblas_diagonal_iiT6_lPT7_lllS4_lllPT8_llli
    .private_segment_fixed_size: 0
    .sgpr_count:     46
    .sgpr_spill_count: 0
    .symbol:         _ZL30rocblas_trmm_outofplace_kernelIfLi32ELi2ELb1ELb1ELb0ELb0EfKffEv17rocblas_diagonal_iiT6_lPT7_lllS4_lllPT8_llli.kd
    .uniform_work_group_size: 1
    .uses_dynamic_stack: false
    .vgpr_count:     95
    .vgpr_spill_count: 0
    .wavefront_size: 32
    .workgroup_processor_mode: 1
  - .args:
      - .offset:         0
        .size:           4
        .value_kind:     by_value
      - .offset:         4
        .size:           4
        .value_kind:     by_value
      - .offset:         8
        .size:           4
        .value_kind:     by_value
      - .address_space:  global
        .offset:         16
        .size:           8
        .value_kind:     global_buffer
      - .offset:         24
        .size:           8
        .value_kind:     by_value
      - .address_space:  global
        .offset:         32
        .size:           8
        .value_kind:     global_buffer
      - .offset:         40
        .size:           8
        .value_kind:     by_value
      - .offset:         48
        .size:           8
        .value_kind:     by_value
      - .offset:         56
        .size:           8
        .value_kind:     by_value
      - .address_space:  global
        .offset:         64
        .size:           8
        .value_kind:     global_buffer
      - .offset:         72
        .size:           8
        .value_kind:     by_value
      - .offset:         80
        .size:           8
        .value_kind:     by_value
      - .offset:         88
        .size:           8
        .value_kind:     by_value
      - .address_space:  global
        .offset:         96
        .size:           8
        .value_kind:     global_buffer
      - .offset:         104
        .size:           8
        .value_kind:     by_value
      - .offset:         112
        .size:           8
        .value_kind:     by_value
      - .offset:         120
        .size:           8
        .value_kind:     by_value
      - .offset:         128
        .size:           4
        .value_kind:     by_value
      - .offset:         136
        .size:           4
        .value_kind:     hidden_block_count_x
      - .offset:         140
        .size:           4
        .value_kind:     hidden_block_count_y
      - .offset:         144
        .size:           4
        .value_kind:     hidden_block_count_z
      - .offset:         148
        .size:           2
        .value_kind:     hidden_group_size_x
      - .offset:         150
        .size:           2
        .value_kind:     hidden_group_size_y
      - .offset:         152
        .size:           2
        .value_kind:     hidden_group_size_z
      - .offset:         154
        .size:           2
        .value_kind:     hidden_remainder_x
      - .offset:         156
        .size:           2
        .value_kind:     hidden_remainder_y
      - .offset:         158
        .size:           2
        .value_kind:     hidden_remainder_z
      - .offset:         176
        .size:           8
        .value_kind:     hidden_global_offset_x
      - .offset:         184
        .size:           8
        .value_kind:     hidden_global_offset_y
      - .offset:         192
        .size:           8
        .value_kind:     hidden_global_offset_z
      - .offset:         200
        .size:           2
        .value_kind:     hidden_grid_dims
    .group_segment_fixed_size: 8192
    .kernarg_segment_align: 8
    .kernarg_segment_size: 392
    .language:       OpenCL C
    .language_version:
      - 2
      - 0
    .max_flat_workgroup_size: 1024
    .name:           _ZL30rocblas_trmm_outofplace_kernelIfLi32ELi2ELb1ELb0ELb1ELb0EPKfS0_fEv17rocblas_diagonal_iiT6_lPT7_lllS5_lllPT8_llli
    .private_segment_fixed_size: 0
    .sgpr_count:     46
    .sgpr_spill_count: 0
    .symbol:         _ZL30rocblas_trmm_outofplace_kernelIfLi32ELi2ELb1ELb0ELb1ELb0EPKfS0_fEv17rocblas_diagonal_iiT6_lPT7_lllS5_lllPT8_llli.kd
    .uniform_work_group_size: 1
    .uses_dynamic_stack: false
    .vgpr_count:     93
    .vgpr_spill_count: 0
    .wavefront_size: 32
    .workgroup_processor_mode: 1
  - .args:
      - .offset:         0
        .size:           4
        .value_kind:     by_value
      - .offset:         4
        .size:           4
        .value_kind:     by_value
      - .offset:         8
        .size:           4
        .value_kind:     by_value
      - .offset:         12
        .size:           4
        .value_kind:     by_value
      - .offset:         16
        .size:           8
        .value_kind:     by_value
      - .address_space:  global
        .offset:         24
        .size:           8
        .value_kind:     global_buffer
      - .offset:         32
        .size:           8
        .value_kind:     by_value
      - .offset:         40
        .size:           8
        .value_kind:     by_value
      - .offset:         48
        .size:           8
        .value_kind:     by_value
      - .address_space:  global
        .offset:         56
        .size:           8
        .value_kind:     global_buffer
      - .offset:         64
        .size:           8
        .value_kind:     by_value
      - .offset:         72
        .size:           8
        .value_kind:     by_value
      - .offset:         80
        .size:           8
        .value_kind:     by_value
      - .address_space:  global
        .offset:         88
        .size:           8
        .value_kind:     global_buffer
      - .offset:         96
        .size:           8
        .value_kind:     by_value
      - .offset:         104
        .size:           8
        .value_kind:     by_value
      - .offset:         112
        .size:           8
        .value_kind:     by_value
      - .offset:         120
        .size:           4
        .value_kind:     by_value
      - .offset:         128
        .size:           4
        .value_kind:     hidden_block_count_x
      - .offset:         132
        .size:           4
        .value_kind:     hidden_block_count_y
      - .offset:         136
        .size:           4
        .value_kind:     hidden_block_count_z
      - .offset:         140
        .size:           2
        .value_kind:     hidden_group_size_x
      - .offset:         142
        .size:           2
        .value_kind:     hidden_group_size_y
      - .offset:         144
        .size:           2
        .value_kind:     hidden_group_size_z
      - .offset:         146
        .size:           2
        .value_kind:     hidden_remainder_x
      - .offset:         148
        .size:           2
        .value_kind:     hidden_remainder_y
      - .offset:         150
        .size:           2
        .value_kind:     hidden_remainder_z
      - .offset:         168
        .size:           8
        .value_kind:     hidden_global_offset_x
      - .offset:         176
        .size:           8
        .value_kind:     hidden_global_offset_y
      - .offset:         184
        .size:           8
        .value_kind:     hidden_global_offset_z
      - .offset:         192
        .size:           2
        .value_kind:     hidden_grid_dims
    .group_segment_fixed_size: 8192
    .kernarg_segment_align: 8
    .kernarg_segment_size: 384
    .language:       OpenCL C
    .language_version:
      - 2
      - 0
    .max_flat_workgroup_size: 1024
    .name:           _ZL30rocblas_trmm_outofplace_kernelIfLi32ELi2ELb1ELb0ELb1ELb0EfKffEv17rocblas_diagonal_iiT6_lPT7_lllS4_lllPT8_llli
    .private_segment_fixed_size: 0
    .sgpr_count:     46
    .sgpr_spill_count: 0
    .symbol:         _ZL30rocblas_trmm_outofplace_kernelIfLi32ELi2ELb1ELb0ELb1ELb0EfKffEv17rocblas_diagonal_iiT6_lPT7_lllS4_lllPT8_llli.kd
    .uniform_work_group_size: 1
    .uses_dynamic_stack: false
    .vgpr_count:     93
    .vgpr_spill_count: 0
    .wavefront_size: 32
    .workgroup_processor_mode: 1
  - .args:
      - .offset:         0
        .size:           4
        .value_kind:     by_value
      - .offset:         4
        .size:           4
        .value_kind:     by_value
      - .offset:         8
        .size:           4
        .value_kind:     by_value
      - .address_space:  global
        .offset:         16
        .size:           8
        .value_kind:     global_buffer
      - .offset:         24
        .size:           8
        .value_kind:     by_value
      - .address_space:  global
        .offset:         32
        .size:           8
        .value_kind:     global_buffer
      - .offset:         40
        .size:           8
        .value_kind:     by_value
      - .offset:         48
        .size:           8
        .value_kind:     by_value
      - .offset:         56
        .size:           8
        .value_kind:     by_value
      - .address_space:  global
        .offset:         64
        .size:           8
        .value_kind:     global_buffer
      - .offset:         72
        .size:           8
        .value_kind:     by_value
      - .offset:         80
        .size:           8
        .value_kind:     by_value
      - .offset:         88
        .size:           8
        .value_kind:     by_value
      - .address_space:  global
        .offset:         96
        .size:           8
        .value_kind:     global_buffer
      - .offset:         104
        .size:           8
        .value_kind:     by_value
      - .offset:         112
        .size:           8
        .value_kind:     by_value
      - .offset:         120
        .size:           8
        .value_kind:     by_value
      - .offset:         128
        .size:           4
        .value_kind:     by_value
      - .offset:         136
        .size:           4
        .value_kind:     hidden_block_count_x
      - .offset:         140
        .size:           4
        .value_kind:     hidden_block_count_y
      - .offset:         144
        .size:           4
        .value_kind:     hidden_block_count_z
      - .offset:         148
        .size:           2
        .value_kind:     hidden_group_size_x
      - .offset:         150
        .size:           2
        .value_kind:     hidden_group_size_y
      - .offset:         152
        .size:           2
        .value_kind:     hidden_group_size_z
      - .offset:         154
        .size:           2
        .value_kind:     hidden_remainder_x
      - .offset:         156
        .size:           2
        .value_kind:     hidden_remainder_y
      - .offset:         158
        .size:           2
        .value_kind:     hidden_remainder_z
      - .offset:         176
        .size:           8
        .value_kind:     hidden_global_offset_x
      - .offset:         184
        .size:           8
        .value_kind:     hidden_global_offset_y
      - .offset:         192
        .size:           8
        .value_kind:     hidden_global_offset_z
      - .offset:         200
        .size:           2
        .value_kind:     hidden_grid_dims
    .group_segment_fixed_size: 8192
    .kernarg_segment_align: 8
    .kernarg_segment_size: 392
    .language:       OpenCL C
    .language_version:
      - 2
      - 0
    .max_flat_workgroup_size: 1024
    .name:           _ZL30rocblas_trmm_outofplace_kernelIfLi32ELi2ELb1ELb1ELb1ELb0EPKfS0_fEv17rocblas_diagonal_iiT6_lPT7_lllS5_lllPT8_llli
    .private_segment_fixed_size: 0
    .sgpr_count:     46
    .sgpr_spill_count: 0
    .symbol:         _ZL30rocblas_trmm_outofplace_kernelIfLi32ELi2ELb1ELb1ELb1ELb0EPKfS0_fEv17rocblas_diagonal_iiT6_lPT7_lllS5_lllPT8_llli.kd
    .uniform_work_group_size: 1
    .uses_dynamic_stack: false
    .vgpr_count:     84
    .vgpr_spill_count: 0
    .wavefront_size: 32
    .workgroup_processor_mode: 1
  - .args:
      - .offset:         0
        .size:           4
        .value_kind:     by_value
      - .offset:         4
        .size:           4
        .value_kind:     by_value
      - .offset:         8
        .size:           4
        .value_kind:     by_value
      - .offset:         12
        .size:           4
        .value_kind:     by_value
      - .offset:         16
        .size:           8
        .value_kind:     by_value
      - .address_space:  global
        .offset:         24
        .size:           8
        .value_kind:     global_buffer
      - .offset:         32
        .size:           8
        .value_kind:     by_value
      - .offset:         40
        .size:           8
        .value_kind:     by_value
      - .offset:         48
        .size:           8
        .value_kind:     by_value
      - .address_space:  global
        .offset:         56
        .size:           8
        .value_kind:     global_buffer
      - .offset:         64
        .size:           8
        .value_kind:     by_value
      - .offset:         72
        .size:           8
        .value_kind:     by_value
      - .offset:         80
        .size:           8
        .value_kind:     by_value
      - .address_space:  global
        .offset:         88
        .size:           8
        .value_kind:     global_buffer
      - .offset:         96
        .size:           8
        .value_kind:     by_value
      - .offset:         104
        .size:           8
        .value_kind:     by_value
      - .offset:         112
        .size:           8
        .value_kind:     by_value
      - .offset:         120
        .size:           4
        .value_kind:     by_value
      - .offset:         128
        .size:           4
        .value_kind:     hidden_block_count_x
      - .offset:         132
        .size:           4
        .value_kind:     hidden_block_count_y
      - .offset:         136
        .size:           4
        .value_kind:     hidden_block_count_z
      - .offset:         140
        .size:           2
        .value_kind:     hidden_group_size_x
      - .offset:         142
        .size:           2
        .value_kind:     hidden_group_size_y
      - .offset:         144
        .size:           2
        .value_kind:     hidden_group_size_z
      - .offset:         146
        .size:           2
        .value_kind:     hidden_remainder_x
      - .offset:         148
        .size:           2
        .value_kind:     hidden_remainder_y
      - .offset:         150
        .size:           2
        .value_kind:     hidden_remainder_z
      - .offset:         168
        .size:           8
        .value_kind:     hidden_global_offset_x
      - .offset:         176
        .size:           8
        .value_kind:     hidden_global_offset_y
      - .offset:         184
        .size:           8
        .value_kind:     hidden_global_offset_z
      - .offset:         192
        .size:           2
        .value_kind:     hidden_grid_dims
    .group_segment_fixed_size: 8192
    .kernarg_segment_align: 8
    .kernarg_segment_size: 384
    .language:       OpenCL C
    .language_version:
      - 2
      - 0
    .max_flat_workgroup_size: 1024
    .name:           _ZL30rocblas_trmm_outofplace_kernelIfLi32ELi2ELb1ELb1ELb1ELb0EfKffEv17rocblas_diagonal_iiT6_lPT7_lllS4_lllPT8_llli
    .private_segment_fixed_size: 0
    .sgpr_count:     46
    .sgpr_spill_count: 0
    .symbol:         _ZL30rocblas_trmm_outofplace_kernelIfLi32ELi2ELb1ELb1ELb1ELb0EfKffEv17rocblas_diagonal_iiT6_lPT7_lllS4_lllPT8_llli.kd
    .uniform_work_group_size: 1
    .uses_dynamic_stack: false
    .vgpr_count:     84
    .vgpr_spill_count: 0
    .wavefront_size: 32
    .workgroup_processor_mode: 1
  - .args:
      - .offset:         0
        .size:           4
        .value_kind:     by_value
      - .offset:         4
        .size:           4
        .value_kind:     by_value
      - .offset:         8
        .size:           4
        .value_kind:     by_value
      - .address_space:  global
        .offset:         16
        .size:           8
        .value_kind:     global_buffer
      - .offset:         24
        .size:           8
        .value_kind:     by_value
      - .address_space:  global
        .offset:         32
        .size:           8
        .value_kind:     global_buffer
      - .offset:         40
        .size:           8
        .value_kind:     by_value
      - .offset:         48
        .size:           8
        .value_kind:     by_value
      - .offset:         56
        .size:           8
        .value_kind:     by_value
      - .address_space:  global
        .offset:         64
        .size:           8
        .value_kind:     global_buffer
      - .offset:         72
        .size:           8
        .value_kind:     by_value
      - .offset:         80
        .size:           8
        .value_kind:     by_value
      - .offset:         88
        .size:           8
        .value_kind:     by_value
      - .address_space:  global
        .offset:         96
        .size:           8
        .value_kind:     global_buffer
      - .offset:         104
        .size:           8
        .value_kind:     by_value
      - .offset:         112
        .size:           8
        .value_kind:     by_value
      - .offset:         120
        .size:           8
        .value_kind:     by_value
      - .offset:         128
        .size:           4
        .value_kind:     by_value
      - .offset:         136
        .size:           4
        .value_kind:     hidden_block_count_x
      - .offset:         140
        .size:           4
        .value_kind:     hidden_block_count_y
      - .offset:         144
        .size:           4
        .value_kind:     hidden_block_count_z
      - .offset:         148
        .size:           2
        .value_kind:     hidden_group_size_x
      - .offset:         150
        .size:           2
        .value_kind:     hidden_group_size_y
      - .offset:         152
        .size:           2
        .value_kind:     hidden_group_size_z
      - .offset:         154
        .size:           2
        .value_kind:     hidden_remainder_x
      - .offset:         156
        .size:           2
        .value_kind:     hidden_remainder_y
      - .offset:         158
        .size:           2
        .value_kind:     hidden_remainder_z
      - .offset:         176
        .size:           8
        .value_kind:     hidden_global_offset_x
      - .offset:         184
        .size:           8
        .value_kind:     hidden_global_offset_y
      - .offset:         192
        .size:           8
        .value_kind:     hidden_global_offset_z
      - .offset:         200
        .size:           2
        .value_kind:     hidden_grid_dims
    .group_segment_fixed_size: 8192
    .kernarg_segment_align: 8
    .kernarg_segment_size: 392
    .language:       OpenCL C
    .language_version:
      - 2
      - 0
    .max_flat_workgroup_size: 1024
    .name:           _ZL30rocblas_trmm_outofplace_kernelIfLi32ELi2ELb1ELb0ELb1ELb1EPKfS0_fEv17rocblas_diagonal_iiT6_lPT7_lllS5_lllPT8_llli
    .private_segment_fixed_size: 0
    .sgpr_count:     46
    .sgpr_spill_count: 0
    .symbol:         _ZL30rocblas_trmm_outofplace_kernelIfLi32ELi2ELb1ELb0ELb1ELb1EPKfS0_fEv17rocblas_diagonal_iiT6_lPT7_lllS5_lllPT8_llli.kd
    .uniform_work_group_size: 1
    .uses_dynamic_stack: false
    .vgpr_count:     93
    .vgpr_spill_count: 0
    .wavefront_size: 32
    .workgroup_processor_mode: 1
  - .args:
      - .offset:         0
        .size:           4
        .value_kind:     by_value
      - .offset:         4
        .size:           4
        .value_kind:     by_value
      - .offset:         8
        .size:           4
        .value_kind:     by_value
      - .offset:         12
        .size:           4
        .value_kind:     by_value
      - .offset:         16
        .size:           8
        .value_kind:     by_value
      - .address_space:  global
        .offset:         24
        .size:           8
        .value_kind:     global_buffer
      - .offset:         32
        .size:           8
        .value_kind:     by_value
      - .offset:         40
        .size:           8
        .value_kind:     by_value
      - .offset:         48
        .size:           8
        .value_kind:     by_value
      - .address_space:  global
        .offset:         56
        .size:           8
        .value_kind:     global_buffer
      - .offset:         64
        .size:           8
        .value_kind:     by_value
      - .offset:         72
        .size:           8
        .value_kind:     by_value
      - .offset:         80
        .size:           8
        .value_kind:     by_value
      - .address_space:  global
        .offset:         88
        .size:           8
        .value_kind:     global_buffer
      - .offset:         96
        .size:           8
        .value_kind:     by_value
      - .offset:         104
        .size:           8
        .value_kind:     by_value
      - .offset:         112
        .size:           8
        .value_kind:     by_value
      - .offset:         120
        .size:           4
        .value_kind:     by_value
      - .offset:         128
        .size:           4
        .value_kind:     hidden_block_count_x
      - .offset:         132
        .size:           4
        .value_kind:     hidden_block_count_y
      - .offset:         136
        .size:           4
        .value_kind:     hidden_block_count_z
      - .offset:         140
        .size:           2
        .value_kind:     hidden_group_size_x
      - .offset:         142
        .size:           2
        .value_kind:     hidden_group_size_y
      - .offset:         144
        .size:           2
        .value_kind:     hidden_group_size_z
      - .offset:         146
        .size:           2
        .value_kind:     hidden_remainder_x
      - .offset:         148
        .size:           2
        .value_kind:     hidden_remainder_y
      - .offset:         150
        .size:           2
        .value_kind:     hidden_remainder_z
      - .offset:         168
        .size:           8
        .value_kind:     hidden_global_offset_x
      - .offset:         176
        .size:           8
        .value_kind:     hidden_global_offset_y
      - .offset:         184
        .size:           8
        .value_kind:     hidden_global_offset_z
      - .offset:         192
        .size:           2
        .value_kind:     hidden_grid_dims
    .group_segment_fixed_size: 8192
    .kernarg_segment_align: 8
    .kernarg_segment_size: 384
    .language:       OpenCL C
    .language_version:
      - 2
      - 0
    .max_flat_workgroup_size: 1024
    .name:           _ZL30rocblas_trmm_outofplace_kernelIfLi32ELi2ELb1ELb0ELb1ELb1EfKffEv17rocblas_diagonal_iiT6_lPT7_lllS4_lllPT8_llli
    .private_segment_fixed_size: 0
    .sgpr_count:     46
    .sgpr_spill_count: 0
    .symbol:         _ZL30rocblas_trmm_outofplace_kernelIfLi32ELi2ELb1ELb0ELb1ELb1EfKffEv17rocblas_diagonal_iiT6_lPT7_lllS4_lllPT8_llli.kd
    .uniform_work_group_size: 1
    .uses_dynamic_stack: false
    .vgpr_count:     93
    .vgpr_spill_count: 0
    .wavefront_size: 32
    .workgroup_processor_mode: 1
  - .args:
      - .offset:         0
        .size:           4
        .value_kind:     by_value
      - .offset:         4
        .size:           4
        .value_kind:     by_value
      - .offset:         8
        .size:           4
        .value_kind:     by_value
      - .address_space:  global
        .offset:         16
        .size:           8
        .value_kind:     global_buffer
      - .offset:         24
        .size:           8
        .value_kind:     by_value
      - .address_space:  global
        .offset:         32
        .size:           8
        .value_kind:     global_buffer
      - .offset:         40
        .size:           8
        .value_kind:     by_value
      - .offset:         48
        .size:           8
        .value_kind:     by_value
      - .offset:         56
        .size:           8
        .value_kind:     by_value
      - .address_space:  global
        .offset:         64
        .size:           8
        .value_kind:     global_buffer
      - .offset:         72
        .size:           8
        .value_kind:     by_value
      - .offset:         80
        .size:           8
        .value_kind:     by_value
      - .offset:         88
        .size:           8
        .value_kind:     by_value
      - .address_space:  global
        .offset:         96
        .size:           8
        .value_kind:     global_buffer
      - .offset:         104
        .size:           8
        .value_kind:     by_value
      - .offset:         112
        .size:           8
        .value_kind:     by_value
      - .offset:         120
        .size:           8
        .value_kind:     by_value
      - .offset:         128
        .size:           4
        .value_kind:     by_value
      - .offset:         136
        .size:           4
        .value_kind:     hidden_block_count_x
      - .offset:         140
        .size:           4
        .value_kind:     hidden_block_count_y
      - .offset:         144
        .size:           4
        .value_kind:     hidden_block_count_z
      - .offset:         148
        .size:           2
        .value_kind:     hidden_group_size_x
      - .offset:         150
        .size:           2
        .value_kind:     hidden_group_size_y
      - .offset:         152
        .size:           2
        .value_kind:     hidden_group_size_z
      - .offset:         154
        .size:           2
        .value_kind:     hidden_remainder_x
      - .offset:         156
        .size:           2
        .value_kind:     hidden_remainder_y
      - .offset:         158
        .size:           2
        .value_kind:     hidden_remainder_z
      - .offset:         176
        .size:           8
        .value_kind:     hidden_global_offset_x
      - .offset:         184
        .size:           8
        .value_kind:     hidden_global_offset_y
      - .offset:         192
        .size:           8
        .value_kind:     hidden_global_offset_z
      - .offset:         200
        .size:           2
        .value_kind:     hidden_grid_dims
    .group_segment_fixed_size: 8192
    .kernarg_segment_align: 8
    .kernarg_segment_size: 392
    .language:       OpenCL C
    .language_version:
      - 2
      - 0
    .max_flat_workgroup_size: 1024
    .name:           _ZL30rocblas_trmm_outofplace_kernelIfLi32ELi2ELb1ELb1ELb1ELb1EPKfS0_fEv17rocblas_diagonal_iiT6_lPT7_lllS5_lllPT8_llli
    .private_segment_fixed_size: 0
    .sgpr_count:     46
    .sgpr_spill_count: 0
    .symbol:         _ZL30rocblas_trmm_outofplace_kernelIfLi32ELi2ELb1ELb1ELb1ELb1EPKfS0_fEv17rocblas_diagonal_iiT6_lPT7_lllS5_lllPT8_llli.kd
    .uniform_work_group_size: 1
    .uses_dynamic_stack: false
    .vgpr_count:     84
    .vgpr_spill_count: 0
    .wavefront_size: 32
    .workgroup_processor_mode: 1
  - .args:
      - .offset:         0
        .size:           4
        .value_kind:     by_value
      - .offset:         4
        .size:           4
        .value_kind:     by_value
      - .offset:         8
        .size:           4
        .value_kind:     by_value
      - .offset:         12
        .size:           4
        .value_kind:     by_value
      - .offset:         16
        .size:           8
        .value_kind:     by_value
      - .address_space:  global
        .offset:         24
        .size:           8
        .value_kind:     global_buffer
      - .offset:         32
        .size:           8
        .value_kind:     by_value
      - .offset:         40
        .size:           8
        .value_kind:     by_value
      - .offset:         48
        .size:           8
        .value_kind:     by_value
      - .address_space:  global
        .offset:         56
        .size:           8
        .value_kind:     global_buffer
      - .offset:         64
        .size:           8
        .value_kind:     by_value
      - .offset:         72
        .size:           8
        .value_kind:     by_value
      - .offset:         80
        .size:           8
        .value_kind:     by_value
      - .address_space:  global
        .offset:         88
        .size:           8
        .value_kind:     global_buffer
      - .offset:         96
        .size:           8
        .value_kind:     by_value
      - .offset:         104
        .size:           8
        .value_kind:     by_value
      - .offset:         112
        .size:           8
        .value_kind:     by_value
      - .offset:         120
        .size:           4
        .value_kind:     by_value
      - .offset:         128
        .size:           4
        .value_kind:     hidden_block_count_x
      - .offset:         132
        .size:           4
        .value_kind:     hidden_block_count_y
      - .offset:         136
        .size:           4
        .value_kind:     hidden_block_count_z
      - .offset:         140
        .size:           2
        .value_kind:     hidden_group_size_x
      - .offset:         142
        .size:           2
        .value_kind:     hidden_group_size_y
      - .offset:         144
        .size:           2
        .value_kind:     hidden_group_size_z
      - .offset:         146
        .size:           2
        .value_kind:     hidden_remainder_x
      - .offset:         148
        .size:           2
        .value_kind:     hidden_remainder_y
      - .offset:         150
        .size:           2
        .value_kind:     hidden_remainder_z
      - .offset:         168
        .size:           8
        .value_kind:     hidden_global_offset_x
      - .offset:         176
        .size:           8
        .value_kind:     hidden_global_offset_y
      - .offset:         184
        .size:           8
        .value_kind:     hidden_global_offset_z
      - .offset:         192
        .size:           2
        .value_kind:     hidden_grid_dims
    .group_segment_fixed_size: 8192
    .kernarg_segment_align: 8
    .kernarg_segment_size: 384
    .language:       OpenCL C
    .language_version:
      - 2
      - 0
    .max_flat_workgroup_size: 1024
    .name:           _ZL30rocblas_trmm_outofplace_kernelIfLi32ELi2ELb1ELb1ELb1ELb1EfKffEv17rocblas_diagonal_iiT6_lPT7_lllS4_lllPT8_llli
    .private_segment_fixed_size: 0
    .sgpr_count:     46
    .sgpr_spill_count: 0
    .symbol:         _ZL30rocblas_trmm_outofplace_kernelIfLi32ELi2ELb1ELb1ELb1ELb1EfKffEv17rocblas_diagonal_iiT6_lPT7_lllS4_lllPT8_llli.kd
    .uniform_work_group_size: 1
    .uses_dynamic_stack: false
    .vgpr_count:     84
    .vgpr_spill_count: 0
    .wavefront_size: 32
    .workgroup_processor_mode: 1
  - .args:
      - .offset:         0
        .size:           4
        .value_kind:     by_value
      - .offset:         4
        .size:           4
        .value_kind:     by_value
      - .offset:         8
        .size:           4
        .value_kind:     by_value
      - .address_space:  global
        .offset:         16
        .size:           8
        .value_kind:     global_buffer
      - .offset:         24
        .size:           8
        .value_kind:     by_value
      - .address_space:  global
        .offset:         32
        .size:           8
        .value_kind:     global_buffer
      - .offset:         40
        .size:           8
        .value_kind:     by_value
      - .offset:         48
        .size:           8
        .value_kind:     by_value
      - .offset:         56
        .size:           8
        .value_kind:     by_value
      - .address_space:  global
        .offset:         64
        .size:           8
        .value_kind:     global_buffer
      - .offset:         72
        .size:           8
        .value_kind:     by_value
      - .offset:         80
        .size:           8
        .value_kind:     by_value
      - .offset:         88
        .size:           8
        .value_kind:     by_value
      - .address_space:  global
        .offset:         96
        .size:           8
        .value_kind:     global_buffer
      - .offset:         104
        .size:           8
        .value_kind:     by_value
      - .offset:         112
        .size:           8
        .value_kind:     by_value
      - .offset:         120
        .size:           8
        .value_kind:     by_value
      - .offset:         128
        .size:           4
        .value_kind:     by_value
      - .offset:         136
        .size:           4
        .value_kind:     hidden_block_count_x
      - .offset:         140
        .size:           4
        .value_kind:     hidden_block_count_y
      - .offset:         144
        .size:           4
        .value_kind:     hidden_block_count_z
      - .offset:         148
        .size:           2
        .value_kind:     hidden_group_size_x
      - .offset:         150
        .size:           2
        .value_kind:     hidden_group_size_y
      - .offset:         152
        .size:           2
        .value_kind:     hidden_group_size_z
      - .offset:         154
        .size:           2
        .value_kind:     hidden_remainder_x
      - .offset:         156
        .size:           2
        .value_kind:     hidden_remainder_y
      - .offset:         158
        .size:           2
        .value_kind:     hidden_remainder_z
      - .offset:         176
        .size:           8
        .value_kind:     hidden_global_offset_x
      - .offset:         184
        .size:           8
        .value_kind:     hidden_global_offset_y
      - .offset:         192
        .size:           8
        .value_kind:     hidden_global_offset_z
      - .offset:         200
        .size:           2
        .value_kind:     hidden_grid_dims
    .group_segment_fixed_size: 8192
    .kernarg_segment_align: 8
    .kernarg_segment_size: 392
    .language:       OpenCL C
    .language_version:
      - 2
      - 0
    .max_flat_workgroup_size: 1024
    .name:           _ZL30rocblas_trmm_outofplace_kernelIfLi32ELi2ELb0ELb0ELb0ELb0EPKfS0_fEv17rocblas_diagonal_iiT6_lPT7_lllS5_lllPT8_llli
    .private_segment_fixed_size: 0
    .sgpr_count:     46
    .sgpr_spill_count: 0
    .symbol:         _ZL30rocblas_trmm_outofplace_kernelIfLi32ELi2ELb0ELb0ELb0ELb0EPKfS0_fEv17rocblas_diagonal_iiT6_lPT7_lllS5_lllPT8_llli.kd
    .uniform_work_group_size: 1
    .uses_dynamic_stack: false
    .vgpr_count:     96
    .vgpr_spill_count: 0
    .wavefront_size: 32
    .workgroup_processor_mode: 1
  - .args:
      - .offset:         0
        .size:           4
        .value_kind:     by_value
      - .offset:         4
        .size:           4
        .value_kind:     by_value
      - .offset:         8
        .size:           4
        .value_kind:     by_value
      - .offset:         12
        .size:           4
        .value_kind:     by_value
      - .offset:         16
        .size:           8
        .value_kind:     by_value
      - .address_space:  global
        .offset:         24
        .size:           8
        .value_kind:     global_buffer
      - .offset:         32
        .size:           8
        .value_kind:     by_value
      - .offset:         40
        .size:           8
        .value_kind:     by_value
      - .offset:         48
        .size:           8
        .value_kind:     by_value
      - .address_space:  global
        .offset:         56
        .size:           8
        .value_kind:     global_buffer
      - .offset:         64
        .size:           8
        .value_kind:     by_value
      - .offset:         72
        .size:           8
        .value_kind:     by_value
      - .offset:         80
        .size:           8
        .value_kind:     by_value
      - .address_space:  global
        .offset:         88
        .size:           8
        .value_kind:     global_buffer
      - .offset:         96
        .size:           8
        .value_kind:     by_value
      - .offset:         104
        .size:           8
        .value_kind:     by_value
      - .offset:         112
        .size:           8
        .value_kind:     by_value
      - .offset:         120
        .size:           4
        .value_kind:     by_value
      - .offset:         128
        .size:           4
        .value_kind:     hidden_block_count_x
      - .offset:         132
        .size:           4
        .value_kind:     hidden_block_count_y
      - .offset:         136
        .size:           4
        .value_kind:     hidden_block_count_z
      - .offset:         140
        .size:           2
        .value_kind:     hidden_group_size_x
      - .offset:         142
        .size:           2
        .value_kind:     hidden_group_size_y
      - .offset:         144
        .size:           2
        .value_kind:     hidden_group_size_z
      - .offset:         146
        .size:           2
        .value_kind:     hidden_remainder_x
      - .offset:         148
        .size:           2
        .value_kind:     hidden_remainder_y
      - .offset:         150
        .size:           2
        .value_kind:     hidden_remainder_z
      - .offset:         168
        .size:           8
        .value_kind:     hidden_global_offset_x
      - .offset:         176
        .size:           8
        .value_kind:     hidden_global_offset_y
      - .offset:         184
        .size:           8
        .value_kind:     hidden_global_offset_z
      - .offset:         192
        .size:           2
        .value_kind:     hidden_grid_dims
    .group_segment_fixed_size: 8192
    .kernarg_segment_align: 8
    .kernarg_segment_size: 384
    .language:       OpenCL C
    .language_version:
      - 2
      - 0
    .max_flat_workgroup_size: 1024
    .name:           _ZL30rocblas_trmm_outofplace_kernelIfLi32ELi2ELb0ELb0ELb0ELb0EfKffEv17rocblas_diagonal_iiT6_lPT7_lllS4_lllPT8_llli
    .private_segment_fixed_size: 0
    .sgpr_count:     46
    .sgpr_spill_count: 0
    .symbol:         _ZL30rocblas_trmm_outofplace_kernelIfLi32ELi2ELb0ELb0ELb0ELb0EfKffEv17rocblas_diagonal_iiT6_lPT7_lllS4_lllPT8_llli.kd
    .uniform_work_group_size: 1
    .uses_dynamic_stack: false
    .vgpr_count:     96
    .vgpr_spill_count: 0
    .wavefront_size: 32
    .workgroup_processor_mode: 1
  - .args:
      - .offset:         0
        .size:           4
        .value_kind:     by_value
      - .offset:         4
        .size:           4
        .value_kind:     by_value
      - .offset:         8
        .size:           4
        .value_kind:     by_value
      - .address_space:  global
        .offset:         16
        .size:           8
        .value_kind:     global_buffer
      - .offset:         24
        .size:           8
        .value_kind:     by_value
      - .address_space:  global
        .offset:         32
        .size:           8
        .value_kind:     global_buffer
      - .offset:         40
        .size:           8
        .value_kind:     by_value
      - .offset:         48
        .size:           8
        .value_kind:     by_value
      - .offset:         56
        .size:           8
        .value_kind:     by_value
      - .address_space:  global
        .offset:         64
        .size:           8
        .value_kind:     global_buffer
      - .offset:         72
        .size:           8
        .value_kind:     by_value
      - .offset:         80
        .size:           8
        .value_kind:     by_value
      - .offset:         88
        .size:           8
        .value_kind:     by_value
      - .address_space:  global
        .offset:         96
        .size:           8
        .value_kind:     global_buffer
      - .offset:         104
        .size:           8
        .value_kind:     by_value
      - .offset:         112
        .size:           8
        .value_kind:     by_value
      - .offset:         120
        .size:           8
        .value_kind:     by_value
      - .offset:         128
        .size:           4
        .value_kind:     by_value
      - .offset:         136
        .size:           4
        .value_kind:     hidden_block_count_x
      - .offset:         140
        .size:           4
        .value_kind:     hidden_block_count_y
      - .offset:         144
        .size:           4
        .value_kind:     hidden_block_count_z
      - .offset:         148
        .size:           2
        .value_kind:     hidden_group_size_x
      - .offset:         150
        .size:           2
        .value_kind:     hidden_group_size_y
      - .offset:         152
        .size:           2
        .value_kind:     hidden_group_size_z
      - .offset:         154
        .size:           2
        .value_kind:     hidden_remainder_x
      - .offset:         156
        .size:           2
        .value_kind:     hidden_remainder_y
      - .offset:         158
        .size:           2
        .value_kind:     hidden_remainder_z
      - .offset:         176
        .size:           8
        .value_kind:     hidden_global_offset_x
      - .offset:         184
        .size:           8
        .value_kind:     hidden_global_offset_y
      - .offset:         192
        .size:           8
        .value_kind:     hidden_global_offset_z
      - .offset:         200
        .size:           2
        .value_kind:     hidden_grid_dims
    .group_segment_fixed_size: 8192
    .kernarg_segment_align: 8
    .kernarg_segment_size: 392
    .language:       OpenCL C
    .language_version:
      - 2
      - 0
    .max_flat_workgroup_size: 1024
    .name:           _ZL30rocblas_trmm_outofplace_kernelIfLi32ELi2ELb0ELb1ELb0ELb0EPKfS0_fEv17rocblas_diagonal_iiT6_lPT7_lllS5_lllPT8_llli
    .private_segment_fixed_size: 0
    .sgpr_count:     44
    .sgpr_spill_count: 0
    .symbol:         _ZL30rocblas_trmm_outofplace_kernelIfLi32ELi2ELb0ELb1ELb0ELb0EPKfS0_fEv17rocblas_diagonal_iiT6_lPT7_lllS5_lllPT8_llli.kd
    .uniform_work_group_size: 1
    .uses_dynamic_stack: false
    .vgpr_count:     95
    .vgpr_spill_count: 0
    .wavefront_size: 32
    .workgroup_processor_mode: 1
  - .args:
      - .offset:         0
        .size:           4
        .value_kind:     by_value
      - .offset:         4
        .size:           4
        .value_kind:     by_value
      - .offset:         8
        .size:           4
        .value_kind:     by_value
      - .offset:         12
        .size:           4
        .value_kind:     by_value
      - .offset:         16
        .size:           8
        .value_kind:     by_value
      - .address_space:  global
        .offset:         24
        .size:           8
        .value_kind:     global_buffer
      - .offset:         32
        .size:           8
        .value_kind:     by_value
      - .offset:         40
        .size:           8
        .value_kind:     by_value
      - .offset:         48
        .size:           8
        .value_kind:     by_value
      - .address_space:  global
        .offset:         56
        .size:           8
        .value_kind:     global_buffer
      - .offset:         64
        .size:           8
        .value_kind:     by_value
      - .offset:         72
        .size:           8
        .value_kind:     by_value
      - .offset:         80
        .size:           8
        .value_kind:     by_value
      - .address_space:  global
        .offset:         88
        .size:           8
        .value_kind:     global_buffer
      - .offset:         96
        .size:           8
        .value_kind:     by_value
      - .offset:         104
        .size:           8
        .value_kind:     by_value
      - .offset:         112
        .size:           8
        .value_kind:     by_value
      - .offset:         120
        .size:           4
        .value_kind:     by_value
      - .offset:         128
        .size:           4
        .value_kind:     hidden_block_count_x
      - .offset:         132
        .size:           4
        .value_kind:     hidden_block_count_y
      - .offset:         136
        .size:           4
        .value_kind:     hidden_block_count_z
      - .offset:         140
        .size:           2
        .value_kind:     hidden_group_size_x
      - .offset:         142
        .size:           2
        .value_kind:     hidden_group_size_y
      - .offset:         144
        .size:           2
        .value_kind:     hidden_group_size_z
      - .offset:         146
        .size:           2
        .value_kind:     hidden_remainder_x
      - .offset:         148
        .size:           2
        .value_kind:     hidden_remainder_y
      - .offset:         150
        .size:           2
        .value_kind:     hidden_remainder_z
      - .offset:         168
        .size:           8
        .value_kind:     hidden_global_offset_x
      - .offset:         176
        .size:           8
        .value_kind:     hidden_global_offset_y
      - .offset:         184
        .size:           8
        .value_kind:     hidden_global_offset_z
      - .offset:         192
        .size:           2
        .value_kind:     hidden_grid_dims
    .group_segment_fixed_size: 8192
    .kernarg_segment_align: 8
    .kernarg_segment_size: 384
    .language:       OpenCL C
    .language_version:
      - 2
      - 0
    .max_flat_workgroup_size: 1024
    .name:           _ZL30rocblas_trmm_outofplace_kernelIfLi32ELi2ELb0ELb1ELb0ELb0EfKffEv17rocblas_diagonal_iiT6_lPT7_lllS4_lllPT8_llli
    .private_segment_fixed_size: 0
    .sgpr_count:     47
    .sgpr_spill_count: 0
    .symbol:         _ZL30rocblas_trmm_outofplace_kernelIfLi32ELi2ELb0ELb1ELb0ELb0EfKffEv17rocblas_diagonal_iiT6_lPT7_lllS4_lllPT8_llli.kd
    .uniform_work_group_size: 1
    .uses_dynamic_stack: false
    .vgpr_count:     95
    .vgpr_spill_count: 0
    .wavefront_size: 32
    .workgroup_processor_mode: 1
  - .args:
      - .offset:         0
        .size:           4
        .value_kind:     by_value
      - .offset:         4
        .size:           4
        .value_kind:     by_value
      - .offset:         8
        .size:           4
        .value_kind:     by_value
      - .address_space:  global
        .offset:         16
        .size:           8
        .value_kind:     global_buffer
      - .offset:         24
        .size:           8
        .value_kind:     by_value
      - .address_space:  global
        .offset:         32
        .size:           8
        .value_kind:     global_buffer
      - .offset:         40
        .size:           8
        .value_kind:     by_value
      - .offset:         48
        .size:           8
        .value_kind:     by_value
      - .offset:         56
        .size:           8
        .value_kind:     by_value
      - .address_space:  global
        .offset:         64
        .size:           8
        .value_kind:     global_buffer
      - .offset:         72
        .size:           8
        .value_kind:     by_value
      - .offset:         80
        .size:           8
        .value_kind:     by_value
      - .offset:         88
        .size:           8
        .value_kind:     by_value
      - .address_space:  global
        .offset:         96
        .size:           8
        .value_kind:     global_buffer
      - .offset:         104
        .size:           8
        .value_kind:     by_value
      - .offset:         112
        .size:           8
        .value_kind:     by_value
      - .offset:         120
        .size:           8
        .value_kind:     by_value
      - .offset:         128
        .size:           4
        .value_kind:     by_value
      - .offset:         136
        .size:           4
        .value_kind:     hidden_block_count_x
      - .offset:         140
        .size:           4
        .value_kind:     hidden_block_count_y
      - .offset:         144
        .size:           4
        .value_kind:     hidden_block_count_z
      - .offset:         148
        .size:           2
        .value_kind:     hidden_group_size_x
      - .offset:         150
        .size:           2
        .value_kind:     hidden_group_size_y
      - .offset:         152
        .size:           2
        .value_kind:     hidden_group_size_z
      - .offset:         154
        .size:           2
        .value_kind:     hidden_remainder_x
      - .offset:         156
        .size:           2
        .value_kind:     hidden_remainder_y
      - .offset:         158
        .size:           2
        .value_kind:     hidden_remainder_z
      - .offset:         176
        .size:           8
        .value_kind:     hidden_global_offset_x
      - .offset:         184
        .size:           8
        .value_kind:     hidden_global_offset_y
      - .offset:         192
        .size:           8
        .value_kind:     hidden_global_offset_z
      - .offset:         200
        .size:           2
        .value_kind:     hidden_grid_dims
    .group_segment_fixed_size: 8192
    .kernarg_segment_align: 8
    .kernarg_segment_size: 392
    .language:       OpenCL C
    .language_version:
      - 2
      - 0
    .max_flat_workgroup_size: 1024
    .name:           _ZL30rocblas_trmm_outofplace_kernelIfLi32ELi2ELb0ELb0ELb1ELb0EPKfS0_fEv17rocblas_diagonal_iiT6_lPT7_lllS5_lllPT8_llli
    .private_segment_fixed_size: 0
    .sgpr_count:     45
    .sgpr_spill_count: 0
    .symbol:         _ZL30rocblas_trmm_outofplace_kernelIfLi32ELi2ELb0ELb0ELb1ELb0EPKfS0_fEv17rocblas_diagonal_iiT6_lPT7_lllS5_lllPT8_llli.kd
    .uniform_work_group_size: 1
    .uses_dynamic_stack: false
    .vgpr_count:     100
    .vgpr_spill_count: 0
    .wavefront_size: 32
    .workgroup_processor_mode: 1
  - .args:
      - .offset:         0
        .size:           4
        .value_kind:     by_value
      - .offset:         4
        .size:           4
        .value_kind:     by_value
      - .offset:         8
        .size:           4
        .value_kind:     by_value
      - .offset:         12
        .size:           4
        .value_kind:     by_value
      - .offset:         16
        .size:           8
        .value_kind:     by_value
      - .address_space:  global
        .offset:         24
        .size:           8
        .value_kind:     global_buffer
      - .offset:         32
        .size:           8
        .value_kind:     by_value
      - .offset:         40
        .size:           8
        .value_kind:     by_value
      - .offset:         48
        .size:           8
        .value_kind:     by_value
      - .address_space:  global
        .offset:         56
        .size:           8
        .value_kind:     global_buffer
      - .offset:         64
        .size:           8
        .value_kind:     by_value
      - .offset:         72
        .size:           8
        .value_kind:     by_value
      - .offset:         80
        .size:           8
        .value_kind:     by_value
      - .address_space:  global
        .offset:         88
        .size:           8
        .value_kind:     global_buffer
      - .offset:         96
        .size:           8
        .value_kind:     by_value
      - .offset:         104
        .size:           8
        .value_kind:     by_value
      - .offset:         112
        .size:           8
        .value_kind:     by_value
      - .offset:         120
        .size:           4
        .value_kind:     by_value
      - .offset:         128
        .size:           4
        .value_kind:     hidden_block_count_x
      - .offset:         132
        .size:           4
        .value_kind:     hidden_block_count_y
      - .offset:         136
        .size:           4
        .value_kind:     hidden_block_count_z
      - .offset:         140
        .size:           2
        .value_kind:     hidden_group_size_x
      - .offset:         142
        .size:           2
        .value_kind:     hidden_group_size_y
      - .offset:         144
        .size:           2
        .value_kind:     hidden_group_size_z
      - .offset:         146
        .size:           2
        .value_kind:     hidden_remainder_x
      - .offset:         148
        .size:           2
        .value_kind:     hidden_remainder_y
      - .offset:         150
        .size:           2
        .value_kind:     hidden_remainder_z
      - .offset:         168
        .size:           8
        .value_kind:     hidden_global_offset_x
      - .offset:         176
        .size:           8
        .value_kind:     hidden_global_offset_y
      - .offset:         184
        .size:           8
        .value_kind:     hidden_global_offset_z
      - .offset:         192
        .size:           2
        .value_kind:     hidden_grid_dims
    .group_segment_fixed_size: 8192
    .kernarg_segment_align: 8
    .kernarg_segment_size: 384
    .language:       OpenCL C
    .language_version:
      - 2
      - 0
    .max_flat_workgroup_size: 1024
    .name:           _ZL30rocblas_trmm_outofplace_kernelIfLi32ELi2ELb0ELb0ELb1ELb0EfKffEv17rocblas_diagonal_iiT6_lPT7_lllS4_lllPT8_llli
    .private_segment_fixed_size: 0
    .sgpr_count:     47
    .sgpr_spill_count: 0
    .symbol:         _ZL30rocblas_trmm_outofplace_kernelIfLi32ELi2ELb0ELb0ELb1ELb0EfKffEv17rocblas_diagonal_iiT6_lPT7_lllS4_lllPT8_llli.kd
    .uniform_work_group_size: 1
    .uses_dynamic_stack: false
    .vgpr_count:     100
    .vgpr_spill_count: 0
    .wavefront_size: 32
    .workgroup_processor_mode: 1
  - .args:
      - .offset:         0
        .size:           4
        .value_kind:     by_value
      - .offset:         4
        .size:           4
        .value_kind:     by_value
      - .offset:         8
        .size:           4
        .value_kind:     by_value
      - .address_space:  global
        .offset:         16
        .size:           8
        .value_kind:     global_buffer
      - .offset:         24
        .size:           8
        .value_kind:     by_value
      - .address_space:  global
        .offset:         32
        .size:           8
        .value_kind:     global_buffer
      - .offset:         40
        .size:           8
        .value_kind:     by_value
      - .offset:         48
        .size:           8
        .value_kind:     by_value
      - .offset:         56
        .size:           8
        .value_kind:     by_value
      - .address_space:  global
        .offset:         64
        .size:           8
        .value_kind:     global_buffer
      - .offset:         72
        .size:           8
        .value_kind:     by_value
      - .offset:         80
        .size:           8
        .value_kind:     by_value
      - .offset:         88
        .size:           8
        .value_kind:     by_value
      - .address_space:  global
        .offset:         96
        .size:           8
        .value_kind:     global_buffer
      - .offset:         104
        .size:           8
        .value_kind:     by_value
      - .offset:         112
        .size:           8
        .value_kind:     by_value
      - .offset:         120
        .size:           8
        .value_kind:     by_value
      - .offset:         128
        .size:           4
        .value_kind:     by_value
      - .offset:         136
        .size:           4
        .value_kind:     hidden_block_count_x
      - .offset:         140
        .size:           4
        .value_kind:     hidden_block_count_y
      - .offset:         144
        .size:           4
        .value_kind:     hidden_block_count_z
      - .offset:         148
        .size:           2
        .value_kind:     hidden_group_size_x
      - .offset:         150
        .size:           2
        .value_kind:     hidden_group_size_y
      - .offset:         152
        .size:           2
        .value_kind:     hidden_group_size_z
      - .offset:         154
        .size:           2
        .value_kind:     hidden_remainder_x
      - .offset:         156
        .size:           2
        .value_kind:     hidden_remainder_y
      - .offset:         158
        .size:           2
        .value_kind:     hidden_remainder_z
      - .offset:         176
        .size:           8
        .value_kind:     hidden_global_offset_x
      - .offset:         184
        .size:           8
        .value_kind:     hidden_global_offset_y
      - .offset:         192
        .size:           8
        .value_kind:     hidden_global_offset_z
      - .offset:         200
        .size:           2
        .value_kind:     hidden_grid_dims
    .group_segment_fixed_size: 8192
    .kernarg_segment_align: 8
    .kernarg_segment_size: 392
    .language:       OpenCL C
    .language_version:
      - 2
      - 0
    .max_flat_workgroup_size: 1024
    .name:           _ZL30rocblas_trmm_outofplace_kernelIfLi32ELi2ELb0ELb1ELb1ELb0EPKfS0_fEv17rocblas_diagonal_iiT6_lPT7_lllS5_lllPT8_llli
    .private_segment_fixed_size: 0
    .sgpr_count:     47
    .sgpr_spill_count: 0
    .symbol:         _ZL30rocblas_trmm_outofplace_kernelIfLi32ELi2ELb0ELb1ELb1ELb0EPKfS0_fEv17rocblas_diagonal_iiT6_lPT7_lllS5_lllPT8_llli.kd
    .uniform_work_group_size: 1
    .uses_dynamic_stack: false
    .vgpr_count:     96
    .vgpr_spill_count: 0
    .wavefront_size: 32
    .workgroup_processor_mode: 1
  - .args:
      - .offset:         0
        .size:           4
        .value_kind:     by_value
      - .offset:         4
        .size:           4
        .value_kind:     by_value
      - .offset:         8
        .size:           4
        .value_kind:     by_value
      - .offset:         12
        .size:           4
        .value_kind:     by_value
      - .offset:         16
        .size:           8
        .value_kind:     by_value
      - .address_space:  global
        .offset:         24
        .size:           8
        .value_kind:     global_buffer
      - .offset:         32
        .size:           8
        .value_kind:     by_value
      - .offset:         40
        .size:           8
        .value_kind:     by_value
      - .offset:         48
        .size:           8
        .value_kind:     by_value
      - .address_space:  global
        .offset:         56
        .size:           8
        .value_kind:     global_buffer
      - .offset:         64
        .size:           8
        .value_kind:     by_value
      - .offset:         72
        .size:           8
        .value_kind:     by_value
      - .offset:         80
        .size:           8
        .value_kind:     by_value
      - .address_space:  global
        .offset:         88
        .size:           8
        .value_kind:     global_buffer
      - .offset:         96
        .size:           8
        .value_kind:     by_value
      - .offset:         104
        .size:           8
        .value_kind:     by_value
      - .offset:         112
        .size:           8
        .value_kind:     by_value
      - .offset:         120
        .size:           4
        .value_kind:     by_value
      - .offset:         128
        .size:           4
        .value_kind:     hidden_block_count_x
      - .offset:         132
        .size:           4
        .value_kind:     hidden_block_count_y
      - .offset:         136
        .size:           4
        .value_kind:     hidden_block_count_z
      - .offset:         140
        .size:           2
        .value_kind:     hidden_group_size_x
      - .offset:         142
        .size:           2
        .value_kind:     hidden_group_size_y
      - .offset:         144
        .size:           2
        .value_kind:     hidden_group_size_z
      - .offset:         146
        .size:           2
        .value_kind:     hidden_remainder_x
      - .offset:         148
        .size:           2
        .value_kind:     hidden_remainder_y
      - .offset:         150
        .size:           2
        .value_kind:     hidden_remainder_z
      - .offset:         168
        .size:           8
        .value_kind:     hidden_global_offset_x
      - .offset:         176
        .size:           8
        .value_kind:     hidden_global_offset_y
      - .offset:         184
        .size:           8
        .value_kind:     hidden_global_offset_z
      - .offset:         192
        .size:           2
        .value_kind:     hidden_grid_dims
    .group_segment_fixed_size: 8192
    .kernarg_segment_align: 8
    .kernarg_segment_size: 384
    .language:       OpenCL C
    .language_version:
      - 2
      - 0
    .max_flat_workgroup_size: 1024
    .name:           _ZL30rocblas_trmm_outofplace_kernelIfLi32ELi2ELb0ELb1ELb1ELb0EfKffEv17rocblas_diagonal_iiT6_lPT7_lllS4_lllPT8_llli
    .private_segment_fixed_size: 0
    .sgpr_count:     48
    .sgpr_spill_count: 0
    .symbol:         _ZL30rocblas_trmm_outofplace_kernelIfLi32ELi2ELb0ELb1ELb1ELb0EfKffEv17rocblas_diagonal_iiT6_lPT7_lllS4_lllPT8_llli.kd
    .uniform_work_group_size: 1
    .uses_dynamic_stack: false
    .vgpr_count:     96
    .vgpr_spill_count: 0
    .wavefront_size: 32
    .workgroup_processor_mode: 1
  - .args:
      - .offset:         0
        .size:           4
        .value_kind:     by_value
      - .offset:         4
        .size:           4
        .value_kind:     by_value
      - .offset:         8
        .size:           4
        .value_kind:     by_value
      - .address_space:  global
        .offset:         16
        .size:           8
        .value_kind:     global_buffer
      - .offset:         24
        .size:           8
        .value_kind:     by_value
      - .address_space:  global
        .offset:         32
        .size:           8
        .value_kind:     global_buffer
      - .offset:         40
        .size:           8
        .value_kind:     by_value
      - .offset:         48
        .size:           8
        .value_kind:     by_value
      - .offset:         56
        .size:           8
        .value_kind:     by_value
      - .address_space:  global
        .offset:         64
        .size:           8
        .value_kind:     global_buffer
      - .offset:         72
        .size:           8
        .value_kind:     by_value
      - .offset:         80
        .size:           8
        .value_kind:     by_value
      - .offset:         88
        .size:           8
        .value_kind:     by_value
      - .address_space:  global
        .offset:         96
        .size:           8
        .value_kind:     global_buffer
      - .offset:         104
        .size:           8
        .value_kind:     by_value
      - .offset:         112
        .size:           8
        .value_kind:     by_value
      - .offset:         120
        .size:           8
        .value_kind:     by_value
      - .offset:         128
        .size:           4
        .value_kind:     by_value
      - .offset:         136
        .size:           4
        .value_kind:     hidden_block_count_x
      - .offset:         140
        .size:           4
        .value_kind:     hidden_block_count_y
      - .offset:         144
        .size:           4
        .value_kind:     hidden_block_count_z
      - .offset:         148
        .size:           2
        .value_kind:     hidden_group_size_x
      - .offset:         150
        .size:           2
        .value_kind:     hidden_group_size_y
      - .offset:         152
        .size:           2
        .value_kind:     hidden_group_size_z
      - .offset:         154
        .size:           2
        .value_kind:     hidden_remainder_x
      - .offset:         156
        .size:           2
        .value_kind:     hidden_remainder_y
      - .offset:         158
        .size:           2
        .value_kind:     hidden_remainder_z
      - .offset:         176
        .size:           8
        .value_kind:     hidden_global_offset_x
      - .offset:         184
        .size:           8
        .value_kind:     hidden_global_offset_y
      - .offset:         192
        .size:           8
        .value_kind:     hidden_global_offset_z
      - .offset:         200
        .size:           2
        .value_kind:     hidden_grid_dims
    .group_segment_fixed_size: 8192
    .kernarg_segment_align: 8
    .kernarg_segment_size: 392
    .language:       OpenCL C
    .language_version:
      - 2
      - 0
    .max_flat_workgroup_size: 1024
    .name:           _ZL30rocblas_trmm_outofplace_kernelIfLi32ELi2ELb0ELb0ELb1ELb1EPKfS0_fEv17rocblas_diagonal_iiT6_lPT7_lllS5_lllPT8_llli
    .private_segment_fixed_size: 0
    .sgpr_count:     45
    .sgpr_spill_count: 0
    .symbol:         _ZL30rocblas_trmm_outofplace_kernelIfLi32ELi2ELb0ELb0ELb1ELb1EPKfS0_fEv17rocblas_diagonal_iiT6_lPT7_lllS5_lllPT8_llli.kd
    .uniform_work_group_size: 1
    .uses_dynamic_stack: false
    .vgpr_count:     100
    .vgpr_spill_count: 0
    .wavefront_size: 32
    .workgroup_processor_mode: 1
  - .args:
      - .offset:         0
        .size:           4
        .value_kind:     by_value
      - .offset:         4
        .size:           4
        .value_kind:     by_value
      - .offset:         8
        .size:           4
        .value_kind:     by_value
      - .offset:         12
        .size:           4
        .value_kind:     by_value
      - .offset:         16
        .size:           8
        .value_kind:     by_value
      - .address_space:  global
        .offset:         24
        .size:           8
        .value_kind:     global_buffer
      - .offset:         32
        .size:           8
        .value_kind:     by_value
      - .offset:         40
        .size:           8
        .value_kind:     by_value
      - .offset:         48
        .size:           8
        .value_kind:     by_value
      - .address_space:  global
        .offset:         56
        .size:           8
        .value_kind:     global_buffer
      - .offset:         64
        .size:           8
        .value_kind:     by_value
      - .offset:         72
        .size:           8
        .value_kind:     by_value
      - .offset:         80
        .size:           8
        .value_kind:     by_value
      - .address_space:  global
        .offset:         88
        .size:           8
        .value_kind:     global_buffer
      - .offset:         96
        .size:           8
        .value_kind:     by_value
      - .offset:         104
        .size:           8
        .value_kind:     by_value
      - .offset:         112
        .size:           8
        .value_kind:     by_value
      - .offset:         120
        .size:           4
        .value_kind:     by_value
      - .offset:         128
        .size:           4
        .value_kind:     hidden_block_count_x
      - .offset:         132
        .size:           4
        .value_kind:     hidden_block_count_y
      - .offset:         136
        .size:           4
        .value_kind:     hidden_block_count_z
      - .offset:         140
        .size:           2
        .value_kind:     hidden_group_size_x
      - .offset:         142
        .size:           2
        .value_kind:     hidden_group_size_y
      - .offset:         144
        .size:           2
        .value_kind:     hidden_group_size_z
      - .offset:         146
        .size:           2
        .value_kind:     hidden_remainder_x
      - .offset:         148
        .size:           2
        .value_kind:     hidden_remainder_y
      - .offset:         150
        .size:           2
        .value_kind:     hidden_remainder_z
      - .offset:         168
        .size:           8
        .value_kind:     hidden_global_offset_x
      - .offset:         176
        .size:           8
        .value_kind:     hidden_global_offset_y
      - .offset:         184
        .size:           8
        .value_kind:     hidden_global_offset_z
      - .offset:         192
        .size:           2
        .value_kind:     hidden_grid_dims
    .group_segment_fixed_size: 8192
    .kernarg_segment_align: 8
    .kernarg_segment_size: 384
    .language:       OpenCL C
    .language_version:
      - 2
      - 0
    .max_flat_workgroup_size: 1024
    .name:           _ZL30rocblas_trmm_outofplace_kernelIfLi32ELi2ELb0ELb0ELb1ELb1EfKffEv17rocblas_diagonal_iiT6_lPT7_lllS4_lllPT8_llli
    .private_segment_fixed_size: 0
    .sgpr_count:     47
    .sgpr_spill_count: 0
    .symbol:         _ZL30rocblas_trmm_outofplace_kernelIfLi32ELi2ELb0ELb0ELb1ELb1EfKffEv17rocblas_diagonal_iiT6_lPT7_lllS4_lllPT8_llli.kd
    .uniform_work_group_size: 1
    .uses_dynamic_stack: false
    .vgpr_count:     100
    .vgpr_spill_count: 0
    .wavefront_size: 32
    .workgroup_processor_mode: 1
  - .args:
      - .offset:         0
        .size:           4
        .value_kind:     by_value
      - .offset:         4
        .size:           4
        .value_kind:     by_value
      - .offset:         8
        .size:           4
        .value_kind:     by_value
      - .address_space:  global
        .offset:         16
        .size:           8
        .value_kind:     global_buffer
      - .offset:         24
        .size:           8
        .value_kind:     by_value
      - .address_space:  global
        .offset:         32
        .size:           8
        .value_kind:     global_buffer
      - .offset:         40
        .size:           8
        .value_kind:     by_value
      - .offset:         48
        .size:           8
        .value_kind:     by_value
      - .offset:         56
        .size:           8
        .value_kind:     by_value
      - .address_space:  global
        .offset:         64
        .size:           8
        .value_kind:     global_buffer
      - .offset:         72
        .size:           8
        .value_kind:     by_value
      - .offset:         80
        .size:           8
        .value_kind:     by_value
      - .offset:         88
        .size:           8
        .value_kind:     by_value
      - .address_space:  global
        .offset:         96
        .size:           8
        .value_kind:     global_buffer
      - .offset:         104
        .size:           8
        .value_kind:     by_value
      - .offset:         112
        .size:           8
        .value_kind:     by_value
      - .offset:         120
        .size:           8
        .value_kind:     by_value
      - .offset:         128
        .size:           4
        .value_kind:     by_value
      - .offset:         136
        .size:           4
        .value_kind:     hidden_block_count_x
      - .offset:         140
        .size:           4
        .value_kind:     hidden_block_count_y
      - .offset:         144
        .size:           4
        .value_kind:     hidden_block_count_z
      - .offset:         148
        .size:           2
        .value_kind:     hidden_group_size_x
      - .offset:         150
        .size:           2
        .value_kind:     hidden_group_size_y
      - .offset:         152
        .size:           2
        .value_kind:     hidden_group_size_z
      - .offset:         154
        .size:           2
        .value_kind:     hidden_remainder_x
      - .offset:         156
        .size:           2
        .value_kind:     hidden_remainder_y
      - .offset:         158
        .size:           2
        .value_kind:     hidden_remainder_z
      - .offset:         176
        .size:           8
        .value_kind:     hidden_global_offset_x
      - .offset:         184
        .size:           8
        .value_kind:     hidden_global_offset_y
      - .offset:         192
        .size:           8
        .value_kind:     hidden_global_offset_z
      - .offset:         200
        .size:           2
        .value_kind:     hidden_grid_dims
    .group_segment_fixed_size: 8192
    .kernarg_segment_align: 8
    .kernarg_segment_size: 392
    .language:       OpenCL C
    .language_version:
      - 2
      - 0
    .max_flat_workgroup_size: 1024
    .name:           _ZL30rocblas_trmm_outofplace_kernelIfLi32ELi2ELb0ELb1ELb1ELb1EPKfS0_fEv17rocblas_diagonal_iiT6_lPT7_lllS5_lllPT8_llli
    .private_segment_fixed_size: 0
    .sgpr_count:     47
    .sgpr_spill_count: 0
    .symbol:         _ZL30rocblas_trmm_outofplace_kernelIfLi32ELi2ELb0ELb1ELb1ELb1EPKfS0_fEv17rocblas_diagonal_iiT6_lPT7_lllS5_lllPT8_llli.kd
    .uniform_work_group_size: 1
    .uses_dynamic_stack: false
    .vgpr_count:     96
    .vgpr_spill_count: 0
    .wavefront_size: 32
    .workgroup_processor_mode: 1
  - .args:
      - .offset:         0
        .size:           4
        .value_kind:     by_value
      - .offset:         4
        .size:           4
        .value_kind:     by_value
      - .offset:         8
        .size:           4
        .value_kind:     by_value
      - .offset:         12
        .size:           4
        .value_kind:     by_value
      - .offset:         16
        .size:           8
        .value_kind:     by_value
      - .address_space:  global
        .offset:         24
        .size:           8
        .value_kind:     global_buffer
      - .offset:         32
        .size:           8
        .value_kind:     by_value
      - .offset:         40
        .size:           8
        .value_kind:     by_value
      - .offset:         48
        .size:           8
        .value_kind:     by_value
      - .address_space:  global
        .offset:         56
        .size:           8
        .value_kind:     global_buffer
      - .offset:         64
        .size:           8
        .value_kind:     by_value
      - .offset:         72
        .size:           8
        .value_kind:     by_value
      - .offset:         80
        .size:           8
        .value_kind:     by_value
      - .address_space:  global
        .offset:         88
        .size:           8
        .value_kind:     global_buffer
      - .offset:         96
        .size:           8
        .value_kind:     by_value
      - .offset:         104
        .size:           8
        .value_kind:     by_value
      - .offset:         112
        .size:           8
        .value_kind:     by_value
      - .offset:         120
        .size:           4
        .value_kind:     by_value
      - .offset:         128
        .size:           4
        .value_kind:     hidden_block_count_x
      - .offset:         132
        .size:           4
        .value_kind:     hidden_block_count_y
      - .offset:         136
        .size:           4
        .value_kind:     hidden_block_count_z
      - .offset:         140
        .size:           2
        .value_kind:     hidden_group_size_x
      - .offset:         142
        .size:           2
        .value_kind:     hidden_group_size_y
      - .offset:         144
        .size:           2
        .value_kind:     hidden_group_size_z
      - .offset:         146
        .size:           2
        .value_kind:     hidden_remainder_x
      - .offset:         148
        .size:           2
        .value_kind:     hidden_remainder_y
      - .offset:         150
        .size:           2
        .value_kind:     hidden_remainder_z
      - .offset:         168
        .size:           8
        .value_kind:     hidden_global_offset_x
      - .offset:         176
        .size:           8
        .value_kind:     hidden_global_offset_y
      - .offset:         184
        .size:           8
        .value_kind:     hidden_global_offset_z
      - .offset:         192
        .size:           2
        .value_kind:     hidden_grid_dims
    .group_segment_fixed_size: 8192
    .kernarg_segment_align: 8
    .kernarg_segment_size: 384
    .language:       OpenCL C
    .language_version:
      - 2
      - 0
    .max_flat_workgroup_size: 1024
    .name:           _ZL30rocblas_trmm_outofplace_kernelIfLi32ELi2ELb0ELb1ELb1ELb1EfKffEv17rocblas_diagonal_iiT6_lPT7_lllS4_lllPT8_llli
    .private_segment_fixed_size: 0
    .sgpr_count:     48
    .sgpr_spill_count: 0
    .symbol:         _ZL30rocblas_trmm_outofplace_kernelIfLi32ELi2ELb0ELb1ELb1ELb1EfKffEv17rocblas_diagonal_iiT6_lPT7_lllS4_lllPT8_llli.kd
    .uniform_work_group_size: 1
    .uses_dynamic_stack: false
    .vgpr_count:     96
    .vgpr_spill_count: 0
    .wavefront_size: 32
    .workgroup_processor_mode: 1
  - .args:
      - .offset:         0
        .size:           4
        .value_kind:     by_value
      - .offset:         4
        .size:           4
        .value_kind:     by_value
      - .offset:         8
        .size:           4
        .value_kind:     by_value
      - .offset:         12
        .size:           4
        .value_kind:     by_value
      - .address_space:  global
        .offset:         16
        .size:           8
        .value_kind:     global_buffer
      - .offset:         24
        .size:           8
        .value_kind:     by_value
      - .address_space:  global
        .offset:         32
        .size:           8
        .value_kind:     global_buffer
      - .offset:         40
        .size:           8
        .value_kind:     by_value
      - .offset:         48
        .size:           8
        .value_kind:     by_value
      - .address_space:  global
        .offset:         56
        .size:           8
        .value_kind:     global_buffer
      - .offset:         64
        .size:           8
        .value_kind:     by_value
      - .offset:         72
        .size:           8
        .value_kind:     by_value
      - .address_space:  global
        .offset:         80
        .size:           8
        .value_kind:     global_buffer
      - .offset:         88
        .size:           8
        .value_kind:     by_value
      - .offset:         96
        .size:           8
        .value_kind:     by_value
      - .offset:         104
        .size:           4
        .value_kind:     by_value
    .group_segment_fixed_size: 8192
    .kernarg_segment_align: 8
    .kernarg_segment_size: 108
    .language:       OpenCL C
    .language_version:
      - 2
      - 0
    .max_flat_workgroup_size: 1024
    .name:           _ZL23rocblas_trmm_lNx_kernelILi32EfPKfS0_fEv13rocblas_fill_17rocblas_diagonal_iiT1_lPT2_llS6_llPT3_lli
    .private_segment_fixed_size: 0
    .sgpr_count:     34
    .sgpr_spill_count: 0
    .symbol:         _ZL23rocblas_trmm_lNx_kernelILi32EfPKfS0_fEv13rocblas_fill_17rocblas_diagonal_iiT1_lPT2_llS6_llPT3_lli.kd
    .uniform_work_group_size: 1
    .uses_dynamic_stack: false
    .vgpr_count:     20
    .vgpr_spill_count: 0
    .wavefront_size: 32
    .workgroup_processor_mode: 1
  - .args:
      - .offset:         0
        .size:           4
        .value_kind:     by_value
      - .offset:         4
        .size:           4
        .value_kind:     by_value
      - .offset:         8
        .size:           4
        .value_kind:     by_value
      - .offset:         12
        .size:           4
        .value_kind:     by_value
      - .offset:         16
        .size:           4
        .value_kind:     by_value
      - .offset:         24
        .size:           8
        .value_kind:     by_value
      - .address_space:  global
        .offset:         32
        .size:           8
        .value_kind:     global_buffer
      - .offset:         40
        .size:           8
        .value_kind:     by_value
      - .offset:         48
        .size:           8
        .value_kind:     by_value
      - .address_space:  global
        .offset:         56
        .size:           8
        .value_kind:     global_buffer
      - .offset:         64
        .size:           8
        .value_kind:     by_value
      - .offset:         72
        .size:           8
        .value_kind:     by_value
      - .address_space:  global
        .offset:         80
        .size:           8
        .value_kind:     global_buffer
      - .offset:         88
        .size:           8
        .value_kind:     by_value
      - .offset:         96
        .size:           8
        .value_kind:     by_value
      - .offset:         104
        .size:           4
        .value_kind:     by_value
    .group_segment_fixed_size: 8192
    .kernarg_segment_align: 8
    .kernarg_segment_size: 108
    .language:       OpenCL C
    .language_version:
      - 2
      - 0
    .max_flat_workgroup_size: 1024
    .name:           _ZL23rocblas_trmm_lNx_kernelILi32EffKffEv13rocblas_fill_17rocblas_diagonal_iiT1_lPT2_llS5_llPT3_lli
    .private_segment_fixed_size: 0
    .sgpr_count:     34
    .sgpr_spill_count: 0
    .symbol:         _ZL23rocblas_trmm_lNx_kernelILi32EffKffEv13rocblas_fill_17rocblas_diagonal_iiT1_lPT2_llS5_llPT3_lli.kd
    .uniform_work_group_size: 1
    .uses_dynamic_stack: false
    .vgpr_count:     20
    .vgpr_spill_count: 0
    .wavefront_size: 32
    .workgroup_processor_mode: 1
  - .args:
      - .offset:         0
        .size:           4
        .value_kind:     by_value
      - .offset:         4
        .size:           4
        .value_kind:     by_value
      - .offset:         8
        .size:           4
        .value_kind:     by_value
      - .offset:         12
        .size:           4
        .value_kind:     by_value
      - .address_space:  global
        .offset:         16
        .size:           8
        .value_kind:     global_buffer
      - .offset:         24
        .size:           8
        .value_kind:     by_value
      - .address_space:  global
        .offset:         32
        .size:           8
        .value_kind:     global_buffer
      - .offset:         40
        .size:           8
        .value_kind:     by_value
      - .offset:         48
        .size:           8
        .value_kind:     by_value
      - .address_space:  global
        .offset:         56
        .size:           8
        .value_kind:     global_buffer
      - .offset:         64
        .size:           8
        .value_kind:     by_value
      - .offset:         72
        .size:           8
        .value_kind:     by_value
      - .address_space:  global
        .offset:         80
        .size:           8
        .value_kind:     global_buffer
      - .offset:         88
        .size:           8
        .value_kind:     by_value
      - .offset:         96
        .size:           8
        .value_kind:     by_value
      - .offset:         104
        .size:           4
        .value_kind:     by_value
    .group_segment_fixed_size: 8192
    .kernarg_segment_align: 8
    .kernarg_segment_size: 108
    .language:       OpenCL C
    .language_version:
      - 2
      - 0
    .max_flat_workgroup_size: 1024
    .name:           _ZL23rocblas_trmm_lTx_kernelILi32ELb0EfPKfS0_fEv13rocblas_fill_17rocblas_diagonal_iiT2_lPT3_llS6_llPT4_lli
    .private_segment_fixed_size: 0
    .sgpr_count:     34
    .sgpr_spill_count: 0
    .symbol:         _ZL23rocblas_trmm_lTx_kernelILi32ELb0EfPKfS0_fEv13rocblas_fill_17rocblas_diagonal_iiT2_lPT3_llS6_llPT4_lli.kd
    .uniform_work_group_size: 1
    .uses_dynamic_stack: false
    .vgpr_count:     20
    .vgpr_spill_count: 0
    .wavefront_size: 32
    .workgroup_processor_mode: 1
  - .args:
      - .offset:         0
        .size:           4
        .value_kind:     by_value
      - .offset:         4
        .size:           4
        .value_kind:     by_value
      - .offset:         8
        .size:           4
        .value_kind:     by_value
      - .offset:         12
        .size:           4
        .value_kind:     by_value
      - .offset:         16
        .size:           4
        .value_kind:     by_value
      - .offset:         24
        .size:           8
        .value_kind:     by_value
      - .address_space:  global
        .offset:         32
        .size:           8
        .value_kind:     global_buffer
      - .offset:         40
        .size:           8
        .value_kind:     by_value
      - .offset:         48
        .size:           8
        .value_kind:     by_value
      - .address_space:  global
        .offset:         56
        .size:           8
        .value_kind:     global_buffer
      - .offset:         64
        .size:           8
        .value_kind:     by_value
      - .offset:         72
        .size:           8
        .value_kind:     by_value
      - .address_space:  global
        .offset:         80
        .size:           8
        .value_kind:     global_buffer
      - .offset:         88
        .size:           8
        .value_kind:     by_value
      - .offset:         96
        .size:           8
        .value_kind:     by_value
      - .offset:         104
        .size:           4
        .value_kind:     by_value
    .group_segment_fixed_size: 8192
    .kernarg_segment_align: 8
    .kernarg_segment_size: 108
    .language:       OpenCL C
    .language_version:
      - 2
      - 0
    .max_flat_workgroup_size: 1024
    .name:           _ZL23rocblas_trmm_lTx_kernelILi32ELb0EffKffEv13rocblas_fill_17rocblas_diagonal_iiT2_lPT3_llS5_llPT4_lli
    .private_segment_fixed_size: 0
    .sgpr_count:     34
    .sgpr_spill_count: 0
    .symbol:         _ZL23rocblas_trmm_lTx_kernelILi32ELb0EffKffEv13rocblas_fill_17rocblas_diagonal_iiT2_lPT3_llS5_llPT4_lli.kd
    .uniform_work_group_size: 1
    .uses_dynamic_stack: false
    .vgpr_count:     20
    .vgpr_spill_count: 0
    .wavefront_size: 32
    .workgroup_processor_mode: 1
  - .args:
      - .offset:         0
        .size:           4
        .value_kind:     by_value
      - .offset:         4
        .size:           4
        .value_kind:     by_value
      - .offset:         8
        .size:           4
        .value_kind:     by_value
      - .offset:         12
        .size:           4
        .value_kind:     by_value
      - .address_space:  global
        .offset:         16
        .size:           8
        .value_kind:     global_buffer
      - .offset:         24
        .size:           8
        .value_kind:     by_value
      - .address_space:  global
        .offset:         32
        .size:           8
        .value_kind:     global_buffer
      - .offset:         40
        .size:           8
        .value_kind:     by_value
      - .offset:         48
        .size:           8
        .value_kind:     by_value
      - .address_space:  global
        .offset:         56
        .size:           8
        .value_kind:     global_buffer
      - .offset:         64
        .size:           8
        .value_kind:     by_value
      - .offset:         72
        .size:           8
        .value_kind:     by_value
      - .address_space:  global
        .offset:         80
        .size:           8
        .value_kind:     global_buffer
      - .offset:         88
        .size:           8
        .value_kind:     by_value
      - .offset:         96
        .size:           8
        .value_kind:     by_value
      - .offset:         104
        .size:           4
        .value_kind:     by_value
    .group_segment_fixed_size: 8192
    .kernarg_segment_align: 8
    .kernarg_segment_size: 108
    .language:       OpenCL C
    .language_version:
      - 2
      - 0
    .max_flat_workgroup_size: 1024
    .name:           _ZL23rocblas_trmm_lTx_kernelILi32ELb1EfPKfS0_fEv13rocblas_fill_17rocblas_diagonal_iiT2_lPT3_llS6_llPT4_lli
    .private_segment_fixed_size: 0
    .sgpr_count:     34
    .sgpr_spill_count: 0
    .symbol:         _ZL23rocblas_trmm_lTx_kernelILi32ELb1EfPKfS0_fEv13rocblas_fill_17rocblas_diagonal_iiT2_lPT3_llS6_llPT4_lli.kd
    .uniform_work_group_size: 1
    .uses_dynamic_stack: false
    .vgpr_count:     20
    .vgpr_spill_count: 0
    .wavefront_size: 32
    .workgroup_processor_mode: 1
  - .args:
      - .offset:         0
        .size:           4
        .value_kind:     by_value
      - .offset:         4
        .size:           4
        .value_kind:     by_value
      - .offset:         8
        .size:           4
        .value_kind:     by_value
      - .offset:         12
        .size:           4
        .value_kind:     by_value
      - .offset:         16
        .size:           4
        .value_kind:     by_value
      - .offset:         24
        .size:           8
        .value_kind:     by_value
      - .address_space:  global
        .offset:         32
        .size:           8
        .value_kind:     global_buffer
      - .offset:         40
        .size:           8
        .value_kind:     by_value
      - .offset:         48
        .size:           8
        .value_kind:     by_value
      - .address_space:  global
        .offset:         56
        .size:           8
        .value_kind:     global_buffer
      - .offset:         64
        .size:           8
        .value_kind:     by_value
      - .offset:         72
        .size:           8
        .value_kind:     by_value
      - .address_space:  global
        .offset:         80
        .size:           8
        .value_kind:     global_buffer
      - .offset:         88
        .size:           8
        .value_kind:     by_value
      - .offset:         96
        .size:           8
        .value_kind:     by_value
      - .offset:         104
        .size:           4
        .value_kind:     by_value
    .group_segment_fixed_size: 8192
    .kernarg_segment_align: 8
    .kernarg_segment_size: 108
    .language:       OpenCL C
    .language_version:
      - 2
      - 0
    .max_flat_workgroup_size: 1024
    .name:           _ZL23rocblas_trmm_lTx_kernelILi32ELb1EffKffEv13rocblas_fill_17rocblas_diagonal_iiT2_lPT3_llS5_llPT4_lli
    .private_segment_fixed_size: 0
    .sgpr_count:     34
    .sgpr_spill_count: 0
    .symbol:         _ZL23rocblas_trmm_lTx_kernelILi32ELb1EffKffEv13rocblas_fill_17rocblas_diagonal_iiT2_lPT3_llS5_llPT4_lli.kd
    .uniform_work_group_size: 1
    .uses_dynamic_stack: false
    .vgpr_count:     20
    .vgpr_spill_count: 0
    .wavefront_size: 32
    .workgroup_processor_mode: 1
  - .args:
      - .offset:         0
        .size:           4
        .value_kind:     by_value
      - .offset:         4
        .size:           4
        .value_kind:     by_value
      - .offset:         8
        .size:           4
        .value_kind:     by_value
      - .offset:         12
        .size:           4
        .value_kind:     by_value
      - .address_space:  global
        .offset:         16
        .size:           8
        .value_kind:     global_buffer
      - .offset:         24
        .size:           8
        .value_kind:     by_value
      - .address_space:  global
        .offset:         32
        .size:           8
        .value_kind:     global_buffer
      - .offset:         40
        .size:           8
        .value_kind:     by_value
      - .offset:         48
        .size:           8
        .value_kind:     by_value
      - .address_space:  global
        .offset:         56
        .size:           8
        .value_kind:     global_buffer
      - .offset:         64
        .size:           8
        .value_kind:     by_value
      - .offset:         72
        .size:           8
        .value_kind:     by_value
      - .address_space:  global
        .offset:         80
        .size:           8
        .value_kind:     global_buffer
      - .offset:         88
        .size:           8
        .value_kind:     by_value
      - .offset:         96
        .size:           8
        .value_kind:     by_value
      - .offset:         104
        .size:           4
        .value_kind:     by_value
    .group_segment_fixed_size: 8192
    .kernarg_segment_align: 8
    .kernarg_segment_size: 108
    .language:       OpenCL C
    .language_version:
      - 2
      - 0
    .max_flat_workgroup_size: 1024
    .name:           _ZL23rocblas_trmm_rNx_kernelILi32EfPKfS0_fEv13rocblas_fill_17rocblas_diagonal_iiT1_lPT2_llS6_llPT3_lli
    .private_segment_fixed_size: 0
    .sgpr_count:     34
    .sgpr_spill_count: 0
    .symbol:         _ZL23rocblas_trmm_rNx_kernelILi32EfPKfS0_fEv13rocblas_fill_17rocblas_diagonal_iiT1_lPT2_llS6_llPT3_lli.kd
    .uniform_work_group_size: 1
    .uses_dynamic_stack: false
    .vgpr_count:     20
    .vgpr_spill_count: 0
    .wavefront_size: 32
    .workgroup_processor_mode: 1
  - .args:
      - .offset:         0
        .size:           4
        .value_kind:     by_value
      - .offset:         4
        .size:           4
        .value_kind:     by_value
      - .offset:         8
        .size:           4
        .value_kind:     by_value
      - .offset:         12
        .size:           4
        .value_kind:     by_value
      - .offset:         16
        .size:           4
        .value_kind:     by_value
      - .offset:         24
        .size:           8
        .value_kind:     by_value
      - .address_space:  global
        .offset:         32
        .size:           8
        .value_kind:     global_buffer
      - .offset:         40
        .size:           8
        .value_kind:     by_value
      - .offset:         48
        .size:           8
        .value_kind:     by_value
      - .address_space:  global
        .offset:         56
        .size:           8
        .value_kind:     global_buffer
      - .offset:         64
        .size:           8
        .value_kind:     by_value
      - .offset:         72
        .size:           8
        .value_kind:     by_value
      - .address_space:  global
        .offset:         80
        .size:           8
        .value_kind:     global_buffer
      - .offset:         88
        .size:           8
        .value_kind:     by_value
      - .offset:         96
        .size:           8
        .value_kind:     by_value
      - .offset:         104
        .size:           4
        .value_kind:     by_value
    .group_segment_fixed_size: 8192
    .kernarg_segment_align: 8
    .kernarg_segment_size: 108
    .language:       OpenCL C
    .language_version:
      - 2
      - 0
    .max_flat_workgroup_size: 1024
    .name:           _ZL23rocblas_trmm_rNx_kernelILi32EffKffEv13rocblas_fill_17rocblas_diagonal_iiT1_lPT2_llS5_llPT3_lli
    .private_segment_fixed_size: 0
    .sgpr_count:     34
    .sgpr_spill_count: 0
    .symbol:         _ZL23rocblas_trmm_rNx_kernelILi32EffKffEv13rocblas_fill_17rocblas_diagonal_iiT1_lPT2_llS5_llPT3_lli.kd
    .uniform_work_group_size: 1
    .uses_dynamic_stack: false
    .vgpr_count:     20
    .vgpr_spill_count: 0
    .wavefront_size: 32
    .workgroup_processor_mode: 1
  - .args:
      - .offset:         0
        .size:           4
        .value_kind:     by_value
      - .offset:         4
        .size:           4
        .value_kind:     by_value
      - .offset:         8
        .size:           4
        .value_kind:     by_value
      - .offset:         12
        .size:           4
        .value_kind:     by_value
      - .address_space:  global
        .offset:         16
        .size:           8
        .value_kind:     global_buffer
      - .offset:         24
        .size:           8
        .value_kind:     by_value
      - .address_space:  global
        .offset:         32
        .size:           8
        .value_kind:     global_buffer
      - .offset:         40
        .size:           8
        .value_kind:     by_value
      - .offset:         48
        .size:           8
        .value_kind:     by_value
      - .address_space:  global
        .offset:         56
        .size:           8
        .value_kind:     global_buffer
      - .offset:         64
        .size:           8
        .value_kind:     by_value
      - .offset:         72
        .size:           8
        .value_kind:     by_value
      - .address_space:  global
        .offset:         80
        .size:           8
        .value_kind:     global_buffer
      - .offset:         88
        .size:           8
        .value_kind:     by_value
      - .offset:         96
        .size:           8
        .value_kind:     by_value
      - .offset:         104
        .size:           4
        .value_kind:     by_value
    .group_segment_fixed_size: 8192
    .kernarg_segment_align: 8
    .kernarg_segment_size: 108
    .language:       OpenCL C
    .language_version:
      - 2
      - 0
    .max_flat_workgroup_size: 1024
    .name:           _ZL23rocblas_trmm_rTx_kernelILi32ELb0EfPKfS0_fEv13rocblas_fill_17rocblas_diagonal_iiT2_lPT3_llS6_llPT4_lli
    .private_segment_fixed_size: 0
    .sgpr_count:     34
    .sgpr_spill_count: 0
    .symbol:         _ZL23rocblas_trmm_rTx_kernelILi32ELb0EfPKfS0_fEv13rocblas_fill_17rocblas_diagonal_iiT2_lPT3_llS6_llPT4_lli.kd
    .uniform_work_group_size: 1
    .uses_dynamic_stack: false
    .vgpr_count:     19
    .vgpr_spill_count: 0
    .wavefront_size: 32
    .workgroup_processor_mode: 1
  - .args:
      - .offset:         0
        .size:           4
        .value_kind:     by_value
      - .offset:         4
        .size:           4
        .value_kind:     by_value
      - .offset:         8
        .size:           4
        .value_kind:     by_value
      - .offset:         12
        .size:           4
        .value_kind:     by_value
      - .offset:         16
        .size:           4
        .value_kind:     by_value
      - .offset:         24
        .size:           8
        .value_kind:     by_value
      - .address_space:  global
        .offset:         32
        .size:           8
        .value_kind:     global_buffer
      - .offset:         40
        .size:           8
        .value_kind:     by_value
      - .offset:         48
        .size:           8
        .value_kind:     by_value
      - .address_space:  global
        .offset:         56
        .size:           8
        .value_kind:     global_buffer
      - .offset:         64
        .size:           8
        .value_kind:     by_value
      - .offset:         72
        .size:           8
        .value_kind:     by_value
      - .address_space:  global
        .offset:         80
        .size:           8
        .value_kind:     global_buffer
      - .offset:         88
        .size:           8
        .value_kind:     by_value
      - .offset:         96
        .size:           8
        .value_kind:     by_value
      - .offset:         104
        .size:           4
        .value_kind:     by_value
    .group_segment_fixed_size: 8192
    .kernarg_segment_align: 8
    .kernarg_segment_size: 108
    .language:       OpenCL C
    .language_version:
      - 2
      - 0
    .max_flat_workgroup_size: 1024
    .name:           _ZL23rocblas_trmm_rTx_kernelILi32ELb0EffKffEv13rocblas_fill_17rocblas_diagonal_iiT2_lPT3_llS5_llPT4_lli
    .private_segment_fixed_size: 0
    .sgpr_count:     34
    .sgpr_spill_count: 0
    .symbol:         _ZL23rocblas_trmm_rTx_kernelILi32ELb0EffKffEv13rocblas_fill_17rocblas_diagonal_iiT2_lPT3_llS5_llPT4_lli.kd
    .uniform_work_group_size: 1
    .uses_dynamic_stack: false
    .vgpr_count:     19
    .vgpr_spill_count: 0
    .wavefront_size: 32
    .workgroup_processor_mode: 1
  - .args:
      - .offset:         0
        .size:           4
        .value_kind:     by_value
      - .offset:         4
        .size:           4
        .value_kind:     by_value
      - .offset:         8
        .size:           4
        .value_kind:     by_value
      - .offset:         12
        .size:           4
        .value_kind:     by_value
      - .address_space:  global
        .offset:         16
        .size:           8
        .value_kind:     global_buffer
      - .offset:         24
        .size:           8
        .value_kind:     by_value
      - .address_space:  global
        .offset:         32
        .size:           8
        .value_kind:     global_buffer
      - .offset:         40
        .size:           8
        .value_kind:     by_value
      - .offset:         48
        .size:           8
        .value_kind:     by_value
      - .address_space:  global
        .offset:         56
        .size:           8
        .value_kind:     global_buffer
      - .offset:         64
        .size:           8
        .value_kind:     by_value
      - .offset:         72
        .size:           8
        .value_kind:     by_value
      - .address_space:  global
        .offset:         80
        .size:           8
        .value_kind:     global_buffer
      - .offset:         88
        .size:           8
        .value_kind:     by_value
      - .offset:         96
        .size:           8
        .value_kind:     by_value
      - .offset:         104
        .size:           4
        .value_kind:     by_value
    .group_segment_fixed_size: 8192
    .kernarg_segment_align: 8
    .kernarg_segment_size: 108
    .language:       OpenCL C
    .language_version:
      - 2
      - 0
    .max_flat_workgroup_size: 1024
    .name:           _ZL23rocblas_trmm_rTx_kernelILi32ELb1EfPKfS0_fEv13rocblas_fill_17rocblas_diagonal_iiT2_lPT3_llS6_llPT4_lli
    .private_segment_fixed_size: 0
    .sgpr_count:     34
    .sgpr_spill_count: 0
    .symbol:         _ZL23rocblas_trmm_rTx_kernelILi32ELb1EfPKfS0_fEv13rocblas_fill_17rocblas_diagonal_iiT2_lPT3_llS6_llPT4_lli.kd
    .uniform_work_group_size: 1
    .uses_dynamic_stack: false
    .vgpr_count:     19
    .vgpr_spill_count: 0
    .wavefront_size: 32
    .workgroup_processor_mode: 1
  - .args:
      - .offset:         0
        .size:           4
        .value_kind:     by_value
      - .offset:         4
        .size:           4
        .value_kind:     by_value
      - .offset:         8
        .size:           4
        .value_kind:     by_value
      - .offset:         12
        .size:           4
        .value_kind:     by_value
      - .offset:         16
        .size:           4
        .value_kind:     by_value
      - .offset:         24
        .size:           8
        .value_kind:     by_value
      - .address_space:  global
        .offset:         32
        .size:           8
        .value_kind:     global_buffer
      - .offset:         40
        .size:           8
        .value_kind:     by_value
      - .offset:         48
        .size:           8
        .value_kind:     by_value
      - .address_space:  global
        .offset:         56
        .size:           8
        .value_kind:     global_buffer
      - .offset:         64
        .size:           8
        .value_kind:     by_value
      - .offset:         72
        .size:           8
        .value_kind:     by_value
      - .address_space:  global
        .offset:         80
        .size:           8
        .value_kind:     global_buffer
      - .offset:         88
        .size:           8
        .value_kind:     by_value
      - .offset:         96
        .size:           8
        .value_kind:     by_value
      - .offset:         104
        .size:           4
        .value_kind:     by_value
    .group_segment_fixed_size: 8192
    .kernarg_segment_align: 8
    .kernarg_segment_size: 108
    .language:       OpenCL C
    .language_version:
      - 2
      - 0
    .max_flat_workgroup_size: 1024
    .name:           _ZL23rocblas_trmm_rTx_kernelILi32ELb1EffKffEv13rocblas_fill_17rocblas_diagonal_iiT2_lPT3_llS5_llPT4_lli
    .private_segment_fixed_size: 0
    .sgpr_count:     34
    .sgpr_spill_count: 0
    .symbol:         _ZL23rocblas_trmm_rTx_kernelILi32ELb1EffKffEv13rocblas_fill_17rocblas_diagonal_iiT2_lPT3_llS5_llPT4_lli.kd
    .uniform_work_group_size: 1
    .uses_dynamic_stack: false
    .vgpr_count:     19
    .vgpr_spill_count: 0
    .wavefront_size: 32
    .workgroup_processor_mode: 1
  - .args:
      - .offset:         0
        .size:           4
        .value_kind:     by_value
      - .offset:         4
        .size:           4
        .value_kind:     by_value
      - .offset:         8
        .size:           4
        .value_kind:     by_value
      - .address_space:  global
        .offset:         16
        .size:           8
        .value_kind:     global_buffer
      - .offset:         24
        .size:           8
        .value_kind:     by_value
      - .address_space:  global
        .offset:         32
        .size:           8
        .value_kind:     global_buffer
      - .offset:         40
        .size:           8
        .value_kind:     by_value
      - .offset:         48
        .size:           8
        .value_kind:     by_value
      - .offset:         56
        .size:           8
        .value_kind:     by_value
      - .address_space:  global
        .offset:         64
        .size:           8
        .value_kind:     global_buffer
      - .offset:         72
        .size:           8
        .value_kind:     by_value
      - .offset:         80
        .size:           8
        .value_kind:     by_value
      - .offset:         88
        .size:           8
        .value_kind:     by_value
      - .address_space:  global
        .offset:         96
        .size:           8
        .value_kind:     global_buffer
      - .offset:         104
        .size:           8
        .value_kind:     by_value
      - .offset:         112
        .size:           8
        .value_kind:     by_value
      - .offset:         120
        .size:           8
        .value_kind:     by_value
      - .offset:         128
        .size:           4
        .value_kind:     by_value
      - .offset:         136
        .size:           4
        .value_kind:     hidden_block_count_x
      - .offset:         140
        .size:           4
        .value_kind:     hidden_block_count_y
      - .offset:         144
        .size:           4
        .value_kind:     hidden_block_count_z
      - .offset:         148
        .size:           2
        .value_kind:     hidden_group_size_x
      - .offset:         150
        .size:           2
        .value_kind:     hidden_group_size_y
      - .offset:         152
        .size:           2
        .value_kind:     hidden_group_size_z
      - .offset:         154
        .size:           2
        .value_kind:     hidden_remainder_x
      - .offset:         156
        .size:           2
        .value_kind:     hidden_remainder_y
      - .offset:         158
        .size:           2
        .value_kind:     hidden_remainder_z
      - .offset:         176
        .size:           8
        .value_kind:     hidden_global_offset_x
      - .offset:         184
        .size:           8
        .value_kind:     hidden_global_offset_y
      - .offset:         192
        .size:           8
        .value_kind:     hidden_global_offset_z
      - .offset:         200
        .size:           2
        .value_kind:     hidden_grid_dims
    .group_segment_fixed_size: 16384
    .kernarg_segment_align: 8
    .kernarg_segment_size: 392
    .language:       OpenCL C
    .language_version:
      - 2
      - 0
    .max_flat_workgroup_size: 1024
    .name:           _ZL30rocblas_trmm_outofplace_kernelIdLi32ELi2ELb1ELb0ELb0ELb0EPKdS0_dEv17rocblas_diagonal_iiT6_lPT7_lllS5_lllPT8_llli
    .private_segment_fixed_size: 0
    .sgpr_count:     46
    .sgpr_spill_count: 0
    .symbol:         _ZL30rocblas_trmm_outofplace_kernelIdLi32ELi2ELb1ELb0ELb0ELb0EPKdS0_dEv17rocblas_diagonal_iiT6_lPT7_lllS5_lllPT8_llli.kd
    .uniform_work_group_size: 1
    .uses_dynamic_stack: false
    .vgpr_count:     64
    .vgpr_spill_count: 0
    .wavefront_size: 32
    .workgroup_processor_mode: 1
  - .args:
      - .offset:         0
        .size:           4
        .value_kind:     by_value
      - .offset:         4
        .size:           4
        .value_kind:     by_value
      - .offset:         8
        .size:           4
        .value_kind:     by_value
      - .offset:         16
        .size:           8
        .value_kind:     by_value
      - .offset:         24
        .size:           8
        .value_kind:     by_value
      - .address_space:  global
        .offset:         32
        .size:           8
        .value_kind:     global_buffer
      - .offset:         40
        .size:           8
        .value_kind:     by_value
      - .offset:         48
        .size:           8
        .value_kind:     by_value
      - .offset:         56
        .size:           8
        .value_kind:     by_value
      - .address_space:  global
        .offset:         64
        .size:           8
        .value_kind:     global_buffer
      - .offset:         72
        .size:           8
        .value_kind:     by_value
      - .offset:         80
        .size:           8
        .value_kind:     by_value
      - .offset:         88
        .size:           8
        .value_kind:     by_value
      - .address_space:  global
        .offset:         96
        .size:           8
        .value_kind:     global_buffer
      - .offset:         104
        .size:           8
        .value_kind:     by_value
      - .offset:         112
        .size:           8
        .value_kind:     by_value
      - .offset:         120
        .size:           8
        .value_kind:     by_value
      - .offset:         128
        .size:           4
        .value_kind:     by_value
      - .offset:         136
        .size:           4
        .value_kind:     hidden_block_count_x
      - .offset:         140
        .size:           4
        .value_kind:     hidden_block_count_y
      - .offset:         144
        .size:           4
        .value_kind:     hidden_block_count_z
      - .offset:         148
        .size:           2
        .value_kind:     hidden_group_size_x
      - .offset:         150
        .size:           2
        .value_kind:     hidden_group_size_y
      - .offset:         152
        .size:           2
        .value_kind:     hidden_group_size_z
      - .offset:         154
        .size:           2
        .value_kind:     hidden_remainder_x
      - .offset:         156
        .size:           2
        .value_kind:     hidden_remainder_y
      - .offset:         158
        .size:           2
        .value_kind:     hidden_remainder_z
      - .offset:         176
        .size:           8
        .value_kind:     hidden_global_offset_x
      - .offset:         184
        .size:           8
        .value_kind:     hidden_global_offset_y
      - .offset:         192
        .size:           8
        .value_kind:     hidden_global_offset_z
      - .offset:         200
        .size:           2
        .value_kind:     hidden_grid_dims
    .group_segment_fixed_size: 16384
    .kernarg_segment_align: 8
    .kernarg_segment_size: 392
    .language:       OpenCL C
    .language_version:
      - 2
      - 0
    .max_flat_workgroup_size: 1024
    .name:           _ZL30rocblas_trmm_outofplace_kernelIdLi32ELi2ELb1ELb0ELb0ELb0EdKddEv17rocblas_diagonal_iiT6_lPT7_lllS4_lllPT8_llli
    .private_segment_fixed_size: 0
    .sgpr_count:     46
    .sgpr_spill_count: 0
    .symbol:         _ZL30rocblas_trmm_outofplace_kernelIdLi32ELi2ELb1ELb0ELb0ELb0EdKddEv17rocblas_diagonal_iiT6_lPT7_lllS4_lllPT8_llli.kd
    .uniform_work_group_size: 1
    .uses_dynamic_stack: false
    .vgpr_count:     64
    .vgpr_spill_count: 0
    .wavefront_size: 32
    .workgroup_processor_mode: 1
  - .args:
      - .offset:         0
        .size:           4
        .value_kind:     by_value
      - .offset:         4
        .size:           4
        .value_kind:     by_value
      - .offset:         8
        .size:           4
        .value_kind:     by_value
      - .address_space:  global
        .offset:         16
        .size:           8
        .value_kind:     global_buffer
      - .offset:         24
        .size:           8
        .value_kind:     by_value
      - .address_space:  global
        .offset:         32
        .size:           8
        .value_kind:     global_buffer
      - .offset:         40
        .size:           8
        .value_kind:     by_value
      - .offset:         48
        .size:           8
        .value_kind:     by_value
      - .offset:         56
        .size:           8
        .value_kind:     by_value
      - .address_space:  global
        .offset:         64
        .size:           8
        .value_kind:     global_buffer
      - .offset:         72
        .size:           8
        .value_kind:     by_value
      - .offset:         80
        .size:           8
        .value_kind:     by_value
      - .offset:         88
        .size:           8
        .value_kind:     by_value
      - .address_space:  global
        .offset:         96
        .size:           8
        .value_kind:     global_buffer
      - .offset:         104
        .size:           8
        .value_kind:     by_value
      - .offset:         112
        .size:           8
        .value_kind:     by_value
      - .offset:         120
        .size:           8
        .value_kind:     by_value
      - .offset:         128
        .size:           4
        .value_kind:     by_value
      - .offset:         136
        .size:           4
        .value_kind:     hidden_block_count_x
      - .offset:         140
        .size:           4
        .value_kind:     hidden_block_count_y
      - .offset:         144
        .size:           4
        .value_kind:     hidden_block_count_z
      - .offset:         148
        .size:           2
        .value_kind:     hidden_group_size_x
      - .offset:         150
        .size:           2
        .value_kind:     hidden_group_size_y
      - .offset:         152
        .size:           2
        .value_kind:     hidden_group_size_z
      - .offset:         154
        .size:           2
        .value_kind:     hidden_remainder_x
      - .offset:         156
        .size:           2
        .value_kind:     hidden_remainder_y
      - .offset:         158
        .size:           2
        .value_kind:     hidden_remainder_z
      - .offset:         176
        .size:           8
        .value_kind:     hidden_global_offset_x
      - .offset:         184
        .size:           8
        .value_kind:     hidden_global_offset_y
      - .offset:         192
        .size:           8
        .value_kind:     hidden_global_offset_z
      - .offset:         200
        .size:           2
        .value_kind:     hidden_grid_dims
    .group_segment_fixed_size: 16384
    .kernarg_segment_align: 8
    .kernarg_segment_size: 392
    .language:       OpenCL C
    .language_version:
      - 2
      - 0
    .max_flat_workgroup_size: 1024
    .name:           _ZL30rocblas_trmm_outofplace_kernelIdLi32ELi2ELb1ELb1ELb0ELb0EPKdS0_dEv17rocblas_diagonal_iiT6_lPT7_lllS5_lllPT8_llli
    .private_segment_fixed_size: 0
    .sgpr_count:     46
    .sgpr_spill_count: 0
    .symbol:         _ZL30rocblas_trmm_outofplace_kernelIdLi32ELi2ELb1ELb1ELb0ELb0EPKdS0_dEv17rocblas_diagonal_iiT6_lPT7_lllS5_lllPT8_llli.kd
    .uniform_work_group_size: 1
    .uses_dynamic_stack: false
    .vgpr_count:     63
    .vgpr_spill_count: 0
    .wavefront_size: 32
    .workgroup_processor_mode: 1
  - .args:
      - .offset:         0
        .size:           4
        .value_kind:     by_value
      - .offset:         4
        .size:           4
        .value_kind:     by_value
      - .offset:         8
        .size:           4
        .value_kind:     by_value
      - .offset:         16
        .size:           8
        .value_kind:     by_value
      - .offset:         24
        .size:           8
        .value_kind:     by_value
      - .address_space:  global
        .offset:         32
        .size:           8
        .value_kind:     global_buffer
      - .offset:         40
        .size:           8
        .value_kind:     by_value
      - .offset:         48
        .size:           8
        .value_kind:     by_value
      - .offset:         56
        .size:           8
        .value_kind:     by_value
      - .address_space:  global
        .offset:         64
        .size:           8
        .value_kind:     global_buffer
      - .offset:         72
        .size:           8
        .value_kind:     by_value
      - .offset:         80
        .size:           8
        .value_kind:     by_value
      - .offset:         88
        .size:           8
        .value_kind:     by_value
      - .address_space:  global
        .offset:         96
        .size:           8
        .value_kind:     global_buffer
      - .offset:         104
        .size:           8
        .value_kind:     by_value
      - .offset:         112
        .size:           8
        .value_kind:     by_value
      - .offset:         120
        .size:           8
        .value_kind:     by_value
      - .offset:         128
        .size:           4
        .value_kind:     by_value
      - .offset:         136
        .size:           4
        .value_kind:     hidden_block_count_x
      - .offset:         140
        .size:           4
        .value_kind:     hidden_block_count_y
      - .offset:         144
        .size:           4
        .value_kind:     hidden_block_count_z
      - .offset:         148
        .size:           2
        .value_kind:     hidden_group_size_x
      - .offset:         150
        .size:           2
        .value_kind:     hidden_group_size_y
      - .offset:         152
        .size:           2
        .value_kind:     hidden_group_size_z
      - .offset:         154
        .size:           2
        .value_kind:     hidden_remainder_x
      - .offset:         156
        .size:           2
        .value_kind:     hidden_remainder_y
      - .offset:         158
        .size:           2
        .value_kind:     hidden_remainder_z
      - .offset:         176
        .size:           8
        .value_kind:     hidden_global_offset_x
      - .offset:         184
        .size:           8
        .value_kind:     hidden_global_offset_y
      - .offset:         192
        .size:           8
        .value_kind:     hidden_global_offset_z
      - .offset:         200
        .size:           2
        .value_kind:     hidden_grid_dims
    .group_segment_fixed_size: 16384
    .kernarg_segment_align: 8
    .kernarg_segment_size: 392
    .language:       OpenCL C
    .language_version:
      - 2
      - 0
    .max_flat_workgroup_size: 1024
    .name:           _ZL30rocblas_trmm_outofplace_kernelIdLi32ELi2ELb1ELb1ELb0ELb0EdKddEv17rocblas_diagonal_iiT6_lPT7_lllS4_lllPT8_llli
    .private_segment_fixed_size: 0
    .sgpr_count:     46
    .sgpr_spill_count: 0
    .symbol:         _ZL30rocblas_trmm_outofplace_kernelIdLi32ELi2ELb1ELb1ELb0ELb0EdKddEv17rocblas_diagonal_iiT6_lPT7_lllS4_lllPT8_llli.kd
    .uniform_work_group_size: 1
    .uses_dynamic_stack: false
    .vgpr_count:     63
    .vgpr_spill_count: 0
    .wavefront_size: 32
    .workgroup_processor_mode: 1
  - .args:
      - .offset:         0
        .size:           4
        .value_kind:     by_value
      - .offset:         4
        .size:           4
        .value_kind:     by_value
      - .offset:         8
        .size:           4
        .value_kind:     by_value
      - .address_space:  global
        .offset:         16
        .size:           8
        .value_kind:     global_buffer
      - .offset:         24
        .size:           8
        .value_kind:     by_value
      - .address_space:  global
        .offset:         32
        .size:           8
        .value_kind:     global_buffer
      - .offset:         40
        .size:           8
        .value_kind:     by_value
      - .offset:         48
        .size:           8
        .value_kind:     by_value
      - .offset:         56
        .size:           8
        .value_kind:     by_value
      - .address_space:  global
        .offset:         64
        .size:           8
        .value_kind:     global_buffer
      - .offset:         72
        .size:           8
        .value_kind:     by_value
      - .offset:         80
        .size:           8
        .value_kind:     by_value
      - .offset:         88
        .size:           8
        .value_kind:     by_value
      - .address_space:  global
        .offset:         96
        .size:           8
        .value_kind:     global_buffer
      - .offset:         104
        .size:           8
        .value_kind:     by_value
      - .offset:         112
        .size:           8
        .value_kind:     by_value
      - .offset:         120
        .size:           8
        .value_kind:     by_value
      - .offset:         128
        .size:           4
        .value_kind:     by_value
      - .offset:         136
        .size:           4
        .value_kind:     hidden_block_count_x
      - .offset:         140
        .size:           4
        .value_kind:     hidden_block_count_y
      - .offset:         144
        .size:           4
        .value_kind:     hidden_block_count_z
      - .offset:         148
        .size:           2
        .value_kind:     hidden_group_size_x
      - .offset:         150
        .size:           2
        .value_kind:     hidden_group_size_y
      - .offset:         152
        .size:           2
        .value_kind:     hidden_group_size_z
      - .offset:         154
        .size:           2
        .value_kind:     hidden_remainder_x
      - .offset:         156
        .size:           2
        .value_kind:     hidden_remainder_y
      - .offset:         158
        .size:           2
        .value_kind:     hidden_remainder_z
      - .offset:         176
        .size:           8
        .value_kind:     hidden_global_offset_x
      - .offset:         184
        .size:           8
        .value_kind:     hidden_global_offset_y
      - .offset:         192
        .size:           8
        .value_kind:     hidden_global_offset_z
      - .offset:         200
        .size:           2
        .value_kind:     hidden_grid_dims
    .group_segment_fixed_size: 16384
    .kernarg_segment_align: 8
    .kernarg_segment_size: 392
    .language:       OpenCL C
    .language_version:
      - 2
      - 0
    .max_flat_workgroup_size: 1024
    .name:           _ZL30rocblas_trmm_outofplace_kernelIdLi32ELi2ELb1ELb0ELb1ELb0EPKdS0_dEv17rocblas_diagonal_iiT6_lPT7_lllS5_lllPT8_llli
    .private_segment_fixed_size: 0
    .sgpr_count:     46
    .sgpr_spill_count: 0
    .symbol:         _ZL30rocblas_trmm_outofplace_kernelIdLi32ELi2ELb1ELb0ELb1ELb0EPKdS0_dEv17rocblas_diagonal_iiT6_lPT7_lllS5_lllPT8_llli.kd
    .uniform_work_group_size: 1
    .uses_dynamic_stack: false
    .vgpr_count:     63
    .vgpr_spill_count: 0
    .wavefront_size: 32
    .workgroup_processor_mode: 1
  - .args:
      - .offset:         0
        .size:           4
        .value_kind:     by_value
      - .offset:         4
        .size:           4
        .value_kind:     by_value
      - .offset:         8
        .size:           4
        .value_kind:     by_value
      - .offset:         16
        .size:           8
        .value_kind:     by_value
      - .offset:         24
        .size:           8
        .value_kind:     by_value
      - .address_space:  global
        .offset:         32
        .size:           8
        .value_kind:     global_buffer
      - .offset:         40
        .size:           8
        .value_kind:     by_value
      - .offset:         48
        .size:           8
        .value_kind:     by_value
      - .offset:         56
        .size:           8
        .value_kind:     by_value
      - .address_space:  global
        .offset:         64
        .size:           8
        .value_kind:     global_buffer
      - .offset:         72
        .size:           8
        .value_kind:     by_value
      - .offset:         80
        .size:           8
        .value_kind:     by_value
      - .offset:         88
        .size:           8
        .value_kind:     by_value
      - .address_space:  global
        .offset:         96
        .size:           8
        .value_kind:     global_buffer
      - .offset:         104
        .size:           8
        .value_kind:     by_value
      - .offset:         112
        .size:           8
        .value_kind:     by_value
      - .offset:         120
        .size:           8
        .value_kind:     by_value
      - .offset:         128
        .size:           4
        .value_kind:     by_value
      - .offset:         136
        .size:           4
        .value_kind:     hidden_block_count_x
      - .offset:         140
        .size:           4
        .value_kind:     hidden_block_count_y
      - .offset:         144
        .size:           4
        .value_kind:     hidden_block_count_z
      - .offset:         148
        .size:           2
        .value_kind:     hidden_group_size_x
      - .offset:         150
        .size:           2
        .value_kind:     hidden_group_size_y
      - .offset:         152
        .size:           2
        .value_kind:     hidden_group_size_z
      - .offset:         154
        .size:           2
        .value_kind:     hidden_remainder_x
      - .offset:         156
        .size:           2
        .value_kind:     hidden_remainder_y
      - .offset:         158
        .size:           2
        .value_kind:     hidden_remainder_z
      - .offset:         176
        .size:           8
        .value_kind:     hidden_global_offset_x
      - .offset:         184
        .size:           8
        .value_kind:     hidden_global_offset_y
      - .offset:         192
        .size:           8
        .value_kind:     hidden_global_offset_z
      - .offset:         200
        .size:           2
        .value_kind:     hidden_grid_dims
    .group_segment_fixed_size: 16384
    .kernarg_segment_align: 8
    .kernarg_segment_size: 392
    .language:       OpenCL C
    .language_version:
      - 2
      - 0
    .max_flat_workgroup_size: 1024
    .name:           _ZL30rocblas_trmm_outofplace_kernelIdLi32ELi2ELb1ELb0ELb1ELb0EdKddEv17rocblas_diagonal_iiT6_lPT7_lllS4_lllPT8_llli
    .private_segment_fixed_size: 0
    .sgpr_count:     46
    .sgpr_spill_count: 0
    .symbol:         _ZL30rocblas_trmm_outofplace_kernelIdLi32ELi2ELb1ELb0ELb1ELb0EdKddEv17rocblas_diagonal_iiT6_lPT7_lllS4_lllPT8_llli.kd
    .uniform_work_group_size: 1
    .uses_dynamic_stack: false
    .vgpr_count:     63
    .vgpr_spill_count: 0
    .wavefront_size: 32
    .workgroup_processor_mode: 1
  - .args:
      - .offset:         0
        .size:           4
        .value_kind:     by_value
      - .offset:         4
        .size:           4
        .value_kind:     by_value
      - .offset:         8
        .size:           4
        .value_kind:     by_value
      - .address_space:  global
        .offset:         16
        .size:           8
        .value_kind:     global_buffer
      - .offset:         24
        .size:           8
        .value_kind:     by_value
      - .address_space:  global
        .offset:         32
        .size:           8
        .value_kind:     global_buffer
      - .offset:         40
        .size:           8
        .value_kind:     by_value
      - .offset:         48
        .size:           8
        .value_kind:     by_value
      - .offset:         56
        .size:           8
        .value_kind:     by_value
      - .address_space:  global
        .offset:         64
        .size:           8
        .value_kind:     global_buffer
      - .offset:         72
        .size:           8
        .value_kind:     by_value
      - .offset:         80
        .size:           8
        .value_kind:     by_value
      - .offset:         88
        .size:           8
        .value_kind:     by_value
      - .address_space:  global
        .offset:         96
        .size:           8
        .value_kind:     global_buffer
      - .offset:         104
        .size:           8
        .value_kind:     by_value
      - .offset:         112
        .size:           8
        .value_kind:     by_value
      - .offset:         120
        .size:           8
        .value_kind:     by_value
      - .offset:         128
        .size:           4
        .value_kind:     by_value
      - .offset:         136
        .size:           4
        .value_kind:     hidden_block_count_x
      - .offset:         140
        .size:           4
        .value_kind:     hidden_block_count_y
      - .offset:         144
        .size:           4
        .value_kind:     hidden_block_count_z
      - .offset:         148
        .size:           2
        .value_kind:     hidden_group_size_x
      - .offset:         150
        .size:           2
        .value_kind:     hidden_group_size_y
      - .offset:         152
        .size:           2
        .value_kind:     hidden_group_size_z
      - .offset:         154
        .size:           2
        .value_kind:     hidden_remainder_x
      - .offset:         156
        .size:           2
        .value_kind:     hidden_remainder_y
      - .offset:         158
        .size:           2
        .value_kind:     hidden_remainder_z
      - .offset:         176
        .size:           8
        .value_kind:     hidden_global_offset_x
      - .offset:         184
        .size:           8
        .value_kind:     hidden_global_offset_y
      - .offset:         192
        .size:           8
        .value_kind:     hidden_global_offset_z
      - .offset:         200
        .size:           2
        .value_kind:     hidden_grid_dims
    .group_segment_fixed_size: 16384
    .kernarg_segment_align: 8
    .kernarg_segment_size: 392
    .language:       OpenCL C
    .language_version:
      - 2
      - 0
    .max_flat_workgroup_size: 1024
    .name:           _ZL30rocblas_trmm_outofplace_kernelIdLi32ELi2ELb1ELb1ELb1ELb0EPKdS0_dEv17rocblas_diagonal_iiT6_lPT7_lllS5_lllPT8_llli
    .private_segment_fixed_size: 0
    .sgpr_count:     46
    .sgpr_spill_count: 0
    .symbol:         _ZL30rocblas_trmm_outofplace_kernelIdLi32ELi2ELb1ELb1ELb1ELb0EPKdS0_dEv17rocblas_diagonal_iiT6_lPT7_lllS5_lllPT8_llli.kd
    .uniform_work_group_size: 1
    .uses_dynamic_stack: false
    .vgpr_count:     60
    .vgpr_spill_count: 0
    .wavefront_size: 32
    .workgroup_processor_mode: 1
  - .args:
      - .offset:         0
        .size:           4
        .value_kind:     by_value
      - .offset:         4
        .size:           4
        .value_kind:     by_value
      - .offset:         8
        .size:           4
        .value_kind:     by_value
      - .offset:         16
        .size:           8
        .value_kind:     by_value
      - .offset:         24
        .size:           8
        .value_kind:     by_value
      - .address_space:  global
        .offset:         32
        .size:           8
        .value_kind:     global_buffer
      - .offset:         40
        .size:           8
        .value_kind:     by_value
      - .offset:         48
        .size:           8
        .value_kind:     by_value
      - .offset:         56
        .size:           8
        .value_kind:     by_value
      - .address_space:  global
        .offset:         64
        .size:           8
        .value_kind:     global_buffer
      - .offset:         72
        .size:           8
        .value_kind:     by_value
      - .offset:         80
        .size:           8
        .value_kind:     by_value
      - .offset:         88
        .size:           8
        .value_kind:     by_value
      - .address_space:  global
        .offset:         96
        .size:           8
        .value_kind:     global_buffer
      - .offset:         104
        .size:           8
        .value_kind:     by_value
      - .offset:         112
        .size:           8
        .value_kind:     by_value
      - .offset:         120
        .size:           8
        .value_kind:     by_value
      - .offset:         128
        .size:           4
        .value_kind:     by_value
      - .offset:         136
        .size:           4
        .value_kind:     hidden_block_count_x
      - .offset:         140
        .size:           4
        .value_kind:     hidden_block_count_y
      - .offset:         144
        .size:           4
        .value_kind:     hidden_block_count_z
      - .offset:         148
        .size:           2
        .value_kind:     hidden_group_size_x
      - .offset:         150
        .size:           2
        .value_kind:     hidden_group_size_y
      - .offset:         152
        .size:           2
        .value_kind:     hidden_group_size_z
      - .offset:         154
        .size:           2
        .value_kind:     hidden_remainder_x
      - .offset:         156
        .size:           2
        .value_kind:     hidden_remainder_y
      - .offset:         158
        .size:           2
        .value_kind:     hidden_remainder_z
      - .offset:         176
        .size:           8
        .value_kind:     hidden_global_offset_x
      - .offset:         184
        .size:           8
        .value_kind:     hidden_global_offset_y
      - .offset:         192
        .size:           8
        .value_kind:     hidden_global_offset_z
      - .offset:         200
        .size:           2
        .value_kind:     hidden_grid_dims
    .group_segment_fixed_size: 16384
    .kernarg_segment_align: 8
    .kernarg_segment_size: 392
    .language:       OpenCL C
    .language_version:
      - 2
      - 0
    .max_flat_workgroup_size: 1024
    .name:           _ZL30rocblas_trmm_outofplace_kernelIdLi32ELi2ELb1ELb1ELb1ELb0EdKddEv17rocblas_diagonal_iiT6_lPT7_lllS4_lllPT8_llli
    .private_segment_fixed_size: 0
    .sgpr_count:     46
    .sgpr_spill_count: 0
    .symbol:         _ZL30rocblas_trmm_outofplace_kernelIdLi32ELi2ELb1ELb1ELb1ELb0EdKddEv17rocblas_diagonal_iiT6_lPT7_lllS4_lllPT8_llli.kd
    .uniform_work_group_size: 1
    .uses_dynamic_stack: false
    .vgpr_count:     60
    .vgpr_spill_count: 0
    .wavefront_size: 32
    .workgroup_processor_mode: 1
  - .args:
      - .offset:         0
        .size:           4
        .value_kind:     by_value
      - .offset:         4
        .size:           4
        .value_kind:     by_value
      - .offset:         8
        .size:           4
        .value_kind:     by_value
      - .address_space:  global
        .offset:         16
        .size:           8
        .value_kind:     global_buffer
      - .offset:         24
        .size:           8
        .value_kind:     by_value
      - .address_space:  global
        .offset:         32
        .size:           8
        .value_kind:     global_buffer
      - .offset:         40
        .size:           8
        .value_kind:     by_value
      - .offset:         48
        .size:           8
        .value_kind:     by_value
      - .offset:         56
        .size:           8
        .value_kind:     by_value
      - .address_space:  global
        .offset:         64
        .size:           8
        .value_kind:     global_buffer
      - .offset:         72
        .size:           8
        .value_kind:     by_value
      - .offset:         80
        .size:           8
        .value_kind:     by_value
      - .offset:         88
        .size:           8
        .value_kind:     by_value
      - .address_space:  global
        .offset:         96
        .size:           8
        .value_kind:     global_buffer
      - .offset:         104
        .size:           8
        .value_kind:     by_value
      - .offset:         112
        .size:           8
        .value_kind:     by_value
      - .offset:         120
        .size:           8
        .value_kind:     by_value
      - .offset:         128
        .size:           4
        .value_kind:     by_value
      - .offset:         136
        .size:           4
        .value_kind:     hidden_block_count_x
      - .offset:         140
        .size:           4
        .value_kind:     hidden_block_count_y
      - .offset:         144
        .size:           4
        .value_kind:     hidden_block_count_z
      - .offset:         148
        .size:           2
        .value_kind:     hidden_group_size_x
      - .offset:         150
        .size:           2
        .value_kind:     hidden_group_size_y
      - .offset:         152
        .size:           2
        .value_kind:     hidden_group_size_z
      - .offset:         154
        .size:           2
        .value_kind:     hidden_remainder_x
      - .offset:         156
        .size:           2
        .value_kind:     hidden_remainder_y
      - .offset:         158
        .size:           2
        .value_kind:     hidden_remainder_z
      - .offset:         176
        .size:           8
        .value_kind:     hidden_global_offset_x
      - .offset:         184
        .size:           8
        .value_kind:     hidden_global_offset_y
      - .offset:         192
        .size:           8
        .value_kind:     hidden_global_offset_z
      - .offset:         200
        .size:           2
        .value_kind:     hidden_grid_dims
    .group_segment_fixed_size: 16384
    .kernarg_segment_align: 8
    .kernarg_segment_size: 392
    .language:       OpenCL C
    .language_version:
      - 2
      - 0
    .max_flat_workgroup_size: 1024
    .name:           _ZL30rocblas_trmm_outofplace_kernelIdLi32ELi2ELb1ELb0ELb1ELb1EPKdS0_dEv17rocblas_diagonal_iiT6_lPT7_lllS5_lllPT8_llli
    .private_segment_fixed_size: 0
    .sgpr_count:     46
    .sgpr_spill_count: 0
    .symbol:         _ZL30rocblas_trmm_outofplace_kernelIdLi32ELi2ELb1ELb0ELb1ELb1EPKdS0_dEv17rocblas_diagonal_iiT6_lPT7_lllS5_lllPT8_llli.kd
    .uniform_work_group_size: 1
    .uses_dynamic_stack: false
    .vgpr_count:     63
    .vgpr_spill_count: 0
    .wavefront_size: 32
    .workgroup_processor_mode: 1
  - .args:
      - .offset:         0
        .size:           4
        .value_kind:     by_value
      - .offset:         4
        .size:           4
        .value_kind:     by_value
      - .offset:         8
        .size:           4
        .value_kind:     by_value
      - .offset:         16
        .size:           8
        .value_kind:     by_value
      - .offset:         24
        .size:           8
        .value_kind:     by_value
      - .address_space:  global
        .offset:         32
        .size:           8
        .value_kind:     global_buffer
      - .offset:         40
        .size:           8
        .value_kind:     by_value
      - .offset:         48
        .size:           8
        .value_kind:     by_value
      - .offset:         56
        .size:           8
        .value_kind:     by_value
      - .address_space:  global
        .offset:         64
        .size:           8
        .value_kind:     global_buffer
      - .offset:         72
        .size:           8
        .value_kind:     by_value
      - .offset:         80
        .size:           8
        .value_kind:     by_value
      - .offset:         88
        .size:           8
        .value_kind:     by_value
      - .address_space:  global
        .offset:         96
        .size:           8
        .value_kind:     global_buffer
      - .offset:         104
        .size:           8
        .value_kind:     by_value
      - .offset:         112
        .size:           8
        .value_kind:     by_value
      - .offset:         120
        .size:           8
        .value_kind:     by_value
      - .offset:         128
        .size:           4
        .value_kind:     by_value
      - .offset:         136
        .size:           4
        .value_kind:     hidden_block_count_x
      - .offset:         140
        .size:           4
        .value_kind:     hidden_block_count_y
      - .offset:         144
        .size:           4
        .value_kind:     hidden_block_count_z
      - .offset:         148
        .size:           2
        .value_kind:     hidden_group_size_x
      - .offset:         150
        .size:           2
        .value_kind:     hidden_group_size_y
      - .offset:         152
        .size:           2
        .value_kind:     hidden_group_size_z
      - .offset:         154
        .size:           2
        .value_kind:     hidden_remainder_x
      - .offset:         156
        .size:           2
        .value_kind:     hidden_remainder_y
      - .offset:         158
        .size:           2
        .value_kind:     hidden_remainder_z
      - .offset:         176
        .size:           8
        .value_kind:     hidden_global_offset_x
      - .offset:         184
        .size:           8
        .value_kind:     hidden_global_offset_y
      - .offset:         192
        .size:           8
        .value_kind:     hidden_global_offset_z
      - .offset:         200
        .size:           2
        .value_kind:     hidden_grid_dims
    .group_segment_fixed_size: 16384
    .kernarg_segment_align: 8
    .kernarg_segment_size: 392
    .language:       OpenCL C
    .language_version:
      - 2
      - 0
    .max_flat_workgroup_size: 1024
    .name:           _ZL30rocblas_trmm_outofplace_kernelIdLi32ELi2ELb1ELb0ELb1ELb1EdKddEv17rocblas_diagonal_iiT6_lPT7_lllS4_lllPT8_llli
    .private_segment_fixed_size: 0
    .sgpr_count:     46
    .sgpr_spill_count: 0
    .symbol:         _ZL30rocblas_trmm_outofplace_kernelIdLi32ELi2ELb1ELb0ELb1ELb1EdKddEv17rocblas_diagonal_iiT6_lPT7_lllS4_lllPT8_llli.kd
    .uniform_work_group_size: 1
    .uses_dynamic_stack: false
    .vgpr_count:     63
    .vgpr_spill_count: 0
    .wavefront_size: 32
    .workgroup_processor_mode: 1
  - .args:
      - .offset:         0
        .size:           4
        .value_kind:     by_value
      - .offset:         4
        .size:           4
        .value_kind:     by_value
      - .offset:         8
        .size:           4
        .value_kind:     by_value
      - .address_space:  global
        .offset:         16
        .size:           8
        .value_kind:     global_buffer
      - .offset:         24
        .size:           8
        .value_kind:     by_value
      - .address_space:  global
        .offset:         32
        .size:           8
        .value_kind:     global_buffer
      - .offset:         40
        .size:           8
        .value_kind:     by_value
      - .offset:         48
        .size:           8
        .value_kind:     by_value
      - .offset:         56
        .size:           8
        .value_kind:     by_value
      - .address_space:  global
        .offset:         64
        .size:           8
        .value_kind:     global_buffer
      - .offset:         72
        .size:           8
        .value_kind:     by_value
      - .offset:         80
        .size:           8
        .value_kind:     by_value
      - .offset:         88
        .size:           8
        .value_kind:     by_value
      - .address_space:  global
        .offset:         96
        .size:           8
        .value_kind:     global_buffer
      - .offset:         104
        .size:           8
        .value_kind:     by_value
      - .offset:         112
        .size:           8
        .value_kind:     by_value
      - .offset:         120
        .size:           8
        .value_kind:     by_value
      - .offset:         128
        .size:           4
        .value_kind:     by_value
      - .offset:         136
        .size:           4
        .value_kind:     hidden_block_count_x
      - .offset:         140
        .size:           4
        .value_kind:     hidden_block_count_y
      - .offset:         144
        .size:           4
        .value_kind:     hidden_block_count_z
      - .offset:         148
        .size:           2
        .value_kind:     hidden_group_size_x
      - .offset:         150
        .size:           2
        .value_kind:     hidden_group_size_y
      - .offset:         152
        .size:           2
        .value_kind:     hidden_group_size_z
      - .offset:         154
        .size:           2
        .value_kind:     hidden_remainder_x
      - .offset:         156
        .size:           2
        .value_kind:     hidden_remainder_y
      - .offset:         158
        .size:           2
        .value_kind:     hidden_remainder_z
      - .offset:         176
        .size:           8
        .value_kind:     hidden_global_offset_x
      - .offset:         184
        .size:           8
        .value_kind:     hidden_global_offset_y
      - .offset:         192
        .size:           8
        .value_kind:     hidden_global_offset_z
      - .offset:         200
        .size:           2
        .value_kind:     hidden_grid_dims
    .group_segment_fixed_size: 16384
    .kernarg_segment_align: 8
    .kernarg_segment_size: 392
    .language:       OpenCL C
    .language_version:
      - 2
      - 0
    .max_flat_workgroup_size: 1024
    .name:           _ZL30rocblas_trmm_outofplace_kernelIdLi32ELi2ELb1ELb1ELb1ELb1EPKdS0_dEv17rocblas_diagonal_iiT6_lPT7_lllS5_lllPT8_llli
    .private_segment_fixed_size: 0
    .sgpr_count:     46
    .sgpr_spill_count: 0
    .symbol:         _ZL30rocblas_trmm_outofplace_kernelIdLi32ELi2ELb1ELb1ELb1ELb1EPKdS0_dEv17rocblas_diagonal_iiT6_lPT7_lllS5_lllPT8_llli.kd
    .uniform_work_group_size: 1
    .uses_dynamic_stack: false
    .vgpr_count:     60
    .vgpr_spill_count: 0
    .wavefront_size: 32
    .workgroup_processor_mode: 1
  - .args:
      - .offset:         0
        .size:           4
        .value_kind:     by_value
      - .offset:         4
        .size:           4
        .value_kind:     by_value
      - .offset:         8
        .size:           4
        .value_kind:     by_value
      - .offset:         16
        .size:           8
        .value_kind:     by_value
      - .offset:         24
        .size:           8
        .value_kind:     by_value
      - .address_space:  global
        .offset:         32
        .size:           8
        .value_kind:     global_buffer
      - .offset:         40
        .size:           8
        .value_kind:     by_value
      - .offset:         48
        .size:           8
        .value_kind:     by_value
      - .offset:         56
        .size:           8
        .value_kind:     by_value
      - .address_space:  global
        .offset:         64
        .size:           8
        .value_kind:     global_buffer
      - .offset:         72
        .size:           8
        .value_kind:     by_value
      - .offset:         80
        .size:           8
        .value_kind:     by_value
      - .offset:         88
        .size:           8
        .value_kind:     by_value
      - .address_space:  global
        .offset:         96
        .size:           8
        .value_kind:     global_buffer
      - .offset:         104
        .size:           8
        .value_kind:     by_value
      - .offset:         112
        .size:           8
        .value_kind:     by_value
      - .offset:         120
        .size:           8
        .value_kind:     by_value
      - .offset:         128
        .size:           4
        .value_kind:     by_value
      - .offset:         136
        .size:           4
        .value_kind:     hidden_block_count_x
      - .offset:         140
        .size:           4
        .value_kind:     hidden_block_count_y
      - .offset:         144
        .size:           4
        .value_kind:     hidden_block_count_z
      - .offset:         148
        .size:           2
        .value_kind:     hidden_group_size_x
      - .offset:         150
        .size:           2
        .value_kind:     hidden_group_size_y
      - .offset:         152
        .size:           2
        .value_kind:     hidden_group_size_z
      - .offset:         154
        .size:           2
        .value_kind:     hidden_remainder_x
      - .offset:         156
        .size:           2
        .value_kind:     hidden_remainder_y
      - .offset:         158
        .size:           2
        .value_kind:     hidden_remainder_z
      - .offset:         176
        .size:           8
        .value_kind:     hidden_global_offset_x
      - .offset:         184
        .size:           8
        .value_kind:     hidden_global_offset_y
      - .offset:         192
        .size:           8
        .value_kind:     hidden_global_offset_z
      - .offset:         200
        .size:           2
        .value_kind:     hidden_grid_dims
    .group_segment_fixed_size: 16384
    .kernarg_segment_align: 8
    .kernarg_segment_size: 392
    .language:       OpenCL C
    .language_version:
      - 2
      - 0
    .max_flat_workgroup_size: 1024
    .name:           _ZL30rocblas_trmm_outofplace_kernelIdLi32ELi2ELb1ELb1ELb1ELb1EdKddEv17rocblas_diagonal_iiT6_lPT7_lllS4_lllPT8_llli
    .private_segment_fixed_size: 0
    .sgpr_count:     46
    .sgpr_spill_count: 0
    .symbol:         _ZL30rocblas_trmm_outofplace_kernelIdLi32ELi2ELb1ELb1ELb1ELb1EdKddEv17rocblas_diagonal_iiT6_lPT7_lllS4_lllPT8_llli.kd
    .uniform_work_group_size: 1
    .uses_dynamic_stack: false
    .vgpr_count:     60
    .vgpr_spill_count: 0
    .wavefront_size: 32
    .workgroup_processor_mode: 1
  - .args:
      - .offset:         0
        .size:           4
        .value_kind:     by_value
      - .offset:         4
        .size:           4
        .value_kind:     by_value
      - .offset:         8
        .size:           4
        .value_kind:     by_value
      - .address_space:  global
        .offset:         16
        .size:           8
        .value_kind:     global_buffer
      - .offset:         24
        .size:           8
        .value_kind:     by_value
      - .address_space:  global
        .offset:         32
        .size:           8
        .value_kind:     global_buffer
      - .offset:         40
        .size:           8
        .value_kind:     by_value
      - .offset:         48
        .size:           8
        .value_kind:     by_value
      - .offset:         56
        .size:           8
        .value_kind:     by_value
      - .address_space:  global
        .offset:         64
        .size:           8
        .value_kind:     global_buffer
      - .offset:         72
        .size:           8
        .value_kind:     by_value
      - .offset:         80
        .size:           8
        .value_kind:     by_value
      - .offset:         88
        .size:           8
        .value_kind:     by_value
      - .address_space:  global
        .offset:         96
        .size:           8
        .value_kind:     global_buffer
      - .offset:         104
        .size:           8
        .value_kind:     by_value
      - .offset:         112
        .size:           8
        .value_kind:     by_value
      - .offset:         120
        .size:           8
        .value_kind:     by_value
      - .offset:         128
        .size:           4
        .value_kind:     by_value
      - .offset:         136
        .size:           4
        .value_kind:     hidden_block_count_x
      - .offset:         140
        .size:           4
        .value_kind:     hidden_block_count_y
      - .offset:         144
        .size:           4
        .value_kind:     hidden_block_count_z
      - .offset:         148
        .size:           2
        .value_kind:     hidden_group_size_x
      - .offset:         150
        .size:           2
        .value_kind:     hidden_group_size_y
      - .offset:         152
        .size:           2
        .value_kind:     hidden_group_size_z
      - .offset:         154
        .size:           2
        .value_kind:     hidden_remainder_x
      - .offset:         156
        .size:           2
        .value_kind:     hidden_remainder_y
      - .offset:         158
        .size:           2
        .value_kind:     hidden_remainder_z
      - .offset:         176
        .size:           8
        .value_kind:     hidden_global_offset_x
      - .offset:         184
        .size:           8
        .value_kind:     hidden_global_offset_y
      - .offset:         192
        .size:           8
        .value_kind:     hidden_global_offset_z
      - .offset:         200
        .size:           2
        .value_kind:     hidden_grid_dims
    .group_segment_fixed_size: 16384
    .kernarg_segment_align: 8
    .kernarg_segment_size: 392
    .language:       OpenCL C
    .language_version:
      - 2
      - 0
    .max_flat_workgroup_size: 1024
    .name:           _ZL30rocblas_trmm_outofplace_kernelIdLi32ELi2ELb0ELb0ELb0ELb0EPKdS0_dEv17rocblas_diagonal_iiT6_lPT7_lllS5_lllPT8_llli
    .private_segment_fixed_size: 0
    .sgpr_count:     47
    .sgpr_spill_count: 0
    .symbol:         _ZL30rocblas_trmm_outofplace_kernelIdLi32ELi2ELb0ELb0ELb0ELb0EPKdS0_dEv17rocblas_diagonal_iiT6_lPT7_lllS5_lllPT8_llli.kd
    .uniform_work_group_size: 1
    .uses_dynamic_stack: false
    .vgpr_count:     58
    .vgpr_spill_count: 0
    .wavefront_size: 32
    .workgroup_processor_mode: 1
  - .args:
      - .offset:         0
        .size:           4
        .value_kind:     by_value
      - .offset:         4
        .size:           4
        .value_kind:     by_value
      - .offset:         8
        .size:           4
        .value_kind:     by_value
      - .offset:         16
        .size:           8
        .value_kind:     by_value
      - .offset:         24
        .size:           8
        .value_kind:     by_value
      - .address_space:  global
        .offset:         32
        .size:           8
        .value_kind:     global_buffer
      - .offset:         40
        .size:           8
        .value_kind:     by_value
      - .offset:         48
        .size:           8
        .value_kind:     by_value
      - .offset:         56
        .size:           8
        .value_kind:     by_value
      - .address_space:  global
        .offset:         64
        .size:           8
        .value_kind:     global_buffer
      - .offset:         72
        .size:           8
        .value_kind:     by_value
      - .offset:         80
        .size:           8
        .value_kind:     by_value
      - .offset:         88
        .size:           8
        .value_kind:     by_value
      - .address_space:  global
        .offset:         96
        .size:           8
        .value_kind:     global_buffer
      - .offset:         104
        .size:           8
        .value_kind:     by_value
      - .offset:         112
        .size:           8
        .value_kind:     by_value
      - .offset:         120
        .size:           8
        .value_kind:     by_value
      - .offset:         128
        .size:           4
        .value_kind:     by_value
      - .offset:         136
        .size:           4
        .value_kind:     hidden_block_count_x
      - .offset:         140
        .size:           4
        .value_kind:     hidden_block_count_y
      - .offset:         144
        .size:           4
        .value_kind:     hidden_block_count_z
      - .offset:         148
        .size:           2
        .value_kind:     hidden_group_size_x
      - .offset:         150
        .size:           2
        .value_kind:     hidden_group_size_y
      - .offset:         152
        .size:           2
        .value_kind:     hidden_group_size_z
      - .offset:         154
        .size:           2
        .value_kind:     hidden_remainder_x
      - .offset:         156
        .size:           2
        .value_kind:     hidden_remainder_y
      - .offset:         158
        .size:           2
        .value_kind:     hidden_remainder_z
      - .offset:         176
        .size:           8
        .value_kind:     hidden_global_offset_x
      - .offset:         184
        .size:           8
        .value_kind:     hidden_global_offset_y
      - .offset:         192
        .size:           8
        .value_kind:     hidden_global_offset_z
      - .offset:         200
        .size:           2
        .value_kind:     hidden_grid_dims
    .group_segment_fixed_size: 16384
    .kernarg_segment_align: 8
    .kernarg_segment_size: 392
    .language:       OpenCL C
    .language_version:
      - 2
      - 0
    .max_flat_workgroup_size: 1024
    .name:           _ZL30rocblas_trmm_outofplace_kernelIdLi32ELi2ELb0ELb0ELb0ELb0EdKddEv17rocblas_diagonal_iiT6_lPT7_lllS4_lllPT8_llli
    .private_segment_fixed_size: 0
    .sgpr_count:     47
    .sgpr_spill_count: 0
    .symbol:         _ZL30rocblas_trmm_outofplace_kernelIdLi32ELi2ELb0ELb0ELb0ELb0EdKddEv17rocblas_diagonal_iiT6_lPT7_lllS4_lllPT8_llli.kd
    .uniform_work_group_size: 1
    .uses_dynamic_stack: false
    .vgpr_count:     58
    .vgpr_spill_count: 0
    .wavefront_size: 32
    .workgroup_processor_mode: 1
  - .args:
      - .offset:         0
        .size:           4
        .value_kind:     by_value
      - .offset:         4
        .size:           4
        .value_kind:     by_value
      - .offset:         8
        .size:           4
        .value_kind:     by_value
      - .address_space:  global
        .offset:         16
        .size:           8
        .value_kind:     global_buffer
      - .offset:         24
        .size:           8
        .value_kind:     by_value
      - .address_space:  global
        .offset:         32
        .size:           8
        .value_kind:     global_buffer
      - .offset:         40
        .size:           8
        .value_kind:     by_value
      - .offset:         48
        .size:           8
        .value_kind:     by_value
      - .offset:         56
        .size:           8
        .value_kind:     by_value
      - .address_space:  global
        .offset:         64
        .size:           8
        .value_kind:     global_buffer
      - .offset:         72
        .size:           8
        .value_kind:     by_value
      - .offset:         80
        .size:           8
        .value_kind:     by_value
      - .offset:         88
        .size:           8
        .value_kind:     by_value
      - .address_space:  global
        .offset:         96
        .size:           8
        .value_kind:     global_buffer
      - .offset:         104
        .size:           8
        .value_kind:     by_value
      - .offset:         112
        .size:           8
        .value_kind:     by_value
      - .offset:         120
        .size:           8
        .value_kind:     by_value
      - .offset:         128
        .size:           4
        .value_kind:     by_value
      - .offset:         136
        .size:           4
        .value_kind:     hidden_block_count_x
      - .offset:         140
        .size:           4
        .value_kind:     hidden_block_count_y
      - .offset:         144
        .size:           4
        .value_kind:     hidden_block_count_z
      - .offset:         148
        .size:           2
        .value_kind:     hidden_group_size_x
      - .offset:         150
        .size:           2
        .value_kind:     hidden_group_size_y
      - .offset:         152
        .size:           2
        .value_kind:     hidden_group_size_z
      - .offset:         154
        .size:           2
        .value_kind:     hidden_remainder_x
      - .offset:         156
        .size:           2
        .value_kind:     hidden_remainder_y
      - .offset:         158
        .size:           2
        .value_kind:     hidden_remainder_z
      - .offset:         176
        .size:           8
        .value_kind:     hidden_global_offset_x
      - .offset:         184
        .size:           8
        .value_kind:     hidden_global_offset_y
      - .offset:         192
        .size:           8
        .value_kind:     hidden_global_offset_z
      - .offset:         200
        .size:           2
        .value_kind:     hidden_grid_dims
    .group_segment_fixed_size: 16384
    .kernarg_segment_align: 8
    .kernarg_segment_size: 392
    .language:       OpenCL C
    .language_version:
      - 2
      - 0
    .max_flat_workgroup_size: 1024
    .name:           _ZL30rocblas_trmm_outofplace_kernelIdLi32ELi2ELb0ELb1ELb0ELb0EPKdS0_dEv17rocblas_diagonal_iiT6_lPT7_lllS5_lllPT8_llli
    .private_segment_fixed_size: 0
    .sgpr_count:     42
    .sgpr_spill_count: 0
    .symbol:         _ZL30rocblas_trmm_outofplace_kernelIdLi32ELi2ELb0ELb1ELb0ELb0EPKdS0_dEv17rocblas_diagonal_iiT6_lPT7_lllS5_lllPT8_llli.kd
    .uniform_work_group_size: 1
    .uses_dynamic_stack: false
    .vgpr_count:     62
    .vgpr_spill_count: 0
    .wavefront_size: 32
    .workgroup_processor_mode: 1
  - .args:
      - .offset:         0
        .size:           4
        .value_kind:     by_value
      - .offset:         4
        .size:           4
        .value_kind:     by_value
      - .offset:         8
        .size:           4
        .value_kind:     by_value
      - .offset:         16
        .size:           8
        .value_kind:     by_value
      - .offset:         24
        .size:           8
        .value_kind:     by_value
      - .address_space:  global
        .offset:         32
        .size:           8
        .value_kind:     global_buffer
      - .offset:         40
        .size:           8
        .value_kind:     by_value
      - .offset:         48
        .size:           8
        .value_kind:     by_value
      - .offset:         56
        .size:           8
        .value_kind:     by_value
      - .address_space:  global
        .offset:         64
        .size:           8
        .value_kind:     global_buffer
      - .offset:         72
        .size:           8
        .value_kind:     by_value
      - .offset:         80
        .size:           8
        .value_kind:     by_value
      - .offset:         88
        .size:           8
        .value_kind:     by_value
      - .address_space:  global
        .offset:         96
        .size:           8
        .value_kind:     global_buffer
      - .offset:         104
        .size:           8
        .value_kind:     by_value
      - .offset:         112
        .size:           8
        .value_kind:     by_value
      - .offset:         120
        .size:           8
        .value_kind:     by_value
      - .offset:         128
        .size:           4
        .value_kind:     by_value
      - .offset:         136
        .size:           4
        .value_kind:     hidden_block_count_x
      - .offset:         140
        .size:           4
        .value_kind:     hidden_block_count_y
      - .offset:         144
        .size:           4
        .value_kind:     hidden_block_count_z
      - .offset:         148
        .size:           2
        .value_kind:     hidden_group_size_x
      - .offset:         150
        .size:           2
        .value_kind:     hidden_group_size_y
      - .offset:         152
        .size:           2
        .value_kind:     hidden_group_size_z
      - .offset:         154
        .size:           2
        .value_kind:     hidden_remainder_x
      - .offset:         156
        .size:           2
        .value_kind:     hidden_remainder_y
      - .offset:         158
        .size:           2
        .value_kind:     hidden_remainder_z
      - .offset:         176
        .size:           8
        .value_kind:     hidden_global_offset_x
      - .offset:         184
        .size:           8
        .value_kind:     hidden_global_offset_y
      - .offset:         192
        .size:           8
        .value_kind:     hidden_global_offset_z
      - .offset:         200
        .size:           2
        .value_kind:     hidden_grid_dims
    .group_segment_fixed_size: 16384
    .kernarg_segment_align: 8
    .kernarg_segment_size: 392
    .language:       OpenCL C
    .language_version:
      - 2
      - 0
    .max_flat_workgroup_size: 1024
    .name:           _ZL30rocblas_trmm_outofplace_kernelIdLi32ELi2ELb0ELb1ELb0ELb0EdKddEv17rocblas_diagonal_iiT6_lPT7_lllS4_lllPT8_llli
    .private_segment_fixed_size: 0
    .sgpr_count:     46
    .sgpr_spill_count: 0
    .symbol:         _ZL30rocblas_trmm_outofplace_kernelIdLi32ELi2ELb0ELb1ELb0ELb0EdKddEv17rocblas_diagonal_iiT6_lPT7_lllS4_lllPT8_llli.kd
    .uniform_work_group_size: 1
    .uses_dynamic_stack: false
    .vgpr_count:     62
    .vgpr_spill_count: 0
    .wavefront_size: 32
    .workgroup_processor_mode: 1
  - .args:
      - .offset:         0
        .size:           4
        .value_kind:     by_value
      - .offset:         4
        .size:           4
        .value_kind:     by_value
      - .offset:         8
        .size:           4
        .value_kind:     by_value
      - .address_space:  global
        .offset:         16
        .size:           8
        .value_kind:     global_buffer
      - .offset:         24
        .size:           8
        .value_kind:     by_value
      - .address_space:  global
        .offset:         32
        .size:           8
        .value_kind:     global_buffer
      - .offset:         40
        .size:           8
        .value_kind:     by_value
      - .offset:         48
        .size:           8
        .value_kind:     by_value
      - .offset:         56
        .size:           8
        .value_kind:     by_value
      - .address_space:  global
        .offset:         64
        .size:           8
        .value_kind:     global_buffer
      - .offset:         72
        .size:           8
        .value_kind:     by_value
      - .offset:         80
        .size:           8
        .value_kind:     by_value
      - .offset:         88
        .size:           8
        .value_kind:     by_value
      - .address_space:  global
        .offset:         96
        .size:           8
        .value_kind:     global_buffer
      - .offset:         104
        .size:           8
        .value_kind:     by_value
      - .offset:         112
        .size:           8
        .value_kind:     by_value
      - .offset:         120
        .size:           8
        .value_kind:     by_value
      - .offset:         128
        .size:           4
        .value_kind:     by_value
      - .offset:         136
        .size:           4
        .value_kind:     hidden_block_count_x
      - .offset:         140
        .size:           4
        .value_kind:     hidden_block_count_y
      - .offset:         144
        .size:           4
        .value_kind:     hidden_block_count_z
      - .offset:         148
        .size:           2
        .value_kind:     hidden_group_size_x
      - .offset:         150
        .size:           2
        .value_kind:     hidden_group_size_y
      - .offset:         152
        .size:           2
        .value_kind:     hidden_group_size_z
      - .offset:         154
        .size:           2
        .value_kind:     hidden_remainder_x
      - .offset:         156
        .size:           2
        .value_kind:     hidden_remainder_y
      - .offset:         158
        .size:           2
        .value_kind:     hidden_remainder_z
      - .offset:         176
        .size:           8
        .value_kind:     hidden_global_offset_x
      - .offset:         184
        .size:           8
        .value_kind:     hidden_global_offset_y
      - .offset:         192
        .size:           8
        .value_kind:     hidden_global_offset_z
      - .offset:         200
        .size:           2
        .value_kind:     hidden_grid_dims
    .group_segment_fixed_size: 16384
    .kernarg_segment_align: 8
    .kernarg_segment_size: 392
    .language:       OpenCL C
    .language_version:
      - 2
      - 0
    .max_flat_workgroup_size: 1024
    .name:           _ZL30rocblas_trmm_outofplace_kernelIdLi32ELi2ELb0ELb0ELb1ELb0EPKdS0_dEv17rocblas_diagonal_iiT6_lPT7_lllS5_lllPT8_llli
    .private_segment_fixed_size: 0
    .sgpr_count:     42
    .sgpr_spill_count: 0
    .symbol:         _ZL30rocblas_trmm_outofplace_kernelIdLi32ELi2ELb0ELb0ELb1ELb0EPKdS0_dEv17rocblas_diagonal_iiT6_lPT7_lllS5_lllPT8_llli.kd
    .uniform_work_group_size: 1
    .uses_dynamic_stack: false
    .vgpr_count:     62
    .vgpr_spill_count: 0
    .wavefront_size: 32
    .workgroup_processor_mode: 1
  - .args:
      - .offset:         0
        .size:           4
        .value_kind:     by_value
      - .offset:         4
        .size:           4
        .value_kind:     by_value
      - .offset:         8
        .size:           4
        .value_kind:     by_value
      - .offset:         16
        .size:           8
        .value_kind:     by_value
      - .offset:         24
        .size:           8
        .value_kind:     by_value
      - .address_space:  global
        .offset:         32
        .size:           8
        .value_kind:     global_buffer
      - .offset:         40
        .size:           8
        .value_kind:     by_value
      - .offset:         48
        .size:           8
        .value_kind:     by_value
      - .offset:         56
        .size:           8
        .value_kind:     by_value
      - .address_space:  global
        .offset:         64
        .size:           8
        .value_kind:     global_buffer
      - .offset:         72
        .size:           8
        .value_kind:     by_value
      - .offset:         80
        .size:           8
        .value_kind:     by_value
      - .offset:         88
        .size:           8
        .value_kind:     by_value
      - .address_space:  global
        .offset:         96
        .size:           8
        .value_kind:     global_buffer
      - .offset:         104
        .size:           8
        .value_kind:     by_value
      - .offset:         112
        .size:           8
        .value_kind:     by_value
      - .offset:         120
        .size:           8
        .value_kind:     by_value
      - .offset:         128
        .size:           4
        .value_kind:     by_value
      - .offset:         136
        .size:           4
        .value_kind:     hidden_block_count_x
      - .offset:         140
        .size:           4
        .value_kind:     hidden_block_count_y
      - .offset:         144
        .size:           4
        .value_kind:     hidden_block_count_z
      - .offset:         148
        .size:           2
        .value_kind:     hidden_group_size_x
      - .offset:         150
        .size:           2
        .value_kind:     hidden_group_size_y
      - .offset:         152
        .size:           2
        .value_kind:     hidden_group_size_z
      - .offset:         154
        .size:           2
        .value_kind:     hidden_remainder_x
      - .offset:         156
        .size:           2
        .value_kind:     hidden_remainder_y
      - .offset:         158
        .size:           2
        .value_kind:     hidden_remainder_z
      - .offset:         176
        .size:           8
        .value_kind:     hidden_global_offset_x
      - .offset:         184
        .size:           8
        .value_kind:     hidden_global_offset_y
      - .offset:         192
        .size:           8
        .value_kind:     hidden_global_offset_z
      - .offset:         200
        .size:           2
        .value_kind:     hidden_grid_dims
    .group_segment_fixed_size: 16384
    .kernarg_segment_align: 8
    .kernarg_segment_size: 392
    .language:       OpenCL C
    .language_version:
      - 2
      - 0
    .max_flat_workgroup_size: 1024
    .name:           _ZL30rocblas_trmm_outofplace_kernelIdLi32ELi2ELb0ELb0ELb1ELb0EdKddEv17rocblas_diagonal_iiT6_lPT7_lllS4_lllPT8_llli
    .private_segment_fixed_size: 0
    .sgpr_count:     46
    .sgpr_spill_count: 0
    .symbol:         _ZL30rocblas_trmm_outofplace_kernelIdLi32ELi2ELb0ELb0ELb1ELb0EdKddEv17rocblas_diagonal_iiT6_lPT7_lllS4_lllPT8_llli.kd
    .uniform_work_group_size: 1
    .uses_dynamic_stack: false
    .vgpr_count:     62
    .vgpr_spill_count: 0
    .wavefront_size: 32
    .workgroup_processor_mode: 1
  - .args:
      - .offset:         0
        .size:           4
        .value_kind:     by_value
      - .offset:         4
        .size:           4
        .value_kind:     by_value
      - .offset:         8
        .size:           4
        .value_kind:     by_value
      - .address_space:  global
        .offset:         16
        .size:           8
        .value_kind:     global_buffer
      - .offset:         24
        .size:           8
        .value_kind:     by_value
      - .address_space:  global
        .offset:         32
        .size:           8
        .value_kind:     global_buffer
      - .offset:         40
        .size:           8
        .value_kind:     by_value
      - .offset:         48
        .size:           8
        .value_kind:     by_value
      - .offset:         56
        .size:           8
        .value_kind:     by_value
      - .address_space:  global
        .offset:         64
        .size:           8
        .value_kind:     global_buffer
      - .offset:         72
        .size:           8
        .value_kind:     by_value
      - .offset:         80
        .size:           8
        .value_kind:     by_value
      - .offset:         88
        .size:           8
        .value_kind:     by_value
      - .address_space:  global
        .offset:         96
        .size:           8
        .value_kind:     global_buffer
      - .offset:         104
        .size:           8
        .value_kind:     by_value
      - .offset:         112
        .size:           8
        .value_kind:     by_value
      - .offset:         120
        .size:           8
        .value_kind:     by_value
      - .offset:         128
        .size:           4
        .value_kind:     by_value
      - .offset:         136
        .size:           4
        .value_kind:     hidden_block_count_x
      - .offset:         140
        .size:           4
        .value_kind:     hidden_block_count_y
      - .offset:         144
        .size:           4
        .value_kind:     hidden_block_count_z
      - .offset:         148
        .size:           2
        .value_kind:     hidden_group_size_x
      - .offset:         150
        .size:           2
        .value_kind:     hidden_group_size_y
      - .offset:         152
        .size:           2
        .value_kind:     hidden_group_size_z
      - .offset:         154
        .size:           2
        .value_kind:     hidden_remainder_x
      - .offset:         156
        .size:           2
        .value_kind:     hidden_remainder_y
      - .offset:         158
        .size:           2
        .value_kind:     hidden_remainder_z
      - .offset:         176
        .size:           8
        .value_kind:     hidden_global_offset_x
      - .offset:         184
        .size:           8
        .value_kind:     hidden_global_offset_y
      - .offset:         192
        .size:           8
        .value_kind:     hidden_global_offset_z
      - .offset:         200
        .size:           2
        .value_kind:     hidden_grid_dims
    .group_segment_fixed_size: 16384
    .kernarg_segment_align: 8
    .kernarg_segment_size: 392
    .language:       OpenCL C
    .language_version:
      - 2
      - 0
    .max_flat_workgroup_size: 1024
    .name:           _ZL30rocblas_trmm_outofplace_kernelIdLi32ELi2ELb0ELb1ELb1ELb0EPKdS0_dEv17rocblas_diagonal_iiT6_lPT7_lllS5_lllPT8_llli
    .private_segment_fixed_size: 0
    .sgpr_count:     49
    .sgpr_spill_count: 0
    .symbol:         _ZL30rocblas_trmm_outofplace_kernelIdLi32ELi2ELb0ELb1ELb1ELb0EPKdS0_dEv17rocblas_diagonal_iiT6_lPT7_lllS5_lllPT8_llli.kd
    .uniform_work_group_size: 1
    .uses_dynamic_stack: false
    .vgpr_count:     58
    .vgpr_spill_count: 0
    .wavefront_size: 32
    .workgroup_processor_mode: 1
  - .args:
      - .offset:         0
        .size:           4
        .value_kind:     by_value
      - .offset:         4
        .size:           4
        .value_kind:     by_value
      - .offset:         8
        .size:           4
        .value_kind:     by_value
      - .offset:         16
        .size:           8
        .value_kind:     by_value
      - .offset:         24
        .size:           8
        .value_kind:     by_value
      - .address_space:  global
        .offset:         32
        .size:           8
        .value_kind:     global_buffer
      - .offset:         40
        .size:           8
        .value_kind:     by_value
      - .offset:         48
        .size:           8
        .value_kind:     by_value
      - .offset:         56
        .size:           8
        .value_kind:     by_value
      - .address_space:  global
        .offset:         64
        .size:           8
        .value_kind:     global_buffer
      - .offset:         72
        .size:           8
        .value_kind:     by_value
      - .offset:         80
        .size:           8
        .value_kind:     by_value
      - .offset:         88
        .size:           8
        .value_kind:     by_value
      - .address_space:  global
        .offset:         96
        .size:           8
        .value_kind:     global_buffer
      - .offset:         104
        .size:           8
        .value_kind:     by_value
      - .offset:         112
        .size:           8
        .value_kind:     by_value
      - .offset:         120
        .size:           8
        .value_kind:     by_value
      - .offset:         128
        .size:           4
        .value_kind:     by_value
      - .offset:         136
        .size:           4
        .value_kind:     hidden_block_count_x
      - .offset:         140
        .size:           4
        .value_kind:     hidden_block_count_y
      - .offset:         144
        .size:           4
        .value_kind:     hidden_block_count_z
      - .offset:         148
        .size:           2
        .value_kind:     hidden_group_size_x
      - .offset:         150
        .size:           2
        .value_kind:     hidden_group_size_y
      - .offset:         152
        .size:           2
        .value_kind:     hidden_group_size_z
      - .offset:         154
        .size:           2
        .value_kind:     hidden_remainder_x
      - .offset:         156
        .size:           2
        .value_kind:     hidden_remainder_y
      - .offset:         158
        .size:           2
        .value_kind:     hidden_remainder_z
      - .offset:         176
        .size:           8
        .value_kind:     hidden_global_offset_x
      - .offset:         184
        .size:           8
        .value_kind:     hidden_global_offset_y
      - .offset:         192
        .size:           8
        .value_kind:     hidden_global_offset_z
      - .offset:         200
        .size:           2
        .value_kind:     hidden_grid_dims
    .group_segment_fixed_size: 16384
    .kernarg_segment_align: 8
    .kernarg_segment_size: 392
    .language:       OpenCL C
    .language_version:
      - 2
      - 0
    .max_flat_workgroup_size: 1024
    .name:           _ZL30rocblas_trmm_outofplace_kernelIdLi32ELi2ELb0ELb1ELb1ELb0EdKddEv17rocblas_diagonal_iiT6_lPT7_lllS4_lllPT8_llli
    .private_segment_fixed_size: 0
    .sgpr_count:     48
    .sgpr_spill_count: 0
    .symbol:         _ZL30rocblas_trmm_outofplace_kernelIdLi32ELi2ELb0ELb1ELb1ELb0EdKddEv17rocblas_diagonal_iiT6_lPT7_lllS4_lllPT8_llli.kd
    .uniform_work_group_size: 1
    .uses_dynamic_stack: false
    .vgpr_count:     58
    .vgpr_spill_count: 0
    .wavefront_size: 32
    .workgroup_processor_mode: 1
  - .args:
      - .offset:         0
        .size:           4
        .value_kind:     by_value
      - .offset:         4
        .size:           4
        .value_kind:     by_value
      - .offset:         8
        .size:           4
        .value_kind:     by_value
      - .address_space:  global
        .offset:         16
        .size:           8
        .value_kind:     global_buffer
      - .offset:         24
        .size:           8
        .value_kind:     by_value
      - .address_space:  global
        .offset:         32
        .size:           8
        .value_kind:     global_buffer
      - .offset:         40
        .size:           8
        .value_kind:     by_value
      - .offset:         48
        .size:           8
        .value_kind:     by_value
      - .offset:         56
        .size:           8
        .value_kind:     by_value
      - .address_space:  global
        .offset:         64
        .size:           8
        .value_kind:     global_buffer
      - .offset:         72
        .size:           8
        .value_kind:     by_value
      - .offset:         80
        .size:           8
        .value_kind:     by_value
      - .offset:         88
        .size:           8
        .value_kind:     by_value
      - .address_space:  global
        .offset:         96
        .size:           8
        .value_kind:     global_buffer
      - .offset:         104
        .size:           8
        .value_kind:     by_value
      - .offset:         112
        .size:           8
        .value_kind:     by_value
      - .offset:         120
        .size:           8
        .value_kind:     by_value
      - .offset:         128
        .size:           4
        .value_kind:     by_value
      - .offset:         136
        .size:           4
        .value_kind:     hidden_block_count_x
      - .offset:         140
        .size:           4
        .value_kind:     hidden_block_count_y
      - .offset:         144
        .size:           4
        .value_kind:     hidden_block_count_z
      - .offset:         148
        .size:           2
        .value_kind:     hidden_group_size_x
      - .offset:         150
        .size:           2
        .value_kind:     hidden_group_size_y
      - .offset:         152
        .size:           2
        .value_kind:     hidden_group_size_z
      - .offset:         154
        .size:           2
        .value_kind:     hidden_remainder_x
      - .offset:         156
        .size:           2
        .value_kind:     hidden_remainder_y
      - .offset:         158
        .size:           2
        .value_kind:     hidden_remainder_z
      - .offset:         176
        .size:           8
        .value_kind:     hidden_global_offset_x
      - .offset:         184
        .size:           8
        .value_kind:     hidden_global_offset_y
      - .offset:         192
        .size:           8
        .value_kind:     hidden_global_offset_z
      - .offset:         200
        .size:           2
        .value_kind:     hidden_grid_dims
    .group_segment_fixed_size: 16384
    .kernarg_segment_align: 8
    .kernarg_segment_size: 392
    .language:       OpenCL C
    .language_version:
      - 2
      - 0
    .max_flat_workgroup_size: 1024
    .name:           _ZL30rocblas_trmm_outofplace_kernelIdLi32ELi2ELb0ELb0ELb1ELb1EPKdS0_dEv17rocblas_diagonal_iiT6_lPT7_lllS5_lllPT8_llli
    .private_segment_fixed_size: 0
    .sgpr_count:     42
    .sgpr_spill_count: 0
    .symbol:         _ZL30rocblas_trmm_outofplace_kernelIdLi32ELi2ELb0ELb0ELb1ELb1EPKdS0_dEv17rocblas_diagonal_iiT6_lPT7_lllS5_lllPT8_llli.kd
    .uniform_work_group_size: 1
    .uses_dynamic_stack: false
    .vgpr_count:     62
    .vgpr_spill_count: 0
    .wavefront_size: 32
    .workgroup_processor_mode: 1
  - .args:
      - .offset:         0
        .size:           4
        .value_kind:     by_value
      - .offset:         4
        .size:           4
        .value_kind:     by_value
      - .offset:         8
        .size:           4
        .value_kind:     by_value
      - .offset:         16
        .size:           8
        .value_kind:     by_value
      - .offset:         24
        .size:           8
        .value_kind:     by_value
      - .address_space:  global
        .offset:         32
        .size:           8
        .value_kind:     global_buffer
      - .offset:         40
        .size:           8
        .value_kind:     by_value
      - .offset:         48
        .size:           8
        .value_kind:     by_value
      - .offset:         56
        .size:           8
        .value_kind:     by_value
      - .address_space:  global
        .offset:         64
        .size:           8
        .value_kind:     global_buffer
      - .offset:         72
        .size:           8
        .value_kind:     by_value
      - .offset:         80
        .size:           8
        .value_kind:     by_value
      - .offset:         88
        .size:           8
        .value_kind:     by_value
      - .address_space:  global
        .offset:         96
        .size:           8
        .value_kind:     global_buffer
      - .offset:         104
        .size:           8
        .value_kind:     by_value
      - .offset:         112
        .size:           8
        .value_kind:     by_value
      - .offset:         120
        .size:           8
        .value_kind:     by_value
      - .offset:         128
        .size:           4
        .value_kind:     by_value
      - .offset:         136
        .size:           4
        .value_kind:     hidden_block_count_x
      - .offset:         140
        .size:           4
        .value_kind:     hidden_block_count_y
      - .offset:         144
        .size:           4
        .value_kind:     hidden_block_count_z
      - .offset:         148
        .size:           2
        .value_kind:     hidden_group_size_x
      - .offset:         150
        .size:           2
        .value_kind:     hidden_group_size_y
      - .offset:         152
        .size:           2
        .value_kind:     hidden_group_size_z
      - .offset:         154
        .size:           2
        .value_kind:     hidden_remainder_x
      - .offset:         156
        .size:           2
        .value_kind:     hidden_remainder_y
      - .offset:         158
        .size:           2
        .value_kind:     hidden_remainder_z
      - .offset:         176
        .size:           8
        .value_kind:     hidden_global_offset_x
      - .offset:         184
        .size:           8
        .value_kind:     hidden_global_offset_y
      - .offset:         192
        .size:           8
        .value_kind:     hidden_global_offset_z
      - .offset:         200
        .size:           2
        .value_kind:     hidden_grid_dims
    .group_segment_fixed_size: 16384
    .kernarg_segment_align: 8
    .kernarg_segment_size: 392
    .language:       OpenCL C
    .language_version:
      - 2
      - 0
    .max_flat_workgroup_size: 1024
    .name:           _ZL30rocblas_trmm_outofplace_kernelIdLi32ELi2ELb0ELb0ELb1ELb1EdKddEv17rocblas_diagonal_iiT6_lPT7_lllS4_lllPT8_llli
    .private_segment_fixed_size: 0
    .sgpr_count:     46
    .sgpr_spill_count: 0
    .symbol:         _ZL30rocblas_trmm_outofplace_kernelIdLi32ELi2ELb0ELb0ELb1ELb1EdKddEv17rocblas_diagonal_iiT6_lPT7_lllS4_lllPT8_llli.kd
    .uniform_work_group_size: 1
    .uses_dynamic_stack: false
    .vgpr_count:     62
    .vgpr_spill_count: 0
    .wavefront_size: 32
    .workgroup_processor_mode: 1
  - .args:
      - .offset:         0
        .size:           4
        .value_kind:     by_value
      - .offset:         4
        .size:           4
        .value_kind:     by_value
      - .offset:         8
        .size:           4
        .value_kind:     by_value
      - .address_space:  global
        .offset:         16
        .size:           8
        .value_kind:     global_buffer
      - .offset:         24
        .size:           8
        .value_kind:     by_value
      - .address_space:  global
        .offset:         32
        .size:           8
        .value_kind:     global_buffer
      - .offset:         40
        .size:           8
        .value_kind:     by_value
      - .offset:         48
        .size:           8
        .value_kind:     by_value
      - .offset:         56
        .size:           8
        .value_kind:     by_value
      - .address_space:  global
        .offset:         64
        .size:           8
        .value_kind:     global_buffer
      - .offset:         72
        .size:           8
        .value_kind:     by_value
      - .offset:         80
        .size:           8
        .value_kind:     by_value
      - .offset:         88
        .size:           8
        .value_kind:     by_value
      - .address_space:  global
        .offset:         96
        .size:           8
        .value_kind:     global_buffer
      - .offset:         104
        .size:           8
        .value_kind:     by_value
      - .offset:         112
        .size:           8
        .value_kind:     by_value
      - .offset:         120
        .size:           8
        .value_kind:     by_value
      - .offset:         128
        .size:           4
        .value_kind:     by_value
      - .offset:         136
        .size:           4
        .value_kind:     hidden_block_count_x
      - .offset:         140
        .size:           4
        .value_kind:     hidden_block_count_y
      - .offset:         144
        .size:           4
        .value_kind:     hidden_block_count_z
      - .offset:         148
        .size:           2
        .value_kind:     hidden_group_size_x
      - .offset:         150
        .size:           2
        .value_kind:     hidden_group_size_y
      - .offset:         152
        .size:           2
        .value_kind:     hidden_group_size_z
      - .offset:         154
        .size:           2
        .value_kind:     hidden_remainder_x
      - .offset:         156
        .size:           2
        .value_kind:     hidden_remainder_y
      - .offset:         158
        .size:           2
        .value_kind:     hidden_remainder_z
      - .offset:         176
        .size:           8
        .value_kind:     hidden_global_offset_x
      - .offset:         184
        .size:           8
        .value_kind:     hidden_global_offset_y
      - .offset:         192
        .size:           8
        .value_kind:     hidden_global_offset_z
      - .offset:         200
        .size:           2
        .value_kind:     hidden_grid_dims
    .group_segment_fixed_size: 16384
    .kernarg_segment_align: 8
    .kernarg_segment_size: 392
    .language:       OpenCL C
    .language_version:
      - 2
      - 0
    .max_flat_workgroup_size: 1024
    .name:           _ZL30rocblas_trmm_outofplace_kernelIdLi32ELi2ELb0ELb1ELb1ELb1EPKdS0_dEv17rocblas_diagonal_iiT6_lPT7_lllS5_lllPT8_llli
    .private_segment_fixed_size: 0
    .sgpr_count:     49
    .sgpr_spill_count: 0
    .symbol:         _ZL30rocblas_trmm_outofplace_kernelIdLi32ELi2ELb0ELb1ELb1ELb1EPKdS0_dEv17rocblas_diagonal_iiT6_lPT7_lllS5_lllPT8_llli.kd
    .uniform_work_group_size: 1
    .uses_dynamic_stack: false
    .vgpr_count:     58
    .vgpr_spill_count: 0
    .wavefront_size: 32
    .workgroup_processor_mode: 1
  - .args:
      - .offset:         0
        .size:           4
        .value_kind:     by_value
      - .offset:         4
        .size:           4
        .value_kind:     by_value
      - .offset:         8
        .size:           4
        .value_kind:     by_value
      - .offset:         16
        .size:           8
        .value_kind:     by_value
      - .offset:         24
        .size:           8
        .value_kind:     by_value
      - .address_space:  global
        .offset:         32
        .size:           8
        .value_kind:     global_buffer
      - .offset:         40
        .size:           8
        .value_kind:     by_value
      - .offset:         48
        .size:           8
        .value_kind:     by_value
      - .offset:         56
        .size:           8
        .value_kind:     by_value
      - .address_space:  global
        .offset:         64
        .size:           8
        .value_kind:     global_buffer
      - .offset:         72
        .size:           8
        .value_kind:     by_value
      - .offset:         80
        .size:           8
        .value_kind:     by_value
      - .offset:         88
        .size:           8
        .value_kind:     by_value
      - .address_space:  global
        .offset:         96
        .size:           8
        .value_kind:     global_buffer
      - .offset:         104
        .size:           8
        .value_kind:     by_value
      - .offset:         112
        .size:           8
        .value_kind:     by_value
      - .offset:         120
        .size:           8
        .value_kind:     by_value
      - .offset:         128
        .size:           4
        .value_kind:     by_value
      - .offset:         136
        .size:           4
        .value_kind:     hidden_block_count_x
      - .offset:         140
        .size:           4
        .value_kind:     hidden_block_count_y
      - .offset:         144
        .size:           4
        .value_kind:     hidden_block_count_z
      - .offset:         148
        .size:           2
        .value_kind:     hidden_group_size_x
      - .offset:         150
        .size:           2
        .value_kind:     hidden_group_size_y
      - .offset:         152
        .size:           2
        .value_kind:     hidden_group_size_z
      - .offset:         154
        .size:           2
        .value_kind:     hidden_remainder_x
      - .offset:         156
        .size:           2
        .value_kind:     hidden_remainder_y
      - .offset:         158
        .size:           2
        .value_kind:     hidden_remainder_z
      - .offset:         176
        .size:           8
        .value_kind:     hidden_global_offset_x
      - .offset:         184
        .size:           8
        .value_kind:     hidden_global_offset_y
      - .offset:         192
        .size:           8
        .value_kind:     hidden_global_offset_z
      - .offset:         200
        .size:           2
        .value_kind:     hidden_grid_dims
    .group_segment_fixed_size: 16384
    .kernarg_segment_align: 8
    .kernarg_segment_size: 392
    .language:       OpenCL C
    .language_version:
      - 2
      - 0
    .max_flat_workgroup_size: 1024
    .name:           _ZL30rocblas_trmm_outofplace_kernelIdLi32ELi2ELb0ELb1ELb1ELb1EdKddEv17rocblas_diagonal_iiT6_lPT7_lllS4_lllPT8_llli
    .private_segment_fixed_size: 0
    .sgpr_count:     48
    .sgpr_spill_count: 0
    .symbol:         _ZL30rocblas_trmm_outofplace_kernelIdLi32ELi2ELb0ELb1ELb1ELb1EdKddEv17rocblas_diagonal_iiT6_lPT7_lllS4_lllPT8_llli.kd
    .uniform_work_group_size: 1
    .uses_dynamic_stack: false
    .vgpr_count:     58
    .vgpr_spill_count: 0
    .wavefront_size: 32
    .workgroup_processor_mode: 1
  - .args:
      - .offset:         0
        .size:           4
        .value_kind:     by_value
      - .offset:         4
        .size:           4
        .value_kind:     by_value
      - .offset:         8
        .size:           4
        .value_kind:     by_value
      - .offset:         12
        .size:           4
        .value_kind:     by_value
      - .address_space:  global
        .offset:         16
        .size:           8
        .value_kind:     global_buffer
      - .offset:         24
        .size:           8
        .value_kind:     by_value
      - .address_space:  global
        .offset:         32
        .size:           8
        .value_kind:     global_buffer
      - .offset:         40
        .size:           8
        .value_kind:     by_value
      - .offset:         48
        .size:           8
        .value_kind:     by_value
      - .address_space:  global
        .offset:         56
        .size:           8
        .value_kind:     global_buffer
      - .offset:         64
        .size:           8
        .value_kind:     by_value
      - .offset:         72
        .size:           8
        .value_kind:     by_value
      - .address_space:  global
        .offset:         80
        .size:           8
        .value_kind:     global_buffer
      - .offset:         88
        .size:           8
        .value_kind:     by_value
      - .offset:         96
        .size:           8
        .value_kind:     by_value
      - .offset:         104
        .size:           4
        .value_kind:     by_value
    .group_segment_fixed_size: 16384
    .kernarg_segment_align: 8
    .kernarg_segment_size: 108
    .language:       OpenCL C
    .language_version:
      - 2
      - 0
    .max_flat_workgroup_size: 1024
    .name:           _ZL23rocblas_trmm_lNx_kernelILi32EdPKdS0_dEv13rocblas_fill_17rocblas_diagonal_iiT1_lPT2_llS6_llPT3_lli
    .private_segment_fixed_size: 0
    .sgpr_count:     34
    .sgpr_spill_count: 0
    .symbol:         _ZL23rocblas_trmm_lNx_kernelILi32EdPKdS0_dEv13rocblas_fill_17rocblas_diagonal_iiT1_lPT2_llS6_llPT3_lli.kd
    .uniform_work_group_size: 1
    .uses_dynamic_stack: false
    .vgpr_count:     18
    .vgpr_spill_count: 0
    .wavefront_size: 32
    .workgroup_processor_mode: 1
  - .args:
      - .offset:         0
        .size:           4
        .value_kind:     by_value
      - .offset:         4
        .size:           4
        .value_kind:     by_value
      - .offset:         8
        .size:           4
        .value_kind:     by_value
      - .offset:         12
        .size:           4
        .value_kind:     by_value
      - .offset:         16
        .size:           8
        .value_kind:     by_value
      - .offset:         24
        .size:           8
        .value_kind:     by_value
      - .address_space:  global
        .offset:         32
        .size:           8
        .value_kind:     global_buffer
      - .offset:         40
        .size:           8
        .value_kind:     by_value
      - .offset:         48
        .size:           8
        .value_kind:     by_value
      - .address_space:  global
        .offset:         56
        .size:           8
        .value_kind:     global_buffer
      - .offset:         64
        .size:           8
        .value_kind:     by_value
      - .offset:         72
        .size:           8
        .value_kind:     by_value
      - .address_space:  global
        .offset:         80
        .size:           8
        .value_kind:     global_buffer
      - .offset:         88
        .size:           8
        .value_kind:     by_value
      - .offset:         96
        .size:           8
        .value_kind:     by_value
      - .offset:         104
        .size:           4
        .value_kind:     by_value
    .group_segment_fixed_size: 16384
    .kernarg_segment_align: 8
    .kernarg_segment_size: 108
    .language:       OpenCL C
    .language_version:
      - 2
      - 0
    .max_flat_workgroup_size: 1024
    .name:           _ZL23rocblas_trmm_lNx_kernelILi32EddKddEv13rocblas_fill_17rocblas_diagonal_iiT1_lPT2_llS5_llPT3_lli
    .private_segment_fixed_size: 0
    .sgpr_count:     34
    .sgpr_spill_count: 0
    .symbol:         _ZL23rocblas_trmm_lNx_kernelILi32EddKddEv13rocblas_fill_17rocblas_diagonal_iiT1_lPT2_llS5_llPT3_lli.kd
    .uniform_work_group_size: 1
    .uses_dynamic_stack: false
    .vgpr_count:     18
    .vgpr_spill_count: 0
    .wavefront_size: 32
    .workgroup_processor_mode: 1
  - .args:
      - .offset:         0
        .size:           4
        .value_kind:     by_value
      - .offset:         4
        .size:           4
        .value_kind:     by_value
      - .offset:         8
        .size:           4
        .value_kind:     by_value
      - .offset:         12
        .size:           4
        .value_kind:     by_value
      - .address_space:  global
        .offset:         16
        .size:           8
        .value_kind:     global_buffer
      - .offset:         24
        .size:           8
        .value_kind:     by_value
      - .address_space:  global
        .offset:         32
        .size:           8
        .value_kind:     global_buffer
      - .offset:         40
        .size:           8
        .value_kind:     by_value
      - .offset:         48
        .size:           8
        .value_kind:     by_value
      - .address_space:  global
        .offset:         56
        .size:           8
        .value_kind:     global_buffer
      - .offset:         64
        .size:           8
        .value_kind:     by_value
      - .offset:         72
        .size:           8
        .value_kind:     by_value
      - .address_space:  global
        .offset:         80
        .size:           8
        .value_kind:     global_buffer
      - .offset:         88
        .size:           8
        .value_kind:     by_value
      - .offset:         96
        .size:           8
        .value_kind:     by_value
      - .offset:         104
        .size:           4
        .value_kind:     by_value
    .group_segment_fixed_size: 16384
    .kernarg_segment_align: 8
    .kernarg_segment_size: 108
    .language:       OpenCL C
    .language_version:
      - 2
      - 0
    .max_flat_workgroup_size: 1024
    .name:           _ZL23rocblas_trmm_lTx_kernelILi32ELb0EdPKdS0_dEv13rocblas_fill_17rocblas_diagonal_iiT2_lPT3_llS6_llPT4_lli
    .private_segment_fixed_size: 0
    .sgpr_count:     34
    .sgpr_spill_count: 0
    .symbol:         _ZL23rocblas_trmm_lTx_kernelILi32ELb0EdPKdS0_dEv13rocblas_fill_17rocblas_diagonal_iiT2_lPT3_llS6_llPT4_lli.kd
    .uniform_work_group_size: 1
    .uses_dynamic_stack: false
    .vgpr_count:     18
    .vgpr_spill_count: 0
    .wavefront_size: 32
    .workgroup_processor_mode: 1
  - .args:
      - .offset:         0
        .size:           4
        .value_kind:     by_value
      - .offset:         4
        .size:           4
        .value_kind:     by_value
      - .offset:         8
        .size:           4
        .value_kind:     by_value
      - .offset:         12
        .size:           4
        .value_kind:     by_value
      - .offset:         16
        .size:           8
        .value_kind:     by_value
      - .offset:         24
        .size:           8
        .value_kind:     by_value
      - .address_space:  global
        .offset:         32
        .size:           8
        .value_kind:     global_buffer
      - .offset:         40
        .size:           8
        .value_kind:     by_value
      - .offset:         48
        .size:           8
        .value_kind:     by_value
      - .address_space:  global
        .offset:         56
        .size:           8
        .value_kind:     global_buffer
      - .offset:         64
        .size:           8
        .value_kind:     by_value
      - .offset:         72
        .size:           8
        .value_kind:     by_value
      - .address_space:  global
        .offset:         80
        .size:           8
        .value_kind:     global_buffer
      - .offset:         88
        .size:           8
        .value_kind:     by_value
      - .offset:         96
        .size:           8
        .value_kind:     by_value
      - .offset:         104
        .size:           4
        .value_kind:     by_value
    .group_segment_fixed_size: 16384
    .kernarg_segment_align: 8
    .kernarg_segment_size: 108
    .language:       OpenCL C
    .language_version:
      - 2
      - 0
    .max_flat_workgroup_size: 1024
    .name:           _ZL23rocblas_trmm_lTx_kernelILi32ELb0EddKddEv13rocblas_fill_17rocblas_diagonal_iiT2_lPT3_llS5_llPT4_lli
    .private_segment_fixed_size: 0
    .sgpr_count:     34
    .sgpr_spill_count: 0
    .symbol:         _ZL23rocblas_trmm_lTx_kernelILi32ELb0EddKddEv13rocblas_fill_17rocblas_diagonal_iiT2_lPT3_llS5_llPT4_lli.kd
    .uniform_work_group_size: 1
    .uses_dynamic_stack: false
    .vgpr_count:     18
    .vgpr_spill_count: 0
    .wavefront_size: 32
    .workgroup_processor_mode: 1
  - .args:
      - .offset:         0
        .size:           4
        .value_kind:     by_value
      - .offset:         4
        .size:           4
        .value_kind:     by_value
      - .offset:         8
        .size:           4
        .value_kind:     by_value
      - .offset:         12
        .size:           4
        .value_kind:     by_value
      - .address_space:  global
        .offset:         16
        .size:           8
        .value_kind:     global_buffer
      - .offset:         24
        .size:           8
        .value_kind:     by_value
      - .address_space:  global
        .offset:         32
        .size:           8
        .value_kind:     global_buffer
      - .offset:         40
        .size:           8
        .value_kind:     by_value
      - .offset:         48
        .size:           8
        .value_kind:     by_value
      - .address_space:  global
        .offset:         56
        .size:           8
        .value_kind:     global_buffer
      - .offset:         64
        .size:           8
        .value_kind:     by_value
      - .offset:         72
        .size:           8
        .value_kind:     by_value
      - .address_space:  global
        .offset:         80
        .size:           8
        .value_kind:     global_buffer
      - .offset:         88
        .size:           8
        .value_kind:     by_value
      - .offset:         96
        .size:           8
        .value_kind:     by_value
      - .offset:         104
        .size:           4
        .value_kind:     by_value
    .group_segment_fixed_size: 16384
    .kernarg_segment_align: 8
    .kernarg_segment_size: 108
    .language:       OpenCL C
    .language_version:
      - 2
      - 0
    .max_flat_workgroup_size: 1024
    .name:           _ZL23rocblas_trmm_lTx_kernelILi32ELb1EdPKdS0_dEv13rocblas_fill_17rocblas_diagonal_iiT2_lPT3_llS6_llPT4_lli
    .private_segment_fixed_size: 0
    .sgpr_count:     34
    .sgpr_spill_count: 0
    .symbol:         _ZL23rocblas_trmm_lTx_kernelILi32ELb1EdPKdS0_dEv13rocblas_fill_17rocblas_diagonal_iiT2_lPT3_llS6_llPT4_lli.kd
    .uniform_work_group_size: 1
    .uses_dynamic_stack: false
    .vgpr_count:     18
    .vgpr_spill_count: 0
    .wavefront_size: 32
    .workgroup_processor_mode: 1
  - .args:
      - .offset:         0
        .size:           4
        .value_kind:     by_value
      - .offset:         4
        .size:           4
        .value_kind:     by_value
      - .offset:         8
        .size:           4
        .value_kind:     by_value
      - .offset:         12
        .size:           4
        .value_kind:     by_value
      - .offset:         16
        .size:           8
        .value_kind:     by_value
      - .offset:         24
        .size:           8
        .value_kind:     by_value
      - .address_space:  global
        .offset:         32
        .size:           8
        .value_kind:     global_buffer
      - .offset:         40
        .size:           8
        .value_kind:     by_value
      - .offset:         48
        .size:           8
        .value_kind:     by_value
      - .address_space:  global
        .offset:         56
        .size:           8
        .value_kind:     global_buffer
      - .offset:         64
        .size:           8
        .value_kind:     by_value
      - .offset:         72
        .size:           8
        .value_kind:     by_value
      - .address_space:  global
        .offset:         80
        .size:           8
        .value_kind:     global_buffer
      - .offset:         88
        .size:           8
        .value_kind:     by_value
      - .offset:         96
        .size:           8
        .value_kind:     by_value
      - .offset:         104
        .size:           4
        .value_kind:     by_value
    .group_segment_fixed_size: 16384
    .kernarg_segment_align: 8
    .kernarg_segment_size: 108
    .language:       OpenCL C
    .language_version:
      - 2
      - 0
    .max_flat_workgroup_size: 1024
    .name:           _ZL23rocblas_trmm_lTx_kernelILi32ELb1EddKddEv13rocblas_fill_17rocblas_diagonal_iiT2_lPT3_llS5_llPT4_lli
    .private_segment_fixed_size: 0
    .sgpr_count:     34
    .sgpr_spill_count: 0
    .symbol:         _ZL23rocblas_trmm_lTx_kernelILi32ELb1EddKddEv13rocblas_fill_17rocblas_diagonal_iiT2_lPT3_llS5_llPT4_lli.kd
    .uniform_work_group_size: 1
    .uses_dynamic_stack: false
    .vgpr_count:     18
    .vgpr_spill_count: 0
    .wavefront_size: 32
    .workgroup_processor_mode: 1
  - .args:
      - .offset:         0
        .size:           4
        .value_kind:     by_value
      - .offset:         4
        .size:           4
        .value_kind:     by_value
      - .offset:         8
        .size:           4
        .value_kind:     by_value
      - .offset:         12
        .size:           4
        .value_kind:     by_value
      - .address_space:  global
        .offset:         16
        .size:           8
        .value_kind:     global_buffer
      - .offset:         24
        .size:           8
        .value_kind:     by_value
      - .address_space:  global
        .offset:         32
        .size:           8
        .value_kind:     global_buffer
      - .offset:         40
        .size:           8
        .value_kind:     by_value
      - .offset:         48
        .size:           8
        .value_kind:     by_value
      - .address_space:  global
        .offset:         56
        .size:           8
        .value_kind:     global_buffer
      - .offset:         64
        .size:           8
        .value_kind:     by_value
      - .offset:         72
        .size:           8
        .value_kind:     by_value
      - .address_space:  global
        .offset:         80
        .size:           8
        .value_kind:     global_buffer
      - .offset:         88
        .size:           8
        .value_kind:     by_value
      - .offset:         96
        .size:           8
        .value_kind:     by_value
      - .offset:         104
        .size:           4
        .value_kind:     by_value
    .group_segment_fixed_size: 16384
    .kernarg_segment_align: 8
    .kernarg_segment_size: 108
    .language:       OpenCL C
    .language_version:
      - 2
      - 0
    .max_flat_workgroup_size: 1024
    .name:           _ZL23rocblas_trmm_rNx_kernelILi32EdPKdS0_dEv13rocblas_fill_17rocblas_diagonal_iiT1_lPT2_llS6_llPT3_lli
    .private_segment_fixed_size: 0
    .sgpr_count:     34
    .sgpr_spill_count: 0
    .symbol:         _ZL23rocblas_trmm_rNx_kernelILi32EdPKdS0_dEv13rocblas_fill_17rocblas_diagonal_iiT1_lPT2_llS6_llPT3_lli.kd
    .uniform_work_group_size: 1
    .uses_dynamic_stack: false
    .vgpr_count:     18
    .vgpr_spill_count: 0
    .wavefront_size: 32
    .workgroup_processor_mode: 1
  - .args:
      - .offset:         0
        .size:           4
        .value_kind:     by_value
      - .offset:         4
        .size:           4
        .value_kind:     by_value
      - .offset:         8
        .size:           4
        .value_kind:     by_value
      - .offset:         12
        .size:           4
        .value_kind:     by_value
      - .offset:         16
        .size:           8
        .value_kind:     by_value
      - .offset:         24
        .size:           8
        .value_kind:     by_value
      - .address_space:  global
        .offset:         32
        .size:           8
        .value_kind:     global_buffer
      - .offset:         40
        .size:           8
        .value_kind:     by_value
      - .offset:         48
        .size:           8
        .value_kind:     by_value
      - .address_space:  global
        .offset:         56
        .size:           8
        .value_kind:     global_buffer
      - .offset:         64
        .size:           8
        .value_kind:     by_value
      - .offset:         72
        .size:           8
        .value_kind:     by_value
      - .address_space:  global
        .offset:         80
        .size:           8
        .value_kind:     global_buffer
      - .offset:         88
        .size:           8
        .value_kind:     by_value
      - .offset:         96
        .size:           8
        .value_kind:     by_value
      - .offset:         104
        .size:           4
        .value_kind:     by_value
    .group_segment_fixed_size: 16384
    .kernarg_segment_align: 8
    .kernarg_segment_size: 108
    .language:       OpenCL C
    .language_version:
      - 2
      - 0
    .max_flat_workgroup_size: 1024
    .name:           _ZL23rocblas_trmm_rNx_kernelILi32EddKddEv13rocblas_fill_17rocblas_diagonal_iiT1_lPT2_llS5_llPT3_lli
    .private_segment_fixed_size: 0
    .sgpr_count:     34
    .sgpr_spill_count: 0
    .symbol:         _ZL23rocblas_trmm_rNx_kernelILi32EddKddEv13rocblas_fill_17rocblas_diagonal_iiT1_lPT2_llS5_llPT3_lli.kd
    .uniform_work_group_size: 1
    .uses_dynamic_stack: false
    .vgpr_count:     18
    .vgpr_spill_count: 0
    .wavefront_size: 32
    .workgroup_processor_mode: 1
  - .args:
      - .offset:         0
        .size:           4
        .value_kind:     by_value
      - .offset:         4
        .size:           4
        .value_kind:     by_value
      - .offset:         8
        .size:           4
        .value_kind:     by_value
      - .offset:         12
        .size:           4
        .value_kind:     by_value
      - .address_space:  global
        .offset:         16
        .size:           8
        .value_kind:     global_buffer
      - .offset:         24
        .size:           8
        .value_kind:     by_value
      - .address_space:  global
        .offset:         32
        .size:           8
        .value_kind:     global_buffer
      - .offset:         40
        .size:           8
        .value_kind:     by_value
      - .offset:         48
        .size:           8
        .value_kind:     by_value
      - .address_space:  global
        .offset:         56
        .size:           8
        .value_kind:     global_buffer
      - .offset:         64
        .size:           8
        .value_kind:     by_value
      - .offset:         72
        .size:           8
        .value_kind:     by_value
      - .address_space:  global
        .offset:         80
        .size:           8
        .value_kind:     global_buffer
      - .offset:         88
        .size:           8
        .value_kind:     by_value
      - .offset:         96
        .size:           8
        .value_kind:     by_value
      - .offset:         104
        .size:           4
        .value_kind:     by_value
    .group_segment_fixed_size: 16384
    .kernarg_segment_align: 8
    .kernarg_segment_size: 108
    .language:       OpenCL C
    .language_version:
      - 2
      - 0
    .max_flat_workgroup_size: 1024
    .name:           _ZL23rocblas_trmm_rTx_kernelILi32ELb0EdPKdS0_dEv13rocblas_fill_17rocblas_diagonal_iiT2_lPT3_llS6_llPT4_lli
    .private_segment_fixed_size: 0
    .sgpr_count:     34
    .sgpr_spill_count: 0
    .symbol:         _ZL23rocblas_trmm_rTx_kernelILi32ELb0EdPKdS0_dEv13rocblas_fill_17rocblas_diagonal_iiT2_lPT3_llS6_llPT4_lli.kd
    .uniform_work_group_size: 1
    .uses_dynamic_stack: false
    .vgpr_count:     15
    .vgpr_spill_count: 0
    .wavefront_size: 32
    .workgroup_processor_mode: 1
  - .args:
      - .offset:         0
        .size:           4
        .value_kind:     by_value
      - .offset:         4
        .size:           4
        .value_kind:     by_value
      - .offset:         8
        .size:           4
        .value_kind:     by_value
      - .offset:         12
        .size:           4
        .value_kind:     by_value
      - .offset:         16
        .size:           8
        .value_kind:     by_value
      - .offset:         24
        .size:           8
        .value_kind:     by_value
      - .address_space:  global
        .offset:         32
        .size:           8
        .value_kind:     global_buffer
      - .offset:         40
        .size:           8
        .value_kind:     by_value
      - .offset:         48
        .size:           8
        .value_kind:     by_value
      - .address_space:  global
        .offset:         56
        .size:           8
        .value_kind:     global_buffer
      - .offset:         64
        .size:           8
        .value_kind:     by_value
      - .offset:         72
        .size:           8
        .value_kind:     by_value
      - .address_space:  global
        .offset:         80
        .size:           8
        .value_kind:     global_buffer
      - .offset:         88
        .size:           8
        .value_kind:     by_value
      - .offset:         96
        .size:           8
        .value_kind:     by_value
      - .offset:         104
        .size:           4
        .value_kind:     by_value
    .group_segment_fixed_size: 16384
    .kernarg_segment_align: 8
    .kernarg_segment_size: 108
    .language:       OpenCL C
    .language_version:
      - 2
      - 0
    .max_flat_workgroup_size: 1024
    .name:           _ZL23rocblas_trmm_rTx_kernelILi32ELb0EddKddEv13rocblas_fill_17rocblas_diagonal_iiT2_lPT3_llS5_llPT4_lli
    .private_segment_fixed_size: 0
    .sgpr_count:     34
    .sgpr_spill_count: 0
    .symbol:         _ZL23rocblas_trmm_rTx_kernelILi32ELb0EddKddEv13rocblas_fill_17rocblas_diagonal_iiT2_lPT3_llS5_llPT4_lli.kd
    .uniform_work_group_size: 1
    .uses_dynamic_stack: false
    .vgpr_count:     15
    .vgpr_spill_count: 0
    .wavefront_size: 32
    .workgroup_processor_mode: 1
  - .args:
      - .offset:         0
        .size:           4
        .value_kind:     by_value
      - .offset:         4
        .size:           4
        .value_kind:     by_value
      - .offset:         8
        .size:           4
        .value_kind:     by_value
      - .offset:         12
        .size:           4
        .value_kind:     by_value
      - .address_space:  global
        .offset:         16
        .size:           8
        .value_kind:     global_buffer
      - .offset:         24
        .size:           8
        .value_kind:     by_value
      - .address_space:  global
        .offset:         32
        .size:           8
        .value_kind:     global_buffer
      - .offset:         40
        .size:           8
        .value_kind:     by_value
      - .offset:         48
        .size:           8
        .value_kind:     by_value
      - .address_space:  global
        .offset:         56
        .size:           8
        .value_kind:     global_buffer
      - .offset:         64
        .size:           8
        .value_kind:     by_value
      - .offset:         72
        .size:           8
        .value_kind:     by_value
      - .address_space:  global
        .offset:         80
        .size:           8
        .value_kind:     global_buffer
      - .offset:         88
        .size:           8
        .value_kind:     by_value
      - .offset:         96
        .size:           8
        .value_kind:     by_value
      - .offset:         104
        .size:           4
        .value_kind:     by_value
    .group_segment_fixed_size: 16384
    .kernarg_segment_align: 8
    .kernarg_segment_size: 108
    .language:       OpenCL C
    .language_version:
      - 2
      - 0
    .max_flat_workgroup_size: 1024
    .name:           _ZL23rocblas_trmm_rTx_kernelILi32ELb1EdPKdS0_dEv13rocblas_fill_17rocblas_diagonal_iiT2_lPT3_llS6_llPT4_lli
    .private_segment_fixed_size: 0
    .sgpr_count:     34
    .sgpr_spill_count: 0
    .symbol:         _ZL23rocblas_trmm_rTx_kernelILi32ELb1EdPKdS0_dEv13rocblas_fill_17rocblas_diagonal_iiT2_lPT3_llS6_llPT4_lli.kd
    .uniform_work_group_size: 1
    .uses_dynamic_stack: false
    .vgpr_count:     15
    .vgpr_spill_count: 0
    .wavefront_size: 32
    .workgroup_processor_mode: 1
  - .args:
      - .offset:         0
        .size:           4
        .value_kind:     by_value
      - .offset:         4
        .size:           4
        .value_kind:     by_value
      - .offset:         8
        .size:           4
        .value_kind:     by_value
      - .offset:         12
        .size:           4
        .value_kind:     by_value
      - .offset:         16
        .size:           8
        .value_kind:     by_value
      - .offset:         24
        .size:           8
        .value_kind:     by_value
      - .address_space:  global
        .offset:         32
        .size:           8
        .value_kind:     global_buffer
      - .offset:         40
        .size:           8
        .value_kind:     by_value
      - .offset:         48
        .size:           8
        .value_kind:     by_value
      - .address_space:  global
        .offset:         56
        .size:           8
        .value_kind:     global_buffer
      - .offset:         64
        .size:           8
        .value_kind:     by_value
      - .offset:         72
        .size:           8
        .value_kind:     by_value
      - .address_space:  global
        .offset:         80
        .size:           8
        .value_kind:     global_buffer
      - .offset:         88
        .size:           8
        .value_kind:     by_value
      - .offset:         96
        .size:           8
        .value_kind:     by_value
      - .offset:         104
        .size:           4
        .value_kind:     by_value
    .group_segment_fixed_size: 16384
    .kernarg_segment_align: 8
    .kernarg_segment_size: 108
    .language:       OpenCL C
    .language_version:
      - 2
      - 0
    .max_flat_workgroup_size: 1024
    .name:           _ZL23rocblas_trmm_rTx_kernelILi32ELb1EddKddEv13rocblas_fill_17rocblas_diagonal_iiT2_lPT3_llS5_llPT4_lli
    .private_segment_fixed_size: 0
    .sgpr_count:     34
    .sgpr_spill_count: 0
    .symbol:         _ZL23rocblas_trmm_rTx_kernelILi32ELb1EddKddEv13rocblas_fill_17rocblas_diagonal_iiT2_lPT3_llS5_llPT4_lli.kd
    .uniform_work_group_size: 1
    .uses_dynamic_stack: false
    .vgpr_count:     15
    .vgpr_spill_count: 0
    .wavefront_size: 32
    .workgroup_processor_mode: 1
  - .args:
      - .offset:         0
        .size:           4
        .value_kind:     by_value
      - .offset:         4
        .size:           4
        .value_kind:     by_value
      - .offset:         8
        .size:           4
        .value_kind:     by_value
      - .address_space:  global
        .offset:         16
        .size:           8
        .value_kind:     global_buffer
      - .offset:         24
        .size:           8
        .value_kind:     by_value
      - .address_space:  global
        .offset:         32
        .size:           8
        .value_kind:     global_buffer
      - .offset:         40
        .size:           8
        .value_kind:     by_value
      - .offset:         48
        .size:           8
        .value_kind:     by_value
      - .offset:         56
        .size:           8
        .value_kind:     by_value
      - .address_space:  global
        .offset:         64
        .size:           8
        .value_kind:     global_buffer
      - .offset:         72
        .size:           8
        .value_kind:     by_value
      - .offset:         80
        .size:           8
        .value_kind:     by_value
      - .offset:         88
        .size:           8
        .value_kind:     by_value
      - .address_space:  global
        .offset:         96
        .size:           8
        .value_kind:     global_buffer
      - .offset:         104
        .size:           8
        .value_kind:     by_value
      - .offset:         112
        .size:           8
        .value_kind:     by_value
      - .offset:         120
        .size:           8
        .value_kind:     by_value
      - .offset:         128
        .size:           4
        .value_kind:     by_value
      - .offset:         136
        .size:           4
        .value_kind:     hidden_block_count_x
      - .offset:         140
        .size:           4
        .value_kind:     hidden_block_count_y
      - .offset:         144
        .size:           4
        .value_kind:     hidden_block_count_z
      - .offset:         148
        .size:           2
        .value_kind:     hidden_group_size_x
      - .offset:         150
        .size:           2
        .value_kind:     hidden_group_size_y
      - .offset:         152
        .size:           2
        .value_kind:     hidden_group_size_z
      - .offset:         154
        .size:           2
        .value_kind:     hidden_remainder_x
      - .offset:         156
        .size:           2
        .value_kind:     hidden_remainder_y
      - .offset:         158
        .size:           2
        .value_kind:     hidden_remainder_z
      - .offset:         176
        .size:           8
        .value_kind:     hidden_global_offset_x
      - .offset:         184
        .size:           8
        .value_kind:     hidden_global_offset_y
      - .offset:         192
        .size:           8
        .value_kind:     hidden_global_offset_z
      - .offset:         200
        .size:           2
        .value_kind:     hidden_grid_dims
    .group_segment_fixed_size: 16384
    .kernarg_segment_align: 8
    .kernarg_segment_size: 392
    .language:       OpenCL C
    .language_version:
      - 2
      - 0
    .max_flat_workgroup_size: 1024
    .name:           _ZL30rocblas_trmm_outofplace_kernelI19rocblas_complex_numIfELi32ELi2ELb1ELb0ELb0ELb0EPKS1_S2_S1_Ev17rocblas_diagonal_iiT6_lPT7_lllS7_lllPT8_llli
    .private_segment_fixed_size: 0
    .sgpr_count:     48
    .sgpr_spill_count: 0
    .symbol:         _ZL30rocblas_trmm_outofplace_kernelI19rocblas_complex_numIfELi32ELi2ELb1ELb0ELb0ELb0EPKS1_S2_S1_Ev17rocblas_diagonal_iiT6_lPT7_lllS7_lllPT8_llli.kd
    .uniform_work_group_size: 1
    .uses_dynamic_stack: false
    .vgpr_count:     85
    .vgpr_spill_count: 0
    .wavefront_size: 32
    .workgroup_processor_mode: 1
  - .args:
      - .offset:         0
        .size:           4
        .value_kind:     by_value
      - .offset:         4
        .size:           4
        .value_kind:     by_value
      - .offset:         8
        .size:           4
        .value_kind:     by_value
      - .offset:         12
        .size:           8
        .value_kind:     by_value
      - .offset:         24
        .size:           8
        .value_kind:     by_value
      - .address_space:  global
        .offset:         32
        .size:           8
        .value_kind:     global_buffer
      - .offset:         40
        .size:           8
        .value_kind:     by_value
      - .offset:         48
        .size:           8
        .value_kind:     by_value
      - .offset:         56
        .size:           8
        .value_kind:     by_value
      - .address_space:  global
        .offset:         64
        .size:           8
        .value_kind:     global_buffer
      - .offset:         72
        .size:           8
        .value_kind:     by_value
      - .offset:         80
        .size:           8
        .value_kind:     by_value
      - .offset:         88
        .size:           8
        .value_kind:     by_value
      - .address_space:  global
        .offset:         96
        .size:           8
        .value_kind:     global_buffer
      - .offset:         104
        .size:           8
        .value_kind:     by_value
      - .offset:         112
        .size:           8
        .value_kind:     by_value
      - .offset:         120
        .size:           8
        .value_kind:     by_value
      - .offset:         128
        .size:           4
        .value_kind:     by_value
      - .offset:         136
        .size:           4
        .value_kind:     hidden_block_count_x
      - .offset:         140
        .size:           4
        .value_kind:     hidden_block_count_y
      - .offset:         144
        .size:           4
        .value_kind:     hidden_block_count_z
      - .offset:         148
        .size:           2
        .value_kind:     hidden_group_size_x
      - .offset:         150
        .size:           2
        .value_kind:     hidden_group_size_y
      - .offset:         152
        .size:           2
        .value_kind:     hidden_group_size_z
      - .offset:         154
        .size:           2
        .value_kind:     hidden_remainder_x
      - .offset:         156
        .size:           2
        .value_kind:     hidden_remainder_y
      - .offset:         158
        .size:           2
        .value_kind:     hidden_remainder_z
      - .offset:         176
        .size:           8
        .value_kind:     hidden_global_offset_x
      - .offset:         184
        .size:           8
        .value_kind:     hidden_global_offset_y
      - .offset:         192
        .size:           8
        .value_kind:     hidden_global_offset_z
      - .offset:         200
        .size:           2
        .value_kind:     hidden_grid_dims
    .group_segment_fixed_size: 16384
    .kernarg_segment_align: 8
    .kernarg_segment_size: 392
    .language:       OpenCL C
    .language_version:
      - 2
      - 0
    .max_flat_workgroup_size: 1024
    .name:           _ZL30rocblas_trmm_outofplace_kernelI19rocblas_complex_numIfELi32ELi2ELb1ELb0ELb0ELb0ES1_KS1_S1_Ev17rocblas_diagonal_iiT6_lPT7_lllS6_lllPT8_llli
    .private_segment_fixed_size: 0
    .sgpr_count:     47
    .sgpr_spill_count: 0
    .symbol:         _ZL30rocblas_trmm_outofplace_kernelI19rocblas_complex_numIfELi32ELi2ELb1ELb0ELb0ELb0ES1_KS1_S1_Ev17rocblas_diagonal_iiT6_lPT7_lllS6_lllPT8_llli.kd
    .uniform_work_group_size: 1
    .uses_dynamic_stack: false
    .vgpr_count:     85
    .vgpr_spill_count: 0
    .wavefront_size: 32
    .workgroup_processor_mode: 1
  - .args:
      - .offset:         0
        .size:           4
        .value_kind:     by_value
      - .offset:         4
        .size:           4
        .value_kind:     by_value
      - .offset:         8
        .size:           4
        .value_kind:     by_value
      - .address_space:  global
        .offset:         16
        .size:           8
        .value_kind:     global_buffer
      - .offset:         24
        .size:           8
        .value_kind:     by_value
      - .address_space:  global
        .offset:         32
        .size:           8
        .value_kind:     global_buffer
      - .offset:         40
        .size:           8
        .value_kind:     by_value
      - .offset:         48
        .size:           8
        .value_kind:     by_value
      - .offset:         56
        .size:           8
        .value_kind:     by_value
      - .address_space:  global
        .offset:         64
        .size:           8
        .value_kind:     global_buffer
      - .offset:         72
        .size:           8
        .value_kind:     by_value
      - .offset:         80
        .size:           8
        .value_kind:     by_value
      - .offset:         88
        .size:           8
        .value_kind:     by_value
      - .address_space:  global
        .offset:         96
        .size:           8
        .value_kind:     global_buffer
      - .offset:         104
        .size:           8
        .value_kind:     by_value
      - .offset:         112
        .size:           8
        .value_kind:     by_value
      - .offset:         120
        .size:           8
        .value_kind:     by_value
      - .offset:         128
        .size:           4
        .value_kind:     by_value
      - .offset:         136
        .size:           4
        .value_kind:     hidden_block_count_x
      - .offset:         140
        .size:           4
        .value_kind:     hidden_block_count_y
      - .offset:         144
        .size:           4
        .value_kind:     hidden_block_count_z
      - .offset:         148
        .size:           2
        .value_kind:     hidden_group_size_x
      - .offset:         150
        .size:           2
        .value_kind:     hidden_group_size_y
      - .offset:         152
        .size:           2
        .value_kind:     hidden_group_size_z
      - .offset:         154
        .size:           2
        .value_kind:     hidden_remainder_x
      - .offset:         156
        .size:           2
        .value_kind:     hidden_remainder_y
      - .offset:         158
        .size:           2
        .value_kind:     hidden_remainder_z
      - .offset:         176
        .size:           8
        .value_kind:     hidden_global_offset_x
      - .offset:         184
        .size:           8
        .value_kind:     hidden_global_offset_y
      - .offset:         192
        .size:           8
        .value_kind:     hidden_global_offset_z
      - .offset:         200
        .size:           2
        .value_kind:     hidden_grid_dims
    .group_segment_fixed_size: 16384
    .kernarg_segment_align: 8
    .kernarg_segment_size: 392
    .language:       OpenCL C
    .language_version:
      - 2
      - 0
    .max_flat_workgroup_size: 1024
    .name:           _ZL30rocblas_trmm_outofplace_kernelI19rocblas_complex_numIfELi32ELi2ELb1ELb1ELb0ELb0EPKS1_S2_S1_Ev17rocblas_diagonal_iiT6_lPT7_lllS7_lllPT8_llli
    .private_segment_fixed_size: 0
    .sgpr_count:     48
    .sgpr_spill_count: 0
    .symbol:         _ZL30rocblas_trmm_outofplace_kernelI19rocblas_complex_numIfELi32ELi2ELb1ELb1ELb0ELb0EPKS1_S2_S1_Ev17rocblas_diagonal_iiT6_lPT7_lllS7_lllPT8_llli.kd
    .uniform_work_group_size: 1
    .uses_dynamic_stack: false
    .vgpr_count:     84
    .vgpr_spill_count: 0
    .wavefront_size: 32
    .workgroup_processor_mode: 1
  - .args:
      - .offset:         0
        .size:           4
        .value_kind:     by_value
      - .offset:         4
        .size:           4
        .value_kind:     by_value
      - .offset:         8
        .size:           4
        .value_kind:     by_value
      - .offset:         12
        .size:           8
        .value_kind:     by_value
      - .offset:         24
        .size:           8
        .value_kind:     by_value
      - .address_space:  global
        .offset:         32
        .size:           8
        .value_kind:     global_buffer
      - .offset:         40
        .size:           8
        .value_kind:     by_value
      - .offset:         48
        .size:           8
        .value_kind:     by_value
      - .offset:         56
        .size:           8
        .value_kind:     by_value
      - .address_space:  global
        .offset:         64
        .size:           8
        .value_kind:     global_buffer
      - .offset:         72
        .size:           8
        .value_kind:     by_value
      - .offset:         80
        .size:           8
        .value_kind:     by_value
      - .offset:         88
        .size:           8
        .value_kind:     by_value
      - .address_space:  global
        .offset:         96
        .size:           8
        .value_kind:     global_buffer
      - .offset:         104
        .size:           8
        .value_kind:     by_value
      - .offset:         112
        .size:           8
        .value_kind:     by_value
      - .offset:         120
        .size:           8
        .value_kind:     by_value
      - .offset:         128
        .size:           4
        .value_kind:     by_value
      - .offset:         136
        .size:           4
        .value_kind:     hidden_block_count_x
      - .offset:         140
        .size:           4
        .value_kind:     hidden_block_count_y
      - .offset:         144
        .size:           4
        .value_kind:     hidden_block_count_z
      - .offset:         148
        .size:           2
        .value_kind:     hidden_group_size_x
      - .offset:         150
        .size:           2
        .value_kind:     hidden_group_size_y
      - .offset:         152
        .size:           2
        .value_kind:     hidden_group_size_z
      - .offset:         154
        .size:           2
        .value_kind:     hidden_remainder_x
      - .offset:         156
        .size:           2
        .value_kind:     hidden_remainder_y
      - .offset:         158
        .size:           2
        .value_kind:     hidden_remainder_z
      - .offset:         176
        .size:           8
        .value_kind:     hidden_global_offset_x
      - .offset:         184
        .size:           8
        .value_kind:     hidden_global_offset_y
      - .offset:         192
        .size:           8
        .value_kind:     hidden_global_offset_z
      - .offset:         200
        .size:           2
        .value_kind:     hidden_grid_dims
    .group_segment_fixed_size: 16384
    .kernarg_segment_align: 8
    .kernarg_segment_size: 392
    .language:       OpenCL C
    .language_version:
      - 2
      - 0
    .max_flat_workgroup_size: 1024
    .name:           _ZL30rocblas_trmm_outofplace_kernelI19rocblas_complex_numIfELi32ELi2ELb1ELb1ELb0ELb0ES1_KS1_S1_Ev17rocblas_diagonal_iiT6_lPT7_lllS6_lllPT8_llli
    .private_segment_fixed_size: 0
    .sgpr_count:     48
    .sgpr_spill_count: 0
    .symbol:         _ZL30rocblas_trmm_outofplace_kernelI19rocblas_complex_numIfELi32ELi2ELb1ELb1ELb0ELb0ES1_KS1_S1_Ev17rocblas_diagonal_iiT6_lPT7_lllS6_lllPT8_llli.kd
    .uniform_work_group_size: 1
    .uses_dynamic_stack: false
    .vgpr_count:     84
    .vgpr_spill_count: 0
    .wavefront_size: 32
    .workgroup_processor_mode: 1
  - .args:
      - .offset:         0
        .size:           4
        .value_kind:     by_value
      - .offset:         4
        .size:           4
        .value_kind:     by_value
      - .offset:         8
        .size:           4
        .value_kind:     by_value
      - .address_space:  global
        .offset:         16
        .size:           8
        .value_kind:     global_buffer
      - .offset:         24
        .size:           8
        .value_kind:     by_value
      - .address_space:  global
        .offset:         32
        .size:           8
        .value_kind:     global_buffer
      - .offset:         40
        .size:           8
        .value_kind:     by_value
      - .offset:         48
        .size:           8
        .value_kind:     by_value
      - .offset:         56
        .size:           8
        .value_kind:     by_value
      - .address_space:  global
        .offset:         64
        .size:           8
        .value_kind:     global_buffer
      - .offset:         72
        .size:           8
        .value_kind:     by_value
      - .offset:         80
        .size:           8
        .value_kind:     by_value
      - .offset:         88
        .size:           8
        .value_kind:     by_value
      - .address_space:  global
        .offset:         96
        .size:           8
        .value_kind:     global_buffer
      - .offset:         104
        .size:           8
        .value_kind:     by_value
      - .offset:         112
        .size:           8
        .value_kind:     by_value
      - .offset:         120
        .size:           8
        .value_kind:     by_value
      - .offset:         128
        .size:           4
        .value_kind:     by_value
      - .offset:         136
        .size:           4
        .value_kind:     hidden_block_count_x
      - .offset:         140
        .size:           4
        .value_kind:     hidden_block_count_y
      - .offset:         144
        .size:           4
        .value_kind:     hidden_block_count_z
      - .offset:         148
        .size:           2
        .value_kind:     hidden_group_size_x
      - .offset:         150
        .size:           2
        .value_kind:     hidden_group_size_y
      - .offset:         152
        .size:           2
        .value_kind:     hidden_group_size_z
      - .offset:         154
        .size:           2
        .value_kind:     hidden_remainder_x
      - .offset:         156
        .size:           2
        .value_kind:     hidden_remainder_y
      - .offset:         158
        .size:           2
        .value_kind:     hidden_remainder_z
      - .offset:         176
        .size:           8
        .value_kind:     hidden_global_offset_x
      - .offset:         184
        .size:           8
        .value_kind:     hidden_global_offset_y
      - .offset:         192
        .size:           8
        .value_kind:     hidden_global_offset_z
      - .offset:         200
        .size:           2
        .value_kind:     hidden_grid_dims
    .group_segment_fixed_size: 16384
    .kernarg_segment_align: 8
    .kernarg_segment_size: 392
    .language:       OpenCL C
    .language_version:
      - 2
      - 0
    .max_flat_workgroup_size: 1024
    .name:           _ZL30rocblas_trmm_outofplace_kernelI19rocblas_complex_numIfELi32ELi2ELb1ELb0ELb1ELb0EPKS1_S2_S1_Ev17rocblas_diagonal_iiT6_lPT7_lllS7_lllPT8_llli
    .private_segment_fixed_size: 0
    .sgpr_count:     46
    .sgpr_spill_count: 0
    .symbol:         _ZL30rocblas_trmm_outofplace_kernelI19rocblas_complex_numIfELi32ELi2ELb1ELb0ELb1ELb0EPKS1_S2_S1_Ev17rocblas_diagonal_iiT6_lPT7_lllS7_lllPT8_llli.kd
    .uniform_work_group_size: 1
    .uses_dynamic_stack: false
    .vgpr_count:     82
    .vgpr_spill_count: 0
    .wavefront_size: 32
    .workgroup_processor_mode: 1
  - .args:
      - .offset:         0
        .size:           4
        .value_kind:     by_value
      - .offset:         4
        .size:           4
        .value_kind:     by_value
      - .offset:         8
        .size:           4
        .value_kind:     by_value
      - .offset:         12
        .size:           8
        .value_kind:     by_value
      - .offset:         24
        .size:           8
        .value_kind:     by_value
      - .address_space:  global
        .offset:         32
        .size:           8
        .value_kind:     global_buffer
      - .offset:         40
        .size:           8
        .value_kind:     by_value
      - .offset:         48
        .size:           8
        .value_kind:     by_value
      - .offset:         56
        .size:           8
        .value_kind:     by_value
      - .address_space:  global
        .offset:         64
        .size:           8
        .value_kind:     global_buffer
      - .offset:         72
        .size:           8
        .value_kind:     by_value
      - .offset:         80
        .size:           8
        .value_kind:     by_value
      - .offset:         88
        .size:           8
        .value_kind:     by_value
      - .address_space:  global
        .offset:         96
        .size:           8
        .value_kind:     global_buffer
      - .offset:         104
        .size:           8
        .value_kind:     by_value
      - .offset:         112
        .size:           8
        .value_kind:     by_value
      - .offset:         120
        .size:           8
        .value_kind:     by_value
      - .offset:         128
        .size:           4
        .value_kind:     by_value
      - .offset:         136
        .size:           4
        .value_kind:     hidden_block_count_x
      - .offset:         140
        .size:           4
        .value_kind:     hidden_block_count_y
      - .offset:         144
        .size:           4
        .value_kind:     hidden_block_count_z
      - .offset:         148
        .size:           2
        .value_kind:     hidden_group_size_x
      - .offset:         150
        .size:           2
        .value_kind:     hidden_group_size_y
      - .offset:         152
        .size:           2
        .value_kind:     hidden_group_size_z
      - .offset:         154
        .size:           2
        .value_kind:     hidden_remainder_x
      - .offset:         156
        .size:           2
        .value_kind:     hidden_remainder_y
      - .offset:         158
        .size:           2
        .value_kind:     hidden_remainder_z
      - .offset:         176
        .size:           8
        .value_kind:     hidden_global_offset_x
      - .offset:         184
        .size:           8
        .value_kind:     hidden_global_offset_y
      - .offset:         192
        .size:           8
        .value_kind:     hidden_global_offset_z
      - .offset:         200
        .size:           2
        .value_kind:     hidden_grid_dims
    .group_segment_fixed_size: 16384
    .kernarg_segment_align: 8
    .kernarg_segment_size: 392
    .language:       OpenCL C
    .language_version:
      - 2
      - 0
    .max_flat_workgroup_size: 1024
    .name:           _ZL30rocblas_trmm_outofplace_kernelI19rocblas_complex_numIfELi32ELi2ELb1ELb0ELb1ELb0ES1_KS1_S1_Ev17rocblas_diagonal_iiT6_lPT7_lllS6_lllPT8_llli
    .private_segment_fixed_size: 0
    .sgpr_count:     46
    .sgpr_spill_count: 0
    .symbol:         _ZL30rocblas_trmm_outofplace_kernelI19rocblas_complex_numIfELi32ELi2ELb1ELb0ELb1ELb0ES1_KS1_S1_Ev17rocblas_diagonal_iiT6_lPT7_lllS6_lllPT8_llli.kd
    .uniform_work_group_size: 1
    .uses_dynamic_stack: false
    .vgpr_count:     82
    .vgpr_spill_count: 0
    .wavefront_size: 32
    .workgroup_processor_mode: 1
  - .args:
      - .offset:         0
        .size:           4
        .value_kind:     by_value
      - .offset:         4
        .size:           4
        .value_kind:     by_value
      - .offset:         8
        .size:           4
        .value_kind:     by_value
      - .address_space:  global
        .offset:         16
        .size:           8
        .value_kind:     global_buffer
      - .offset:         24
        .size:           8
        .value_kind:     by_value
      - .address_space:  global
        .offset:         32
        .size:           8
        .value_kind:     global_buffer
      - .offset:         40
        .size:           8
        .value_kind:     by_value
      - .offset:         48
        .size:           8
        .value_kind:     by_value
      - .offset:         56
        .size:           8
        .value_kind:     by_value
      - .address_space:  global
        .offset:         64
        .size:           8
        .value_kind:     global_buffer
      - .offset:         72
        .size:           8
        .value_kind:     by_value
      - .offset:         80
        .size:           8
        .value_kind:     by_value
      - .offset:         88
        .size:           8
        .value_kind:     by_value
      - .address_space:  global
        .offset:         96
        .size:           8
        .value_kind:     global_buffer
      - .offset:         104
        .size:           8
        .value_kind:     by_value
      - .offset:         112
        .size:           8
        .value_kind:     by_value
      - .offset:         120
        .size:           8
        .value_kind:     by_value
      - .offset:         128
        .size:           4
        .value_kind:     by_value
      - .offset:         136
        .size:           4
        .value_kind:     hidden_block_count_x
      - .offset:         140
        .size:           4
        .value_kind:     hidden_block_count_y
      - .offset:         144
        .size:           4
        .value_kind:     hidden_block_count_z
      - .offset:         148
        .size:           2
        .value_kind:     hidden_group_size_x
      - .offset:         150
        .size:           2
        .value_kind:     hidden_group_size_y
      - .offset:         152
        .size:           2
        .value_kind:     hidden_group_size_z
      - .offset:         154
        .size:           2
        .value_kind:     hidden_remainder_x
      - .offset:         156
        .size:           2
        .value_kind:     hidden_remainder_y
      - .offset:         158
        .size:           2
        .value_kind:     hidden_remainder_z
      - .offset:         176
        .size:           8
        .value_kind:     hidden_global_offset_x
      - .offset:         184
        .size:           8
        .value_kind:     hidden_global_offset_y
      - .offset:         192
        .size:           8
        .value_kind:     hidden_global_offset_z
      - .offset:         200
        .size:           2
        .value_kind:     hidden_grid_dims
    .group_segment_fixed_size: 16384
    .kernarg_segment_align: 8
    .kernarg_segment_size: 392
    .language:       OpenCL C
    .language_version:
      - 2
      - 0
    .max_flat_workgroup_size: 1024
    .name:           _ZL30rocblas_trmm_outofplace_kernelI19rocblas_complex_numIfELi32ELi2ELb1ELb1ELb1ELb0EPKS1_S2_S1_Ev17rocblas_diagonal_iiT6_lPT7_lllS7_lllPT8_llli
    .private_segment_fixed_size: 0
    .sgpr_count:     46
    .sgpr_spill_count: 0
    .symbol:         _ZL30rocblas_trmm_outofplace_kernelI19rocblas_complex_numIfELi32ELi2ELb1ELb1ELb1ELb0EPKS1_S2_S1_Ev17rocblas_diagonal_iiT6_lPT7_lllS7_lllPT8_llli.kd
    .uniform_work_group_size: 1
    .uses_dynamic_stack: false
    .vgpr_count:     81
    .vgpr_spill_count: 0
    .wavefront_size: 32
    .workgroup_processor_mode: 1
  - .args:
      - .offset:         0
        .size:           4
        .value_kind:     by_value
      - .offset:         4
        .size:           4
        .value_kind:     by_value
      - .offset:         8
        .size:           4
        .value_kind:     by_value
      - .offset:         12
        .size:           8
        .value_kind:     by_value
      - .offset:         24
        .size:           8
        .value_kind:     by_value
      - .address_space:  global
        .offset:         32
        .size:           8
        .value_kind:     global_buffer
      - .offset:         40
        .size:           8
        .value_kind:     by_value
      - .offset:         48
        .size:           8
        .value_kind:     by_value
      - .offset:         56
        .size:           8
        .value_kind:     by_value
      - .address_space:  global
        .offset:         64
        .size:           8
        .value_kind:     global_buffer
      - .offset:         72
        .size:           8
        .value_kind:     by_value
      - .offset:         80
        .size:           8
        .value_kind:     by_value
      - .offset:         88
        .size:           8
        .value_kind:     by_value
      - .address_space:  global
        .offset:         96
        .size:           8
        .value_kind:     global_buffer
      - .offset:         104
        .size:           8
        .value_kind:     by_value
      - .offset:         112
        .size:           8
        .value_kind:     by_value
      - .offset:         120
        .size:           8
        .value_kind:     by_value
      - .offset:         128
        .size:           4
        .value_kind:     by_value
      - .offset:         136
        .size:           4
        .value_kind:     hidden_block_count_x
      - .offset:         140
        .size:           4
        .value_kind:     hidden_block_count_y
      - .offset:         144
        .size:           4
        .value_kind:     hidden_block_count_z
      - .offset:         148
        .size:           2
        .value_kind:     hidden_group_size_x
      - .offset:         150
        .size:           2
        .value_kind:     hidden_group_size_y
      - .offset:         152
        .size:           2
        .value_kind:     hidden_group_size_z
      - .offset:         154
        .size:           2
        .value_kind:     hidden_remainder_x
      - .offset:         156
        .size:           2
        .value_kind:     hidden_remainder_y
      - .offset:         158
        .size:           2
        .value_kind:     hidden_remainder_z
      - .offset:         176
        .size:           8
        .value_kind:     hidden_global_offset_x
      - .offset:         184
        .size:           8
        .value_kind:     hidden_global_offset_y
      - .offset:         192
        .size:           8
        .value_kind:     hidden_global_offset_z
      - .offset:         200
        .size:           2
        .value_kind:     hidden_grid_dims
    .group_segment_fixed_size: 16384
    .kernarg_segment_align: 8
    .kernarg_segment_size: 392
    .language:       OpenCL C
    .language_version:
      - 2
      - 0
    .max_flat_workgroup_size: 1024
    .name:           _ZL30rocblas_trmm_outofplace_kernelI19rocblas_complex_numIfELi32ELi2ELb1ELb1ELb1ELb0ES1_KS1_S1_Ev17rocblas_diagonal_iiT6_lPT7_lllS6_lllPT8_llli
    .private_segment_fixed_size: 0
    .sgpr_count:     46
    .sgpr_spill_count: 0
    .symbol:         _ZL30rocblas_trmm_outofplace_kernelI19rocblas_complex_numIfELi32ELi2ELb1ELb1ELb1ELb0ES1_KS1_S1_Ev17rocblas_diagonal_iiT6_lPT7_lllS6_lllPT8_llli.kd
    .uniform_work_group_size: 1
    .uses_dynamic_stack: false
    .vgpr_count:     81
    .vgpr_spill_count: 0
    .wavefront_size: 32
    .workgroup_processor_mode: 1
  - .args:
      - .offset:         0
        .size:           4
        .value_kind:     by_value
      - .offset:         4
        .size:           4
        .value_kind:     by_value
      - .offset:         8
        .size:           4
        .value_kind:     by_value
      - .address_space:  global
        .offset:         16
        .size:           8
        .value_kind:     global_buffer
      - .offset:         24
        .size:           8
        .value_kind:     by_value
      - .address_space:  global
        .offset:         32
        .size:           8
        .value_kind:     global_buffer
      - .offset:         40
        .size:           8
        .value_kind:     by_value
      - .offset:         48
        .size:           8
        .value_kind:     by_value
      - .offset:         56
        .size:           8
        .value_kind:     by_value
      - .address_space:  global
        .offset:         64
        .size:           8
        .value_kind:     global_buffer
      - .offset:         72
        .size:           8
        .value_kind:     by_value
      - .offset:         80
        .size:           8
        .value_kind:     by_value
      - .offset:         88
        .size:           8
        .value_kind:     by_value
      - .address_space:  global
        .offset:         96
        .size:           8
        .value_kind:     global_buffer
      - .offset:         104
        .size:           8
        .value_kind:     by_value
      - .offset:         112
        .size:           8
        .value_kind:     by_value
      - .offset:         120
        .size:           8
        .value_kind:     by_value
      - .offset:         128
        .size:           4
        .value_kind:     by_value
      - .offset:         136
        .size:           4
        .value_kind:     hidden_block_count_x
      - .offset:         140
        .size:           4
        .value_kind:     hidden_block_count_y
      - .offset:         144
        .size:           4
        .value_kind:     hidden_block_count_z
      - .offset:         148
        .size:           2
        .value_kind:     hidden_group_size_x
      - .offset:         150
        .size:           2
        .value_kind:     hidden_group_size_y
      - .offset:         152
        .size:           2
        .value_kind:     hidden_group_size_z
      - .offset:         154
        .size:           2
        .value_kind:     hidden_remainder_x
      - .offset:         156
        .size:           2
        .value_kind:     hidden_remainder_y
      - .offset:         158
        .size:           2
        .value_kind:     hidden_remainder_z
      - .offset:         176
        .size:           8
        .value_kind:     hidden_global_offset_x
      - .offset:         184
        .size:           8
        .value_kind:     hidden_global_offset_y
      - .offset:         192
        .size:           8
        .value_kind:     hidden_global_offset_z
      - .offset:         200
        .size:           2
        .value_kind:     hidden_grid_dims
    .group_segment_fixed_size: 16384
    .kernarg_segment_align: 8
    .kernarg_segment_size: 392
    .language:       OpenCL C
    .language_version:
      - 2
      - 0
    .max_flat_workgroup_size: 1024
    .name:           _ZL30rocblas_trmm_outofplace_kernelI19rocblas_complex_numIfELi32ELi2ELb1ELb0ELb1ELb1EPKS1_S2_S1_Ev17rocblas_diagonal_iiT6_lPT7_lllS7_lllPT8_llli
    .private_segment_fixed_size: 0
    .sgpr_count:     46
    .sgpr_spill_count: 0
    .symbol:         _ZL30rocblas_trmm_outofplace_kernelI19rocblas_complex_numIfELi32ELi2ELb1ELb0ELb1ELb1EPKS1_S2_S1_Ev17rocblas_diagonal_iiT6_lPT7_lllS7_lllPT8_llli.kd
    .uniform_work_group_size: 1
    .uses_dynamic_stack: false
    .vgpr_count:     82
    .vgpr_spill_count: 0
    .wavefront_size: 32
    .workgroup_processor_mode: 1
  - .args:
      - .offset:         0
        .size:           4
        .value_kind:     by_value
      - .offset:         4
        .size:           4
        .value_kind:     by_value
      - .offset:         8
        .size:           4
        .value_kind:     by_value
      - .offset:         12
        .size:           8
        .value_kind:     by_value
      - .offset:         24
        .size:           8
        .value_kind:     by_value
      - .address_space:  global
        .offset:         32
        .size:           8
        .value_kind:     global_buffer
      - .offset:         40
        .size:           8
        .value_kind:     by_value
      - .offset:         48
        .size:           8
        .value_kind:     by_value
      - .offset:         56
        .size:           8
        .value_kind:     by_value
      - .address_space:  global
        .offset:         64
        .size:           8
        .value_kind:     global_buffer
      - .offset:         72
        .size:           8
        .value_kind:     by_value
      - .offset:         80
        .size:           8
        .value_kind:     by_value
      - .offset:         88
        .size:           8
        .value_kind:     by_value
      - .address_space:  global
        .offset:         96
        .size:           8
        .value_kind:     global_buffer
      - .offset:         104
        .size:           8
        .value_kind:     by_value
      - .offset:         112
        .size:           8
        .value_kind:     by_value
      - .offset:         120
        .size:           8
        .value_kind:     by_value
      - .offset:         128
        .size:           4
        .value_kind:     by_value
      - .offset:         136
        .size:           4
        .value_kind:     hidden_block_count_x
      - .offset:         140
        .size:           4
        .value_kind:     hidden_block_count_y
      - .offset:         144
        .size:           4
        .value_kind:     hidden_block_count_z
      - .offset:         148
        .size:           2
        .value_kind:     hidden_group_size_x
      - .offset:         150
        .size:           2
        .value_kind:     hidden_group_size_y
      - .offset:         152
        .size:           2
        .value_kind:     hidden_group_size_z
      - .offset:         154
        .size:           2
        .value_kind:     hidden_remainder_x
      - .offset:         156
        .size:           2
        .value_kind:     hidden_remainder_y
      - .offset:         158
        .size:           2
        .value_kind:     hidden_remainder_z
      - .offset:         176
        .size:           8
        .value_kind:     hidden_global_offset_x
      - .offset:         184
        .size:           8
        .value_kind:     hidden_global_offset_y
      - .offset:         192
        .size:           8
        .value_kind:     hidden_global_offset_z
      - .offset:         200
        .size:           2
        .value_kind:     hidden_grid_dims
    .group_segment_fixed_size: 16384
    .kernarg_segment_align: 8
    .kernarg_segment_size: 392
    .language:       OpenCL C
    .language_version:
      - 2
      - 0
    .max_flat_workgroup_size: 1024
    .name:           _ZL30rocblas_trmm_outofplace_kernelI19rocblas_complex_numIfELi32ELi2ELb1ELb0ELb1ELb1ES1_KS1_S1_Ev17rocblas_diagonal_iiT6_lPT7_lllS6_lllPT8_llli
    .private_segment_fixed_size: 0
    .sgpr_count:     47
    .sgpr_spill_count: 0
    .symbol:         _ZL30rocblas_trmm_outofplace_kernelI19rocblas_complex_numIfELi32ELi2ELb1ELb0ELb1ELb1ES1_KS1_S1_Ev17rocblas_diagonal_iiT6_lPT7_lllS6_lllPT8_llli.kd
    .uniform_work_group_size: 1
    .uses_dynamic_stack: false
    .vgpr_count:     82
    .vgpr_spill_count: 0
    .wavefront_size: 32
    .workgroup_processor_mode: 1
  - .args:
      - .offset:         0
        .size:           4
        .value_kind:     by_value
      - .offset:         4
        .size:           4
        .value_kind:     by_value
      - .offset:         8
        .size:           4
        .value_kind:     by_value
      - .address_space:  global
        .offset:         16
        .size:           8
        .value_kind:     global_buffer
      - .offset:         24
        .size:           8
        .value_kind:     by_value
      - .address_space:  global
        .offset:         32
        .size:           8
        .value_kind:     global_buffer
      - .offset:         40
        .size:           8
        .value_kind:     by_value
      - .offset:         48
        .size:           8
        .value_kind:     by_value
      - .offset:         56
        .size:           8
        .value_kind:     by_value
      - .address_space:  global
        .offset:         64
        .size:           8
        .value_kind:     global_buffer
      - .offset:         72
        .size:           8
        .value_kind:     by_value
      - .offset:         80
        .size:           8
        .value_kind:     by_value
      - .offset:         88
        .size:           8
        .value_kind:     by_value
      - .address_space:  global
        .offset:         96
        .size:           8
        .value_kind:     global_buffer
      - .offset:         104
        .size:           8
        .value_kind:     by_value
      - .offset:         112
        .size:           8
        .value_kind:     by_value
      - .offset:         120
        .size:           8
        .value_kind:     by_value
      - .offset:         128
        .size:           4
        .value_kind:     by_value
      - .offset:         136
        .size:           4
        .value_kind:     hidden_block_count_x
      - .offset:         140
        .size:           4
        .value_kind:     hidden_block_count_y
      - .offset:         144
        .size:           4
        .value_kind:     hidden_block_count_z
      - .offset:         148
        .size:           2
        .value_kind:     hidden_group_size_x
      - .offset:         150
        .size:           2
        .value_kind:     hidden_group_size_y
      - .offset:         152
        .size:           2
        .value_kind:     hidden_group_size_z
      - .offset:         154
        .size:           2
        .value_kind:     hidden_remainder_x
      - .offset:         156
        .size:           2
        .value_kind:     hidden_remainder_y
      - .offset:         158
        .size:           2
        .value_kind:     hidden_remainder_z
      - .offset:         176
        .size:           8
        .value_kind:     hidden_global_offset_x
      - .offset:         184
        .size:           8
        .value_kind:     hidden_global_offset_y
      - .offset:         192
        .size:           8
        .value_kind:     hidden_global_offset_z
      - .offset:         200
        .size:           2
        .value_kind:     hidden_grid_dims
    .group_segment_fixed_size: 16384
    .kernarg_segment_align: 8
    .kernarg_segment_size: 392
    .language:       OpenCL C
    .language_version:
      - 2
      - 0
    .max_flat_workgroup_size: 1024
    .name:           _ZL30rocblas_trmm_outofplace_kernelI19rocblas_complex_numIfELi32ELi2ELb1ELb1ELb1ELb1EPKS1_S2_S1_Ev17rocblas_diagonal_iiT6_lPT7_lllS7_lllPT8_llli
    .private_segment_fixed_size: 0
    .sgpr_count:     46
    .sgpr_spill_count: 0
    .symbol:         _ZL30rocblas_trmm_outofplace_kernelI19rocblas_complex_numIfELi32ELi2ELb1ELb1ELb1ELb1EPKS1_S2_S1_Ev17rocblas_diagonal_iiT6_lPT7_lllS7_lllPT8_llli.kd
    .uniform_work_group_size: 1
    .uses_dynamic_stack: false
    .vgpr_count:     81
    .vgpr_spill_count: 0
    .wavefront_size: 32
    .workgroup_processor_mode: 1
  - .args:
      - .offset:         0
        .size:           4
        .value_kind:     by_value
      - .offset:         4
        .size:           4
        .value_kind:     by_value
      - .offset:         8
        .size:           4
        .value_kind:     by_value
      - .offset:         12
        .size:           8
        .value_kind:     by_value
      - .offset:         24
        .size:           8
        .value_kind:     by_value
      - .address_space:  global
        .offset:         32
        .size:           8
        .value_kind:     global_buffer
      - .offset:         40
        .size:           8
        .value_kind:     by_value
      - .offset:         48
        .size:           8
        .value_kind:     by_value
      - .offset:         56
        .size:           8
        .value_kind:     by_value
      - .address_space:  global
        .offset:         64
        .size:           8
        .value_kind:     global_buffer
      - .offset:         72
        .size:           8
        .value_kind:     by_value
      - .offset:         80
        .size:           8
        .value_kind:     by_value
      - .offset:         88
        .size:           8
        .value_kind:     by_value
      - .address_space:  global
        .offset:         96
        .size:           8
        .value_kind:     global_buffer
      - .offset:         104
        .size:           8
        .value_kind:     by_value
      - .offset:         112
        .size:           8
        .value_kind:     by_value
      - .offset:         120
        .size:           8
        .value_kind:     by_value
      - .offset:         128
        .size:           4
        .value_kind:     by_value
      - .offset:         136
        .size:           4
        .value_kind:     hidden_block_count_x
      - .offset:         140
        .size:           4
        .value_kind:     hidden_block_count_y
      - .offset:         144
        .size:           4
        .value_kind:     hidden_block_count_z
      - .offset:         148
        .size:           2
        .value_kind:     hidden_group_size_x
      - .offset:         150
        .size:           2
        .value_kind:     hidden_group_size_y
      - .offset:         152
        .size:           2
        .value_kind:     hidden_group_size_z
      - .offset:         154
        .size:           2
        .value_kind:     hidden_remainder_x
      - .offset:         156
        .size:           2
        .value_kind:     hidden_remainder_y
      - .offset:         158
        .size:           2
        .value_kind:     hidden_remainder_z
      - .offset:         176
        .size:           8
        .value_kind:     hidden_global_offset_x
      - .offset:         184
        .size:           8
        .value_kind:     hidden_global_offset_y
      - .offset:         192
        .size:           8
        .value_kind:     hidden_global_offset_z
      - .offset:         200
        .size:           2
        .value_kind:     hidden_grid_dims
    .group_segment_fixed_size: 16384
    .kernarg_segment_align: 8
    .kernarg_segment_size: 392
    .language:       OpenCL C
    .language_version:
      - 2
      - 0
    .max_flat_workgroup_size: 1024
    .name:           _ZL30rocblas_trmm_outofplace_kernelI19rocblas_complex_numIfELi32ELi2ELb1ELb1ELb1ELb1ES1_KS1_S1_Ev17rocblas_diagonal_iiT6_lPT7_lllS6_lllPT8_llli
    .private_segment_fixed_size: 0
    .sgpr_count:     46
    .sgpr_spill_count: 0
    .symbol:         _ZL30rocblas_trmm_outofplace_kernelI19rocblas_complex_numIfELi32ELi2ELb1ELb1ELb1ELb1ES1_KS1_S1_Ev17rocblas_diagonal_iiT6_lPT7_lllS6_lllPT8_llli.kd
    .uniform_work_group_size: 1
    .uses_dynamic_stack: false
    .vgpr_count:     81
    .vgpr_spill_count: 0
    .wavefront_size: 32
    .workgroup_processor_mode: 1
  - .args:
      - .offset:         0
        .size:           4
        .value_kind:     by_value
      - .offset:         4
        .size:           4
        .value_kind:     by_value
      - .offset:         8
        .size:           4
        .value_kind:     by_value
      - .address_space:  global
        .offset:         16
        .size:           8
        .value_kind:     global_buffer
      - .offset:         24
        .size:           8
        .value_kind:     by_value
      - .address_space:  global
        .offset:         32
        .size:           8
        .value_kind:     global_buffer
      - .offset:         40
        .size:           8
        .value_kind:     by_value
      - .offset:         48
        .size:           8
        .value_kind:     by_value
      - .offset:         56
        .size:           8
        .value_kind:     by_value
      - .address_space:  global
        .offset:         64
        .size:           8
        .value_kind:     global_buffer
      - .offset:         72
        .size:           8
        .value_kind:     by_value
      - .offset:         80
        .size:           8
        .value_kind:     by_value
      - .offset:         88
        .size:           8
        .value_kind:     by_value
      - .address_space:  global
        .offset:         96
        .size:           8
        .value_kind:     global_buffer
      - .offset:         104
        .size:           8
        .value_kind:     by_value
      - .offset:         112
        .size:           8
        .value_kind:     by_value
      - .offset:         120
        .size:           8
        .value_kind:     by_value
      - .offset:         128
        .size:           4
        .value_kind:     by_value
      - .offset:         136
        .size:           4
        .value_kind:     hidden_block_count_x
      - .offset:         140
        .size:           4
        .value_kind:     hidden_block_count_y
      - .offset:         144
        .size:           4
        .value_kind:     hidden_block_count_z
      - .offset:         148
        .size:           2
        .value_kind:     hidden_group_size_x
      - .offset:         150
        .size:           2
        .value_kind:     hidden_group_size_y
      - .offset:         152
        .size:           2
        .value_kind:     hidden_group_size_z
      - .offset:         154
        .size:           2
        .value_kind:     hidden_remainder_x
      - .offset:         156
        .size:           2
        .value_kind:     hidden_remainder_y
      - .offset:         158
        .size:           2
        .value_kind:     hidden_remainder_z
      - .offset:         176
        .size:           8
        .value_kind:     hidden_global_offset_x
      - .offset:         184
        .size:           8
        .value_kind:     hidden_global_offset_y
      - .offset:         192
        .size:           8
        .value_kind:     hidden_global_offset_z
      - .offset:         200
        .size:           2
        .value_kind:     hidden_grid_dims
    .group_segment_fixed_size: 16384
    .kernarg_segment_align: 8
    .kernarg_segment_size: 392
    .language:       OpenCL C
    .language_version:
      - 2
      - 0
    .max_flat_workgroup_size: 1024
    .name:           _ZL30rocblas_trmm_outofplace_kernelI19rocblas_complex_numIfELi32ELi2ELb0ELb0ELb0ELb0EPKS1_S2_S1_Ev17rocblas_diagonal_iiT6_lPT7_lllS7_lllPT8_llli
    .private_segment_fixed_size: 0
    .sgpr_count:     47
    .sgpr_spill_count: 0
    .symbol:         _ZL30rocblas_trmm_outofplace_kernelI19rocblas_complex_numIfELi32ELi2ELb0ELb0ELb0ELb0EPKS1_S2_S1_Ev17rocblas_diagonal_iiT6_lPT7_lllS7_lllPT8_llli.kd
    .uniform_work_group_size: 1
    .uses_dynamic_stack: false
    .vgpr_count:     86
    .vgpr_spill_count: 0
    .wavefront_size: 32
    .workgroup_processor_mode: 1
  - .args:
      - .offset:         0
        .size:           4
        .value_kind:     by_value
      - .offset:         4
        .size:           4
        .value_kind:     by_value
      - .offset:         8
        .size:           4
        .value_kind:     by_value
      - .offset:         12
        .size:           8
        .value_kind:     by_value
      - .offset:         24
        .size:           8
        .value_kind:     by_value
      - .address_space:  global
        .offset:         32
        .size:           8
        .value_kind:     global_buffer
      - .offset:         40
        .size:           8
        .value_kind:     by_value
      - .offset:         48
        .size:           8
        .value_kind:     by_value
      - .offset:         56
        .size:           8
        .value_kind:     by_value
      - .address_space:  global
        .offset:         64
        .size:           8
        .value_kind:     global_buffer
      - .offset:         72
        .size:           8
        .value_kind:     by_value
      - .offset:         80
        .size:           8
        .value_kind:     by_value
      - .offset:         88
        .size:           8
        .value_kind:     by_value
      - .address_space:  global
        .offset:         96
        .size:           8
        .value_kind:     global_buffer
      - .offset:         104
        .size:           8
        .value_kind:     by_value
      - .offset:         112
        .size:           8
        .value_kind:     by_value
      - .offset:         120
        .size:           8
        .value_kind:     by_value
      - .offset:         128
        .size:           4
        .value_kind:     by_value
      - .offset:         136
        .size:           4
        .value_kind:     hidden_block_count_x
      - .offset:         140
        .size:           4
        .value_kind:     hidden_block_count_y
      - .offset:         144
        .size:           4
        .value_kind:     hidden_block_count_z
      - .offset:         148
        .size:           2
        .value_kind:     hidden_group_size_x
      - .offset:         150
        .size:           2
        .value_kind:     hidden_group_size_y
      - .offset:         152
        .size:           2
        .value_kind:     hidden_group_size_z
      - .offset:         154
        .size:           2
        .value_kind:     hidden_remainder_x
      - .offset:         156
        .size:           2
        .value_kind:     hidden_remainder_y
      - .offset:         158
        .size:           2
        .value_kind:     hidden_remainder_z
      - .offset:         176
        .size:           8
        .value_kind:     hidden_global_offset_x
      - .offset:         184
        .size:           8
        .value_kind:     hidden_global_offset_y
      - .offset:         192
        .size:           8
        .value_kind:     hidden_global_offset_z
      - .offset:         200
        .size:           2
        .value_kind:     hidden_grid_dims
    .group_segment_fixed_size: 16384
    .kernarg_segment_align: 8
    .kernarg_segment_size: 392
    .language:       OpenCL C
    .language_version:
      - 2
      - 0
    .max_flat_workgroup_size: 1024
    .name:           _ZL30rocblas_trmm_outofplace_kernelI19rocblas_complex_numIfELi32ELi2ELb0ELb0ELb0ELb0ES1_KS1_S1_Ev17rocblas_diagonal_iiT6_lPT7_lllS6_lllPT8_llli
    .private_segment_fixed_size: 0
    .sgpr_count:     47
    .sgpr_spill_count: 0
    .symbol:         _ZL30rocblas_trmm_outofplace_kernelI19rocblas_complex_numIfELi32ELi2ELb0ELb0ELb0ELb0ES1_KS1_S1_Ev17rocblas_diagonal_iiT6_lPT7_lllS6_lllPT8_llli.kd
    .uniform_work_group_size: 1
    .uses_dynamic_stack: false
    .vgpr_count:     86
    .vgpr_spill_count: 0
    .wavefront_size: 32
    .workgroup_processor_mode: 1
  - .args:
      - .offset:         0
        .size:           4
        .value_kind:     by_value
      - .offset:         4
        .size:           4
        .value_kind:     by_value
      - .offset:         8
        .size:           4
        .value_kind:     by_value
      - .address_space:  global
        .offset:         16
        .size:           8
        .value_kind:     global_buffer
      - .offset:         24
        .size:           8
        .value_kind:     by_value
      - .address_space:  global
        .offset:         32
        .size:           8
        .value_kind:     global_buffer
      - .offset:         40
        .size:           8
        .value_kind:     by_value
      - .offset:         48
        .size:           8
        .value_kind:     by_value
      - .offset:         56
        .size:           8
        .value_kind:     by_value
      - .address_space:  global
        .offset:         64
        .size:           8
        .value_kind:     global_buffer
      - .offset:         72
        .size:           8
        .value_kind:     by_value
      - .offset:         80
        .size:           8
        .value_kind:     by_value
      - .offset:         88
        .size:           8
        .value_kind:     by_value
      - .address_space:  global
        .offset:         96
        .size:           8
        .value_kind:     global_buffer
      - .offset:         104
        .size:           8
        .value_kind:     by_value
      - .offset:         112
        .size:           8
        .value_kind:     by_value
      - .offset:         120
        .size:           8
        .value_kind:     by_value
      - .offset:         128
        .size:           4
        .value_kind:     by_value
      - .offset:         136
        .size:           4
        .value_kind:     hidden_block_count_x
      - .offset:         140
        .size:           4
        .value_kind:     hidden_block_count_y
      - .offset:         144
        .size:           4
        .value_kind:     hidden_block_count_z
      - .offset:         148
        .size:           2
        .value_kind:     hidden_group_size_x
      - .offset:         150
        .size:           2
        .value_kind:     hidden_group_size_y
      - .offset:         152
        .size:           2
        .value_kind:     hidden_group_size_z
      - .offset:         154
        .size:           2
        .value_kind:     hidden_remainder_x
      - .offset:         156
        .size:           2
        .value_kind:     hidden_remainder_y
      - .offset:         158
        .size:           2
        .value_kind:     hidden_remainder_z
      - .offset:         176
        .size:           8
        .value_kind:     hidden_global_offset_x
      - .offset:         184
        .size:           8
        .value_kind:     hidden_global_offset_y
      - .offset:         192
        .size:           8
        .value_kind:     hidden_global_offset_z
      - .offset:         200
        .size:           2
        .value_kind:     hidden_grid_dims
    .group_segment_fixed_size: 16384
    .kernarg_segment_align: 8
    .kernarg_segment_size: 392
    .language:       OpenCL C
    .language_version:
      - 2
      - 0
    .max_flat_workgroup_size: 1024
    .name:           _ZL30rocblas_trmm_outofplace_kernelI19rocblas_complex_numIfELi32ELi2ELb0ELb1ELb0ELb0EPKS1_S2_S1_Ev17rocblas_diagonal_iiT6_lPT7_lllS7_lllPT8_llli
    .private_segment_fixed_size: 0
    .sgpr_count:     45
    .sgpr_spill_count: 0
    .symbol:         _ZL30rocblas_trmm_outofplace_kernelI19rocblas_complex_numIfELi32ELi2ELb0ELb1ELb0ELb0EPKS1_S2_S1_Ev17rocblas_diagonal_iiT6_lPT7_lllS7_lllPT8_llli.kd
    .uniform_work_group_size: 1
    .uses_dynamic_stack: false
    .vgpr_count:     85
    .vgpr_spill_count: 0
    .wavefront_size: 32
    .workgroup_processor_mode: 1
  - .args:
      - .offset:         0
        .size:           4
        .value_kind:     by_value
      - .offset:         4
        .size:           4
        .value_kind:     by_value
      - .offset:         8
        .size:           4
        .value_kind:     by_value
      - .offset:         12
        .size:           8
        .value_kind:     by_value
      - .offset:         24
        .size:           8
        .value_kind:     by_value
      - .address_space:  global
        .offset:         32
        .size:           8
        .value_kind:     global_buffer
      - .offset:         40
        .size:           8
        .value_kind:     by_value
      - .offset:         48
        .size:           8
        .value_kind:     by_value
      - .offset:         56
        .size:           8
        .value_kind:     by_value
      - .address_space:  global
        .offset:         64
        .size:           8
        .value_kind:     global_buffer
      - .offset:         72
        .size:           8
        .value_kind:     by_value
      - .offset:         80
        .size:           8
        .value_kind:     by_value
      - .offset:         88
        .size:           8
        .value_kind:     by_value
      - .address_space:  global
        .offset:         96
        .size:           8
        .value_kind:     global_buffer
      - .offset:         104
        .size:           8
        .value_kind:     by_value
      - .offset:         112
        .size:           8
        .value_kind:     by_value
      - .offset:         120
        .size:           8
        .value_kind:     by_value
      - .offset:         128
        .size:           4
        .value_kind:     by_value
      - .offset:         136
        .size:           4
        .value_kind:     hidden_block_count_x
      - .offset:         140
        .size:           4
        .value_kind:     hidden_block_count_y
      - .offset:         144
        .size:           4
        .value_kind:     hidden_block_count_z
      - .offset:         148
        .size:           2
        .value_kind:     hidden_group_size_x
      - .offset:         150
        .size:           2
        .value_kind:     hidden_group_size_y
      - .offset:         152
        .size:           2
        .value_kind:     hidden_group_size_z
      - .offset:         154
        .size:           2
        .value_kind:     hidden_remainder_x
      - .offset:         156
        .size:           2
        .value_kind:     hidden_remainder_y
      - .offset:         158
        .size:           2
        .value_kind:     hidden_remainder_z
      - .offset:         176
        .size:           8
        .value_kind:     hidden_global_offset_x
      - .offset:         184
        .size:           8
        .value_kind:     hidden_global_offset_y
      - .offset:         192
        .size:           8
        .value_kind:     hidden_global_offset_z
      - .offset:         200
        .size:           2
        .value_kind:     hidden_grid_dims
    .group_segment_fixed_size: 16384
    .kernarg_segment_align: 8
    .kernarg_segment_size: 392
    .language:       OpenCL C
    .language_version:
      - 2
      - 0
    .max_flat_workgroup_size: 1024
    .name:           _ZL30rocblas_trmm_outofplace_kernelI19rocblas_complex_numIfELi32ELi2ELb0ELb1ELb0ELb0ES1_KS1_S1_Ev17rocblas_diagonal_iiT6_lPT7_lllS6_lllPT8_llli
    .private_segment_fixed_size: 0
    .sgpr_count:     48
    .sgpr_spill_count: 0
    .symbol:         _ZL30rocblas_trmm_outofplace_kernelI19rocblas_complex_numIfELi32ELi2ELb0ELb1ELb0ELb0ES1_KS1_S1_Ev17rocblas_diagonal_iiT6_lPT7_lllS6_lllPT8_llli.kd
    .uniform_work_group_size: 1
    .uses_dynamic_stack: false
    .vgpr_count:     85
    .vgpr_spill_count: 0
    .wavefront_size: 32
    .workgroup_processor_mode: 1
  - .args:
      - .offset:         0
        .size:           4
        .value_kind:     by_value
      - .offset:         4
        .size:           4
        .value_kind:     by_value
      - .offset:         8
        .size:           4
        .value_kind:     by_value
      - .address_space:  global
        .offset:         16
        .size:           8
        .value_kind:     global_buffer
      - .offset:         24
        .size:           8
        .value_kind:     by_value
      - .address_space:  global
        .offset:         32
        .size:           8
        .value_kind:     global_buffer
      - .offset:         40
        .size:           8
        .value_kind:     by_value
      - .offset:         48
        .size:           8
        .value_kind:     by_value
      - .offset:         56
        .size:           8
        .value_kind:     by_value
      - .address_space:  global
        .offset:         64
        .size:           8
        .value_kind:     global_buffer
      - .offset:         72
        .size:           8
        .value_kind:     by_value
      - .offset:         80
        .size:           8
        .value_kind:     by_value
      - .offset:         88
        .size:           8
        .value_kind:     by_value
      - .address_space:  global
        .offset:         96
        .size:           8
        .value_kind:     global_buffer
      - .offset:         104
        .size:           8
        .value_kind:     by_value
      - .offset:         112
        .size:           8
        .value_kind:     by_value
      - .offset:         120
        .size:           8
        .value_kind:     by_value
      - .offset:         128
        .size:           4
        .value_kind:     by_value
      - .offset:         136
        .size:           4
        .value_kind:     hidden_block_count_x
      - .offset:         140
        .size:           4
        .value_kind:     hidden_block_count_y
      - .offset:         144
        .size:           4
        .value_kind:     hidden_block_count_z
      - .offset:         148
        .size:           2
        .value_kind:     hidden_group_size_x
      - .offset:         150
        .size:           2
        .value_kind:     hidden_group_size_y
      - .offset:         152
        .size:           2
        .value_kind:     hidden_group_size_z
      - .offset:         154
        .size:           2
        .value_kind:     hidden_remainder_x
      - .offset:         156
        .size:           2
        .value_kind:     hidden_remainder_y
      - .offset:         158
        .size:           2
        .value_kind:     hidden_remainder_z
      - .offset:         176
        .size:           8
        .value_kind:     hidden_global_offset_x
      - .offset:         184
        .size:           8
        .value_kind:     hidden_global_offset_y
      - .offset:         192
        .size:           8
        .value_kind:     hidden_global_offset_z
      - .offset:         200
        .size:           2
        .value_kind:     hidden_grid_dims
    .group_segment_fixed_size: 16384
    .kernarg_segment_align: 8
    .kernarg_segment_size: 392
    .language:       OpenCL C
    .language_version:
      - 2
      - 0
    .max_flat_workgroup_size: 1024
    .name:           _ZL30rocblas_trmm_outofplace_kernelI19rocblas_complex_numIfELi32ELi2ELb0ELb0ELb1ELb0EPKS1_S2_S1_Ev17rocblas_diagonal_iiT6_lPT7_lllS7_lllPT8_llli
    .private_segment_fixed_size: 0
    .sgpr_count:     46
    .sgpr_spill_count: 0
    .symbol:         _ZL30rocblas_trmm_outofplace_kernelI19rocblas_complex_numIfELi32ELi2ELb0ELb0ELb1ELb0EPKS1_S2_S1_Ev17rocblas_diagonal_iiT6_lPT7_lllS7_lllPT8_llli.kd
    .uniform_work_group_size: 1
    .uses_dynamic_stack: false
    .vgpr_count:     90
    .vgpr_spill_count: 0
    .wavefront_size: 32
    .workgroup_processor_mode: 1
  - .args:
      - .offset:         0
        .size:           4
        .value_kind:     by_value
      - .offset:         4
        .size:           4
        .value_kind:     by_value
      - .offset:         8
        .size:           4
        .value_kind:     by_value
      - .offset:         12
        .size:           8
        .value_kind:     by_value
      - .offset:         24
        .size:           8
        .value_kind:     by_value
      - .address_space:  global
        .offset:         32
        .size:           8
        .value_kind:     global_buffer
      - .offset:         40
        .size:           8
        .value_kind:     by_value
      - .offset:         48
        .size:           8
        .value_kind:     by_value
      - .offset:         56
        .size:           8
        .value_kind:     by_value
      - .address_space:  global
        .offset:         64
        .size:           8
        .value_kind:     global_buffer
      - .offset:         72
        .size:           8
        .value_kind:     by_value
      - .offset:         80
        .size:           8
        .value_kind:     by_value
      - .offset:         88
        .size:           8
        .value_kind:     by_value
      - .address_space:  global
        .offset:         96
        .size:           8
        .value_kind:     global_buffer
      - .offset:         104
        .size:           8
        .value_kind:     by_value
      - .offset:         112
        .size:           8
        .value_kind:     by_value
      - .offset:         120
        .size:           8
        .value_kind:     by_value
      - .offset:         128
        .size:           4
        .value_kind:     by_value
      - .offset:         136
        .size:           4
        .value_kind:     hidden_block_count_x
      - .offset:         140
        .size:           4
        .value_kind:     hidden_block_count_y
      - .offset:         144
        .size:           4
        .value_kind:     hidden_block_count_z
      - .offset:         148
        .size:           2
        .value_kind:     hidden_group_size_x
      - .offset:         150
        .size:           2
        .value_kind:     hidden_group_size_y
      - .offset:         152
        .size:           2
        .value_kind:     hidden_group_size_z
      - .offset:         154
        .size:           2
        .value_kind:     hidden_remainder_x
      - .offset:         156
        .size:           2
        .value_kind:     hidden_remainder_y
      - .offset:         158
        .size:           2
        .value_kind:     hidden_remainder_z
      - .offset:         176
        .size:           8
        .value_kind:     hidden_global_offset_x
      - .offset:         184
        .size:           8
        .value_kind:     hidden_global_offset_y
      - .offset:         192
        .size:           8
        .value_kind:     hidden_global_offset_z
      - .offset:         200
        .size:           2
        .value_kind:     hidden_grid_dims
    .group_segment_fixed_size: 16384
    .kernarg_segment_align: 8
    .kernarg_segment_size: 392
    .language:       OpenCL C
    .language_version:
      - 2
      - 0
    .max_flat_workgroup_size: 1024
    .name:           _ZL30rocblas_trmm_outofplace_kernelI19rocblas_complex_numIfELi32ELi2ELb0ELb0ELb1ELb0ES1_KS1_S1_Ev17rocblas_diagonal_iiT6_lPT7_lllS6_lllPT8_llli
    .private_segment_fixed_size: 0
    .sgpr_count:     48
    .sgpr_spill_count: 0
    .symbol:         _ZL30rocblas_trmm_outofplace_kernelI19rocblas_complex_numIfELi32ELi2ELb0ELb0ELb1ELb0ES1_KS1_S1_Ev17rocblas_diagonal_iiT6_lPT7_lllS6_lllPT8_llli.kd
    .uniform_work_group_size: 1
    .uses_dynamic_stack: false
    .vgpr_count:     90
    .vgpr_spill_count: 0
    .wavefront_size: 32
    .workgroup_processor_mode: 1
  - .args:
      - .offset:         0
        .size:           4
        .value_kind:     by_value
      - .offset:         4
        .size:           4
        .value_kind:     by_value
      - .offset:         8
        .size:           4
        .value_kind:     by_value
      - .address_space:  global
        .offset:         16
        .size:           8
        .value_kind:     global_buffer
      - .offset:         24
        .size:           8
        .value_kind:     by_value
      - .address_space:  global
        .offset:         32
        .size:           8
        .value_kind:     global_buffer
      - .offset:         40
        .size:           8
        .value_kind:     by_value
      - .offset:         48
        .size:           8
        .value_kind:     by_value
      - .offset:         56
        .size:           8
        .value_kind:     by_value
      - .address_space:  global
        .offset:         64
        .size:           8
        .value_kind:     global_buffer
      - .offset:         72
        .size:           8
        .value_kind:     by_value
      - .offset:         80
        .size:           8
        .value_kind:     by_value
      - .offset:         88
        .size:           8
        .value_kind:     by_value
      - .address_space:  global
        .offset:         96
        .size:           8
        .value_kind:     global_buffer
      - .offset:         104
        .size:           8
        .value_kind:     by_value
      - .offset:         112
        .size:           8
        .value_kind:     by_value
      - .offset:         120
        .size:           8
        .value_kind:     by_value
      - .offset:         128
        .size:           4
        .value_kind:     by_value
      - .offset:         136
        .size:           4
        .value_kind:     hidden_block_count_x
      - .offset:         140
        .size:           4
        .value_kind:     hidden_block_count_y
      - .offset:         144
        .size:           4
        .value_kind:     hidden_block_count_z
      - .offset:         148
        .size:           2
        .value_kind:     hidden_group_size_x
      - .offset:         150
        .size:           2
        .value_kind:     hidden_group_size_y
      - .offset:         152
        .size:           2
        .value_kind:     hidden_group_size_z
      - .offset:         154
        .size:           2
        .value_kind:     hidden_remainder_x
      - .offset:         156
        .size:           2
        .value_kind:     hidden_remainder_y
      - .offset:         158
        .size:           2
        .value_kind:     hidden_remainder_z
      - .offset:         176
        .size:           8
        .value_kind:     hidden_global_offset_x
      - .offset:         184
        .size:           8
        .value_kind:     hidden_global_offset_y
      - .offset:         192
        .size:           8
        .value_kind:     hidden_global_offset_z
      - .offset:         200
        .size:           2
        .value_kind:     hidden_grid_dims
    .group_segment_fixed_size: 16384
    .kernarg_segment_align: 8
    .kernarg_segment_size: 392
    .language:       OpenCL C
    .language_version:
      - 2
      - 0
    .max_flat_workgroup_size: 1024
    .name:           _ZL30rocblas_trmm_outofplace_kernelI19rocblas_complex_numIfELi32ELi2ELb0ELb1ELb1ELb0EPKS1_S2_S1_Ev17rocblas_diagonal_iiT6_lPT7_lllS7_lllPT8_llli
    .private_segment_fixed_size: 0
    .sgpr_count:     48
    .sgpr_spill_count: 0
    .symbol:         _ZL30rocblas_trmm_outofplace_kernelI19rocblas_complex_numIfELi32ELi2ELb0ELb1ELb1ELb0EPKS1_S2_S1_Ev17rocblas_diagonal_iiT6_lPT7_lllS7_lllPT8_llli.kd
    .uniform_work_group_size: 1
    .uses_dynamic_stack: false
    .vgpr_count:     86
    .vgpr_spill_count: 0
    .wavefront_size: 32
    .workgroup_processor_mode: 1
  - .args:
      - .offset:         0
        .size:           4
        .value_kind:     by_value
      - .offset:         4
        .size:           4
        .value_kind:     by_value
      - .offset:         8
        .size:           4
        .value_kind:     by_value
      - .offset:         12
        .size:           8
        .value_kind:     by_value
      - .offset:         24
        .size:           8
        .value_kind:     by_value
      - .address_space:  global
        .offset:         32
        .size:           8
        .value_kind:     global_buffer
      - .offset:         40
        .size:           8
        .value_kind:     by_value
      - .offset:         48
        .size:           8
        .value_kind:     by_value
      - .offset:         56
        .size:           8
        .value_kind:     by_value
      - .address_space:  global
        .offset:         64
        .size:           8
        .value_kind:     global_buffer
      - .offset:         72
        .size:           8
        .value_kind:     by_value
      - .offset:         80
        .size:           8
        .value_kind:     by_value
      - .offset:         88
        .size:           8
        .value_kind:     by_value
      - .address_space:  global
        .offset:         96
        .size:           8
        .value_kind:     global_buffer
      - .offset:         104
        .size:           8
        .value_kind:     by_value
      - .offset:         112
        .size:           8
        .value_kind:     by_value
      - .offset:         120
        .size:           8
        .value_kind:     by_value
      - .offset:         128
        .size:           4
        .value_kind:     by_value
      - .offset:         136
        .size:           4
        .value_kind:     hidden_block_count_x
      - .offset:         140
        .size:           4
        .value_kind:     hidden_block_count_y
      - .offset:         144
        .size:           4
        .value_kind:     hidden_block_count_z
      - .offset:         148
        .size:           2
        .value_kind:     hidden_group_size_x
      - .offset:         150
        .size:           2
        .value_kind:     hidden_group_size_y
      - .offset:         152
        .size:           2
        .value_kind:     hidden_group_size_z
      - .offset:         154
        .size:           2
        .value_kind:     hidden_remainder_x
      - .offset:         156
        .size:           2
        .value_kind:     hidden_remainder_y
      - .offset:         158
        .size:           2
        .value_kind:     hidden_remainder_z
      - .offset:         176
        .size:           8
        .value_kind:     hidden_global_offset_x
      - .offset:         184
        .size:           8
        .value_kind:     hidden_global_offset_y
      - .offset:         192
        .size:           8
        .value_kind:     hidden_global_offset_z
      - .offset:         200
        .size:           2
        .value_kind:     hidden_grid_dims
    .group_segment_fixed_size: 16384
    .kernarg_segment_align: 8
    .kernarg_segment_size: 392
    .language:       OpenCL C
    .language_version:
      - 2
      - 0
    .max_flat_workgroup_size: 1024
    .name:           _ZL30rocblas_trmm_outofplace_kernelI19rocblas_complex_numIfELi32ELi2ELb0ELb1ELb1ELb0ES1_KS1_S1_Ev17rocblas_diagonal_iiT6_lPT7_lllS6_lllPT8_llli
    .private_segment_fixed_size: 0
    .sgpr_count:     49
    .sgpr_spill_count: 0
    .symbol:         _ZL30rocblas_trmm_outofplace_kernelI19rocblas_complex_numIfELi32ELi2ELb0ELb1ELb1ELb0ES1_KS1_S1_Ev17rocblas_diagonal_iiT6_lPT7_lllS6_lllPT8_llli.kd
    .uniform_work_group_size: 1
    .uses_dynamic_stack: false
    .vgpr_count:     86
    .vgpr_spill_count: 0
    .wavefront_size: 32
    .workgroup_processor_mode: 1
  - .args:
      - .offset:         0
        .size:           4
        .value_kind:     by_value
      - .offset:         4
        .size:           4
        .value_kind:     by_value
      - .offset:         8
        .size:           4
        .value_kind:     by_value
      - .address_space:  global
        .offset:         16
        .size:           8
        .value_kind:     global_buffer
      - .offset:         24
        .size:           8
        .value_kind:     by_value
      - .address_space:  global
        .offset:         32
        .size:           8
        .value_kind:     global_buffer
      - .offset:         40
        .size:           8
        .value_kind:     by_value
      - .offset:         48
        .size:           8
        .value_kind:     by_value
      - .offset:         56
        .size:           8
        .value_kind:     by_value
      - .address_space:  global
        .offset:         64
        .size:           8
        .value_kind:     global_buffer
      - .offset:         72
        .size:           8
        .value_kind:     by_value
      - .offset:         80
        .size:           8
        .value_kind:     by_value
      - .offset:         88
        .size:           8
        .value_kind:     by_value
      - .address_space:  global
        .offset:         96
        .size:           8
        .value_kind:     global_buffer
      - .offset:         104
        .size:           8
        .value_kind:     by_value
      - .offset:         112
        .size:           8
        .value_kind:     by_value
      - .offset:         120
        .size:           8
        .value_kind:     by_value
      - .offset:         128
        .size:           4
        .value_kind:     by_value
      - .offset:         136
        .size:           4
        .value_kind:     hidden_block_count_x
      - .offset:         140
        .size:           4
        .value_kind:     hidden_block_count_y
      - .offset:         144
        .size:           4
        .value_kind:     hidden_block_count_z
      - .offset:         148
        .size:           2
        .value_kind:     hidden_group_size_x
      - .offset:         150
        .size:           2
        .value_kind:     hidden_group_size_y
      - .offset:         152
        .size:           2
        .value_kind:     hidden_group_size_z
      - .offset:         154
        .size:           2
        .value_kind:     hidden_remainder_x
      - .offset:         156
        .size:           2
        .value_kind:     hidden_remainder_y
      - .offset:         158
        .size:           2
        .value_kind:     hidden_remainder_z
      - .offset:         176
        .size:           8
        .value_kind:     hidden_global_offset_x
      - .offset:         184
        .size:           8
        .value_kind:     hidden_global_offset_y
      - .offset:         192
        .size:           8
        .value_kind:     hidden_global_offset_z
      - .offset:         200
        .size:           2
        .value_kind:     hidden_grid_dims
    .group_segment_fixed_size: 16384
    .kernarg_segment_align: 8
    .kernarg_segment_size: 392
    .language:       OpenCL C
    .language_version:
      - 2
      - 0
    .max_flat_workgroup_size: 1024
    .name:           _ZL30rocblas_trmm_outofplace_kernelI19rocblas_complex_numIfELi32ELi2ELb0ELb0ELb1ELb1EPKS1_S2_S1_Ev17rocblas_diagonal_iiT6_lPT7_lllS7_lllPT8_llli
    .private_segment_fixed_size: 0
    .sgpr_count:     46
    .sgpr_spill_count: 0
    .symbol:         _ZL30rocblas_trmm_outofplace_kernelI19rocblas_complex_numIfELi32ELi2ELb0ELb0ELb1ELb1EPKS1_S2_S1_Ev17rocblas_diagonal_iiT6_lPT7_lllS7_lllPT8_llli.kd
    .uniform_work_group_size: 1
    .uses_dynamic_stack: false
    .vgpr_count:     90
    .vgpr_spill_count: 0
    .wavefront_size: 32
    .workgroup_processor_mode: 1
  - .args:
      - .offset:         0
        .size:           4
        .value_kind:     by_value
      - .offset:         4
        .size:           4
        .value_kind:     by_value
      - .offset:         8
        .size:           4
        .value_kind:     by_value
      - .offset:         12
        .size:           8
        .value_kind:     by_value
      - .offset:         24
        .size:           8
        .value_kind:     by_value
      - .address_space:  global
        .offset:         32
        .size:           8
        .value_kind:     global_buffer
      - .offset:         40
        .size:           8
        .value_kind:     by_value
      - .offset:         48
        .size:           8
        .value_kind:     by_value
      - .offset:         56
        .size:           8
        .value_kind:     by_value
      - .address_space:  global
        .offset:         64
        .size:           8
        .value_kind:     global_buffer
      - .offset:         72
        .size:           8
        .value_kind:     by_value
      - .offset:         80
        .size:           8
        .value_kind:     by_value
      - .offset:         88
        .size:           8
        .value_kind:     by_value
      - .address_space:  global
        .offset:         96
        .size:           8
        .value_kind:     global_buffer
      - .offset:         104
        .size:           8
        .value_kind:     by_value
      - .offset:         112
        .size:           8
        .value_kind:     by_value
      - .offset:         120
        .size:           8
        .value_kind:     by_value
      - .offset:         128
        .size:           4
        .value_kind:     by_value
      - .offset:         136
        .size:           4
        .value_kind:     hidden_block_count_x
      - .offset:         140
        .size:           4
        .value_kind:     hidden_block_count_y
      - .offset:         144
        .size:           4
        .value_kind:     hidden_block_count_z
      - .offset:         148
        .size:           2
        .value_kind:     hidden_group_size_x
      - .offset:         150
        .size:           2
        .value_kind:     hidden_group_size_y
      - .offset:         152
        .size:           2
        .value_kind:     hidden_group_size_z
      - .offset:         154
        .size:           2
        .value_kind:     hidden_remainder_x
      - .offset:         156
        .size:           2
        .value_kind:     hidden_remainder_y
      - .offset:         158
        .size:           2
        .value_kind:     hidden_remainder_z
      - .offset:         176
        .size:           8
        .value_kind:     hidden_global_offset_x
      - .offset:         184
        .size:           8
        .value_kind:     hidden_global_offset_y
      - .offset:         192
        .size:           8
        .value_kind:     hidden_global_offset_z
      - .offset:         200
        .size:           2
        .value_kind:     hidden_grid_dims
    .group_segment_fixed_size: 16384
    .kernarg_segment_align: 8
    .kernarg_segment_size: 392
    .language:       OpenCL C
    .language_version:
      - 2
      - 0
    .max_flat_workgroup_size: 1024
    .name:           _ZL30rocblas_trmm_outofplace_kernelI19rocblas_complex_numIfELi32ELi2ELb0ELb0ELb1ELb1ES1_KS1_S1_Ev17rocblas_diagonal_iiT6_lPT7_lllS6_lllPT8_llli
    .private_segment_fixed_size: 0
    .sgpr_count:     48
    .sgpr_spill_count: 0
    .symbol:         _ZL30rocblas_trmm_outofplace_kernelI19rocblas_complex_numIfELi32ELi2ELb0ELb0ELb1ELb1ES1_KS1_S1_Ev17rocblas_diagonal_iiT6_lPT7_lllS6_lllPT8_llli.kd
    .uniform_work_group_size: 1
    .uses_dynamic_stack: false
    .vgpr_count:     90
    .vgpr_spill_count: 0
    .wavefront_size: 32
    .workgroup_processor_mode: 1
  - .args:
      - .offset:         0
        .size:           4
        .value_kind:     by_value
      - .offset:         4
        .size:           4
        .value_kind:     by_value
      - .offset:         8
        .size:           4
        .value_kind:     by_value
      - .address_space:  global
        .offset:         16
        .size:           8
        .value_kind:     global_buffer
      - .offset:         24
        .size:           8
        .value_kind:     by_value
      - .address_space:  global
        .offset:         32
        .size:           8
        .value_kind:     global_buffer
      - .offset:         40
        .size:           8
        .value_kind:     by_value
      - .offset:         48
        .size:           8
        .value_kind:     by_value
      - .offset:         56
        .size:           8
        .value_kind:     by_value
      - .address_space:  global
        .offset:         64
        .size:           8
        .value_kind:     global_buffer
      - .offset:         72
        .size:           8
        .value_kind:     by_value
      - .offset:         80
        .size:           8
        .value_kind:     by_value
      - .offset:         88
        .size:           8
        .value_kind:     by_value
      - .address_space:  global
        .offset:         96
        .size:           8
        .value_kind:     global_buffer
      - .offset:         104
        .size:           8
        .value_kind:     by_value
      - .offset:         112
        .size:           8
        .value_kind:     by_value
      - .offset:         120
        .size:           8
        .value_kind:     by_value
      - .offset:         128
        .size:           4
        .value_kind:     by_value
      - .offset:         136
        .size:           4
        .value_kind:     hidden_block_count_x
      - .offset:         140
        .size:           4
        .value_kind:     hidden_block_count_y
      - .offset:         144
        .size:           4
        .value_kind:     hidden_block_count_z
      - .offset:         148
        .size:           2
        .value_kind:     hidden_group_size_x
      - .offset:         150
        .size:           2
        .value_kind:     hidden_group_size_y
      - .offset:         152
        .size:           2
        .value_kind:     hidden_group_size_z
      - .offset:         154
        .size:           2
        .value_kind:     hidden_remainder_x
      - .offset:         156
        .size:           2
        .value_kind:     hidden_remainder_y
      - .offset:         158
        .size:           2
        .value_kind:     hidden_remainder_z
      - .offset:         176
        .size:           8
        .value_kind:     hidden_global_offset_x
      - .offset:         184
        .size:           8
        .value_kind:     hidden_global_offset_y
      - .offset:         192
        .size:           8
        .value_kind:     hidden_global_offset_z
      - .offset:         200
        .size:           2
        .value_kind:     hidden_grid_dims
    .group_segment_fixed_size: 16384
    .kernarg_segment_align: 8
    .kernarg_segment_size: 392
    .language:       OpenCL C
    .language_version:
      - 2
      - 0
    .max_flat_workgroup_size: 1024
    .name:           _ZL30rocblas_trmm_outofplace_kernelI19rocblas_complex_numIfELi32ELi2ELb0ELb1ELb1ELb1EPKS1_S2_S1_Ev17rocblas_diagonal_iiT6_lPT7_lllS7_lllPT8_llli
    .private_segment_fixed_size: 0
    .sgpr_count:     48
    .sgpr_spill_count: 0
    .symbol:         _ZL30rocblas_trmm_outofplace_kernelI19rocblas_complex_numIfELi32ELi2ELb0ELb1ELb1ELb1EPKS1_S2_S1_Ev17rocblas_diagonal_iiT6_lPT7_lllS7_lllPT8_llli.kd
    .uniform_work_group_size: 1
    .uses_dynamic_stack: false
    .vgpr_count:     86
    .vgpr_spill_count: 0
    .wavefront_size: 32
    .workgroup_processor_mode: 1
  - .args:
      - .offset:         0
        .size:           4
        .value_kind:     by_value
      - .offset:         4
        .size:           4
        .value_kind:     by_value
      - .offset:         8
        .size:           4
        .value_kind:     by_value
      - .offset:         12
        .size:           8
        .value_kind:     by_value
      - .offset:         24
        .size:           8
        .value_kind:     by_value
      - .address_space:  global
        .offset:         32
        .size:           8
        .value_kind:     global_buffer
      - .offset:         40
        .size:           8
        .value_kind:     by_value
      - .offset:         48
        .size:           8
        .value_kind:     by_value
      - .offset:         56
        .size:           8
        .value_kind:     by_value
      - .address_space:  global
        .offset:         64
        .size:           8
        .value_kind:     global_buffer
      - .offset:         72
        .size:           8
        .value_kind:     by_value
      - .offset:         80
        .size:           8
        .value_kind:     by_value
      - .offset:         88
        .size:           8
        .value_kind:     by_value
      - .address_space:  global
        .offset:         96
        .size:           8
        .value_kind:     global_buffer
      - .offset:         104
        .size:           8
        .value_kind:     by_value
      - .offset:         112
        .size:           8
        .value_kind:     by_value
      - .offset:         120
        .size:           8
        .value_kind:     by_value
      - .offset:         128
        .size:           4
        .value_kind:     by_value
      - .offset:         136
        .size:           4
        .value_kind:     hidden_block_count_x
      - .offset:         140
        .size:           4
        .value_kind:     hidden_block_count_y
      - .offset:         144
        .size:           4
        .value_kind:     hidden_block_count_z
      - .offset:         148
        .size:           2
        .value_kind:     hidden_group_size_x
      - .offset:         150
        .size:           2
        .value_kind:     hidden_group_size_y
      - .offset:         152
        .size:           2
        .value_kind:     hidden_group_size_z
      - .offset:         154
        .size:           2
        .value_kind:     hidden_remainder_x
      - .offset:         156
        .size:           2
        .value_kind:     hidden_remainder_y
      - .offset:         158
        .size:           2
        .value_kind:     hidden_remainder_z
      - .offset:         176
        .size:           8
        .value_kind:     hidden_global_offset_x
      - .offset:         184
        .size:           8
        .value_kind:     hidden_global_offset_y
      - .offset:         192
        .size:           8
        .value_kind:     hidden_global_offset_z
      - .offset:         200
        .size:           2
        .value_kind:     hidden_grid_dims
    .group_segment_fixed_size: 16384
    .kernarg_segment_align: 8
    .kernarg_segment_size: 392
    .language:       OpenCL C
    .language_version:
      - 2
      - 0
    .max_flat_workgroup_size: 1024
    .name:           _ZL30rocblas_trmm_outofplace_kernelI19rocblas_complex_numIfELi32ELi2ELb0ELb1ELb1ELb1ES1_KS1_S1_Ev17rocblas_diagonal_iiT6_lPT7_lllS6_lllPT8_llli
    .private_segment_fixed_size: 0
    .sgpr_count:     49
    .sgpr_spill_count: 0
    .symbol:         _ZL30rocblas_trmm_outofplace_kernelI19rocblas_complex_numIfELi32ELi2ELb0ELb1ELb1ELb1ES1_KS1_S1_Ev17rocblas_diagonal_iiT6_lPT7_lllS6_lllPT8_llli.kd
    .uniform_work_group_size: 1
    .uses_dynamic_stack: false
    .vgpr_count:     86
    .vgpr_spill_count: 0
    .wavefront_size: 32
    .workgroup_processor_mode: 1
  - .args:
      - .offset:         0
        .size:           4
        .value_kind:     by_value
      - .offset:         4
        .size:           4
        .value_kind:     by_value
      - .offset:         8
        .size:           4
        .value_kind:     by_value
      - .offset:         12
        .size:           4
        .value_kind:     by_value
      - .address_space:  global
        .offset:         16
        .size:           8
        .value_kind:     global_buffer
      - .offset:         24
        .size:           8
        .value_kind:     by_value
      - .address_space:  global
        .offset:         32
        .size:           8
        .value_kind:     global_buffer
      - .offset:         40
        .size:           8
        .value_kind:     by_value
      - .offset:         48
        .size:           8
        .value_kind:     by_value
      - .address_space:  global
        .offset:         56
        .size:           8
        .value_kind:     global_buffer
      - .offset:         64
        .size:           8
        .value_kind:     by_value
      - .offset:         72
        .size:           8
        .value_kind:     by_value
      - .address_space:  global
        .offset:         80
        .size:           8
        .value_kind:     global_buffer
      - .offset:         88
        .size:           8
        .value_kind:     by_value
      - .offset:         96
        .size:           8
        .value_kind:     by_value
      - .offset:         104
        .size:           4
        .value_kind:     by_value
    .group_segment_fixed_size: 4096
    .kernarg_segment_align: 8
    .kernarg_segment_size: 108
    .language:       OpenCL C
    .language_version:
      - 2
      - 0
    .max_flat_workgroup_size: 256
    .name:           _ZL23rocblas_trmm_lNx_kernelILi16E19rocblas_complex_numIfEPKS1_S2_S1_Ev13rocblas_fill_17rocblas_diagonal_iiT1_lPT2_llS8_llPT3_lli
    .private_segment_fixed_size: 0
    .sgpr_count:     34
    .sgpr_spill_count: 0
    .symbol:         _ZL23rocblas_trmm_lNx_kernelILi16E19rocblas_complex_numIfEPKS1_S2_S1_Ev13rocblas_fill_17rocblas_diagonal_iiT1_lPT2_llS8_llPT3_lli.kd
    .uniform_work_group_size: 1
    .uses_dynamic_stack: false
    .vgpr_count:     77
    .vgpr_spill_count: 0
    .wavefront_size: 32
    .workgroup_processor_mode: 1
  - .args:
      - .offset:         0
        .size:           4
        .value_kind:     by_value
      - .offset:         4
        .size:           4
        .value_kind:     by_value
      - .offset:         8
        .size:           4
        .value_kind:     by_value
      - .offset:         12
        .size:           4
        .value_kind:     by_value
      - .offset:         16
        .size:           8
        .value_kind:     by_value
      - .offset:         24
        .size:           8
        .value_kind:     by_value
      - .address_space:  global
        .offset:         32
        .size:           8
        .value_kind:     global_buffer
      - .offset:         40
        .size:           8
        .value_kind:     by_value
      - .offset:         48
        .size:           8
        .value_kind:     by_value
      - .address_space:  global
        .offset:         56
        .size:           8
        .value_kind:     global_buffer
      - .offset:         64
        .size:           8
        .value_kind:     by_value
      - .offset:         72
        .size:           8
        .value_kind:     by_value
      - .address_space:  global
        .offset:         80
        .size:           8
        .value_kind:     global_buffer
      - .offset:         88
        .size:           8
        .value_kind:     by_value
      - .offset:         96
        .size:           8
        .value_kind:     by_value
      - .offset:         104
        .size:           4
        .value_kind:     by_value
    .group_segment_fixed_size: 4096
    .kernarg_segment_align: 8
    .kernarg_segment_size: 108
    .language:       OpenCL C
    .language_version:
      - 2
      - 0
    .max_flat_workgroup_size: 256
    .name:           _ZL23rocblas_trmm_lNx_kernelILi16E19rocblas_complex_numIfES1_KS1_S1_Ev13rocblas_fill_17rocblas_diagonal_iiT1_lPT2_llS7_llPT3_lli
    .private_segment_fixed_size: 0
    .sgpr_count:     34
    .sgpr_spill_count: 0
    .symbol:         _ZL23rocblas_trmm_lNx_kernelILi16E19rocblas_complex_numIfES1_KS1_S1_Ev13rocblas_fill_17rocblas_diagonal_iiT1_lPT2_llS7_llPT3_lli.kd
    .uniform_work_group_size: 1
    .uses_dynamic_stack: false
    .vgpr_count:     78
    .vgpr_spill_count: 0
    .wavefront_size: 32
    .workgroup_processor_mode: 1
  - .args:
      - .offset:         0
        .size:           4
        .value_kind:     by_value
      - .offset:         4
        .size:           4
        .value_kind:     by_value
      - .offset:         8
        .size:           4
        .value_kind:     by_value
      - .offset:         12
        .size:           4
        .value_kind:     by_value
      - .address_space:  global
        .offset:         16
        .size:           8
        .value_kind:     global_buffer
      - .offset:         24
        .size:           8
        .value_kind:     by_value
      - .address_space:  global
        .offset:         32
        .size:           8
        .value_kind:     global_buffer
      - .offset:         40
        .size:           8
        .value_kind:     by_value
      - .offset:         48
        .size:           8
        .value_kind:     by_value
      - .address_space:  global
        .offset:         56
        .size:           8
        .value_kind:     global_buffer
      - .offset:         64
        .size:           8
        .value_kind:     by_value
      - .offset:         72
        .size:           8
        .value_kind:     by_value
      - .address_space:  global
        .offset:         80
        .size:           8
        .value_kind:     global_buffer
      - .offset:         88
        .size:           8
        .value_kind:     by_value
      - .offset:         96
        .size:           8
        .value_kind:     by_value
      - .offset:         104
        .size:           4
        .value_kind:     by_value
    .group_segment_fixed_size: 4096
    .kernarg_segment_align: 8
    .kernarg_segment_size: 108
    .language:       OpenCL C
    .language_version:
      - 2
      - 0
    .max_flat_workgroup_size: 256
    .name:           _ZL23rocblas_trmm_lTx_kernelILi16ELb0E19rocblas_complex_numIfEPKS1_S2_S1_Ev13rocblas_fill_17rocblas_diagonal_iiT2_lPT3_llS8_llPT4_lli
    .private_segment_fixed_size: 0
    .sgpr_count:     34
    .sgpr_spill_count: 0
    .symbol:         _ZL23rocblas_trmm_lTx_kernelILi16ELb0E19rocblas_complex_numIfEPKS1_S2_S1_Ev13rocblas_fill_17rocblas_diagonal_iiT2_lPT3_llS8_llPT4_lli.kd
    .uniform_work_group_size: 1
    .uses_dynamic_stack: false
    .vgpr_count:     77
    .vgpr_spill_count: 0
    .wavefront_size: 32
    .workgroup_processor_mode: 1
  - .args:
      - .offset:         0
        .size:           4
        .value_kind:     by_value
      - .offset:         4
        .size:           4
        .value_kind:     by_value
      - .offset:         8
        .size:           4
        .value_kind:     by_value
      - .offset:         12
        .size:           4
        .value_kind:     by_value
      - .offset:         16
        .size:           8
        .value_kind:     by_value
      - .offset:         24
        .size:           8
        .value_kind:     by_value
      - .address_space:  global
        .offset:         32
        .size:           8
        .value_kind:     global_buffer
      - .offset:         40
        .size:           8
        .value_kind:     by_value
      - .offset:         48
        .size:           8
        .value_kind:     by_value
      - .address_space:  global
        .offset:         56
        .size:           8
        .value_kind:     global_buffer
      - .offset:         64
        .size:           8
        .value_kind:     by_value
      - .offset:         72
        .size:           8
        .value_kind:     by_value
      - .address_space:  global
        .offset:         80
        .size:           8
        .value_kind:     global_buffer
      - .offset:         88
        .size:           8
        .value_kind:     by_value
      - .offset:         96
        .size:           8
        .value_kind:     by_value
      - .offset:         104
        .size:           4
        .value_kind:     by_value
    .group_segment_fixed_size: 4096
    .kernarg_segment_align: 8
    .kernarg_segment_size: 108
    .language:       OpenCL C
    .language_version:
      - 2
      - 0
    .max_flat_workgroup_size: 256
    .name:           _ZL23rocblas_trmm_lTx_kernelILi16ELb0E19rocblas_complex_numIfES1_KS1_S1_Ev13rocblas_fill_17rocblas_diagonal_iiT2_lPT3_llS7_llPT4_lli
    .private_segment_fixed_size: 0
    .sgpr_count:     34
    .sgpr_spill_count: 0
    .symbol:         _ZL23rocblas_trmm_lTx_kernelILi16ELb0E19rocblas_complex_numIfES1_KS1_S1_Ev13rocblas_fill_17rocblas_diagonal_iiT2_lPT3_llS7_llPT4_lli.kd
    .uniform_work_group_size: 1
    .uses_dynamic_stack: false
    .vgpr_count:     78
    .vgpr_spill_count: 0
    .wavefront_size: 32
    .workgroup_processor_mode: 1
  - .args:
      - .offset:         0
        .size:           4
        .value_kind:     by_value
      - .offset:         4
        .size:           4
        .value_kind:     by_value
      - .offset:         8
        .size:           4
        .value_kind:     by_value
      - .offset:         12
        .size:           4
        .value_kind:     by_value
      - .address_space:  global
        .offset:         16
        .size:           8
        .value_kind:     global_buffer
      - .offset:         24
        .size:           8
        .value_kind:     by_value
      - .address_space:  global
        .offset:         32
        .size:           8
        .value_kind:     global_buffer
      - .offset:         40
        .size:           8
        .value_kind:     by_value
      - .offset:         48
        .size:           8
        .value_kind:     by_value
      - .address_space:  global
        .offset:         56
        .size:           8
        .value_kind:     global_buffer
      - .offset:         64
        .size:           8
        .value_kind:     by_value
      - .offset:         72
        .size:           8
        .value_kind:     by_value
      - .address_space:  global
        .offset:         80
        .size:           8
        .value_kind:     global_buffer
      - .offset:         88
        .size:           8
        .value_kind:     by_value
      - .offset:         96
        .size:           8
        .value_kind:     by_value
      - .offset:         104
        .size:           4
        .value_kind:     by_value
    .group_segment_fixed_size: 4096
    .kernarg_segment_align: 8
    .kernarg_segment_size: 108
    .language:       OpenCL C
    .language_version:
      - 2
      - 0
    .max_flat_workgroup_size: 256
    .name:           _ZL23rocblas_trmm_lTx_kernelILi16ELb1E19rocblas_complex_numIfEPKS1_S2_S1_Ev13rocblas_fill_17rocblas_diagonal_iiT2_lPT3_llS8_llPT4_lli
    .private_segment_fixed_size: 0
    .sgpr_count:     34
    .sgpr_spill_count: 0
    .symbol:         _ZL23rocblas_trmm_lTx_kernelILi16ELb1E19rocblas_complex_numIfEPKS1_S2_S1_Ev13rocblas_fill_17rocblas_diagonal_iiT2_lPT3_llS8_llPT4_lli.kd
    .uniform_work_group_size: 1
    .uses_dynamic_stack: false
    .vgpr_count:     77
    .vgpr_spill_count: 0
    .wavefront_size: 32
    .workgroup_processor_mode: 1
  - .args:
      - .offset:         0
        .size:           4
        .value_kind:     by_value
      - .offset:         4
        .size:           4
        .value_kind:     by_value
      - .offset:         8
        .size:           4
        .value_kind:     by_value
      - .offset:         12
        .size:           4
        .value_kind:     by_value
      - .offset:         16
        .size:           8
        .value_kind:     by_value
      - .offset:         24
        .size:           8
        .value_kind:     by_value
      - .address_space:  global
        .offset:         32
        .size:           8
        .value_kind:     global_buffer
      - .offset:         40
        .size:           8
        .value_kind:     by_value
      - .offset:         48
        .size:           8
        .value_kind:     by_value
      - .address_space:  global
        .offset:         56
        .size:           8
        .value_kind:     global_buffer
      - .offset:         64
        .size:           8
        .value_kind:     by_value
      - .offset:         72
        .size:           8
        .value_kind:     by_value
      - .address_space:  global
        .offset:         80
        .size:           8
        .value_kind:     global_buffer
      - .offset:         88
        .size:           8
        .value_kind:     by_value
      - .offset:         96
        .size:           8
        .value_kind:     by_value
      - .offset:         104
        .size:           4
        .value_kind:     by_value
    .group_segment_fixed_size: 4096
    .kernarg_segment_align: 8
    .kernarg_segment_size: 108
    .language:       OpenCL C
    .language_version:
      - 2
      - 0
    .max_flat_workgroup_size: 256
    .name:           _ZL23rocblas_trmm_lTx_kernelILi16ELb1E19rocblas_complex_numIfES1_KS1_S1_Ev13rocblas_fill_17rocblas_diagonal_iiT2_lPT3_llS7_llPT4_lli
    .private_segment_fixed_size: 0
    .sgpr_count:     34
    .sgpr_spill_count: 0
    .symbol:         _ZL23rocblas_trmm_lTx_kernelILi16ELb1E19rocblas_complex_numIfES1_KS1_S1_Ev13rocblas_fill_17rocblas_diagonal_iiT2_lPT3_llS7_llPT4_lli.kd
    .uniform_work_group_size: 1
    .uses_dynamic_stack: false
    .vgpr_count:     78
    .vgpr_spill_count: 0
    .wavefront_size: 32
    .workgroup_processor_mode: 1
  - .args:
      - .offset:         0
        .size:           4
        .value_kind:     by_value
      - .offset:         4
        .size:           4
        .value_kind:     by_value
      - .offset:         8
        .size:           4
        .value_kind:     by_value
      - .offset:         12
        .size:           4
        .value_kind:     by_value
      - .address_space:  global
        .offset:         16
        .size:           8
        .value_kind:     global_buffer
      - .offset:         24
        .size:           8
        .value_kind:     by_value
      - .address_space:  global
        .offset:         32
        .size:           8
        .value_kind:     global_buffer
      - .offset:         40
        .size:           8
        .value_kind:     by_value
      - .offset:         48
        .size:           8
        .value_kind:     by_value
      - .address_space:  global
        .offset:         56
        .size:           8
        .value_kind:     global_buffer
      - .offset:         64
        .size:           8
        .value_kind:     by_value
      - .offset:         72
        .size:           8
        .value_kind:     by_value
      - .address_space:  global
        .offset:         80
        .size:           8
        .value_kind:     global_buffer
      - .offset:         88
        .size:           8
        .value_kind:     by_value
      - .offset:         96
        .size:           8
        .value_kind:     by_value
      - .offset:         104
        .size:           4
        .value_kind:     by_value
    .group_segment_fixed_size: 4096
    .kernarg_segment_align: 8
    .kernarg_segment_size: 108
    .language:       OpenCL C
    .language_version:
      - 2
      - 0
    .max_flat_workgroup_size: 256
    .name:           _ZL23rocblas_trmm_rNx_kernelILi16E19rocblas_complex_numIfEPKS1_S2_S1_Ev13rocblas_fill_17rocblas_diagonal_iiT1_lPT2_llS8_llPT3_lli
    .private_segment_fixed_size: 0
    .sgpr_count:     34
    .sgpr_spill_count: 0
    .symbol:         _ZL23rocblas_trmm_rNx_kernelILi16E19rocblas_complex_numIfEPKS1_S2_S1_Ev13rocblas_fill_17rocblas_diagonal_iiT1_lPT2_llS8_llPT3_lli.kd
    .uniform_work_group_size: 1
    .uses_dynamic_stack: false
    .vgpr_count:     79
    .vgpr_spill_count: 0
    .wavefront_size: 32
    .workgroup_processor_mode: 1
  - .args:
      - .offset:         0
        .size:           4
        .value_kind:     by_value
      - .offset:         4
        .size:           4
        .value_kind:     by_value
      - .offset:         8
        .size:           4
        .value_kind:     by_value
      - .offset:         12
        .size:           4
        .value_kind:     by_value
      - .offset:         16
        .size:           8
        .value_kind:     by_value
      - .offset:         24
        .size:           8
        .value_kind:     by_value
      - .address_space:  global
        .offset:         32
        .size:           8
        .value_kind:     global_buffer
      - .offset:         40
        .size:           8
        .value_kind:     by_value
      - .offset:         48
        .size:           8
        .value_kind:     by_value
      - .address_space:  global
        .offset:         56
        .size:           8
        .value_kind:     global_buffer
      - .offset:         64
        .size:           8
        .value_kind:     by_value
      - .offset:         72
        .size:           8
        .value_kind:     by_value
      - .address_space:  global
        .offset:         80
        .size:           8
        .value_kind:     global_buffer
      - .offset:         88
        .size:           8
        .value_kind:     by_value
      - .offset:         96
        .size:           8
        .value_kind:     by_value
      - .offset:         104
        .size:           4
        .value_kind:     by_value
    .group_segment_fixed_size: 4096
    .kernarg_segment_align: 8
    .kernarg_segment_size: 108
    .language:       OpenCL C
    .language_version:
      - 2
      - 0
    .max_flat_workgroup_size: 256
    .name:           _ZL23rocblas_trmm_rNx_kernelILi16E19rocblas_complex_numIfES1_KS1_S1_Ev13rocblas_fill_17rocblas_diagonal_iiT1_lPT2_llS7_llPT3_lli
    .private_segment_fixed_size: 0
    .sgpr_count:     34
    .sgpr_spill_count: 0
    .symbol:         _ZL23rocblas_trmm_rNx_kernelILi16E19rocblas_complex_numIfES1_KS1_S1_Ev13rocblas_fill_17rocblas_diagonal_iiT1_lPT2_llS7_llPT3_lli.kd
    .uniform_work_group_size: 1
    .uses_dynamic_stack: false
    .vgpr_count:     79
    .vgpr_spill_count: 0
    .wavefront_size: 32
    .workgroup_processor_mode: 1
  - .args:
      - .offset:         0
        .size:           4
        .value_kind:     by_value
      - .offset:         4
        .size:           4
        .value_kind:     by_value
      - .offset:         8
        .size:           4
        .value_kind:     by_value
      - .offset:         12
        .size:           4
        .value_kind:     by_value
      - .address_space:  global
        .offset:         16
        .size:           8
        .value_kind:     global_buffer
      - .offset:         24
        .size:           8
        .value_kind:     by_value
      - .address_space:  global
        .offset:         32
        .size:           8
        .value_kind:     global_buffer
      - .offset:         40
        .size:           8
        .value_kind:     by_value
      - .offset:         48
        .size:           8
        .value_kind:     by_value
      - .address_space:  global
        .offset:         56
        .size:           8
        .value_kind:     global_buffer
      - .offset:         64
        .size:           8
        .value_kind:     by_value
      - .offset:         72
        .size:           8
        .value_kind:     by_value
      - .address_space:  global
        .offset:         80
        .size:           8
        .value_kind:     global_buffer
      - .offset:         88
        .size:           8
        .value_kind:     by_value
      - .offset:         96
        .size:           8
        .value_kind:     by_value
      - .offset:         104
        .size:           4
        .value_kind:     by_value
    .group_segment_fixed_size: 4096
    .kernarg_segment_align: 8
    .kernarg_segment_size: 108
    .language:       OpenCL C
    .language_version:
      - 2
      - 0
    .max_flat_workgroup_size: 256
    .name:           _ZL23rocblas_trmm_rTx_kernelILi16ELb0E19rocblas_complex_numIfEPKS1_S2_S1_Ev13rocblas_fill_17rocblas_diagonal_iiT2_lPT3_llS8_llPT4_lli
    .private_segment_fixed_size: 0
    .sgpr_count:     34
    .sgpr_spill_count: 0
    .symbol:         _ZL23rocblas_trmm_rTx_kernelILi16ELb0E19rocblas_complex_numIfEPKS1_S2_S1_Ev13rocblas_fill_17rocblas_diagonal_iiT2_lPT3_llS8_llPT4_lli.kd
    .uniform_work_group_size: 1
    .uses_dynamic_stack: false
    .vgpr_count:     79
    .vgpr_spill_count: 0
    .wavefront_size: 32
    .workgroup_processor_mode: 1
  - .args:
      - .offset:         0
        .size:           4
        .value_kind:     by_value
      - .offset:         4
        .size:           4
        .value_kind:     by_value
      - .offset:         8
        .size:           4
        .value_kind:     by_value
      - .offset:         12
        .size:           4
        .value_kind:     by_value
      - .offset:         16
        .size:           8
        .value_kind:     by_value
      - .offset:         24
        .size:           8
        .value_kind:     by_value
      - .address_space:  global
        .offset:         32
        .size:           8
        .value_kind:     global_buffer
      - .offset:         40
        .size:           8
        .value_kind:     by_value
      - .offset:         48
        .size:           8
        .value_kind:     by_value
      - .address_space:  global
        .offset:         56
        .size:           8
        .value_kind:     global_buffer
      - .offset:         64
        .size:           8
        .value_kind:     by_value
      - .offset:         72
        .size:           8
        .value_kind:     by_value
      - .address_space:  global
        .offset:         80
        .size:           8
        .value_kind:     global_buffer
      - .offset:         88
        .size:           8
        .value_kind:     by_value
      - .offset:         96
        .size:           8
        .value_kind:     by_value
      - .offset:         104
        .size:           4
        .value_kind:     by_value
    .group_segment_fixed_size: 4096
    .kernarg_segment_align: 8
    .kernarg_segment_size: 108
    .language:       OpenCL C
    .language_version:
      - 2
      - 0
    .max_flat_workgroup_size: 256
    .name:           _ZL23rocblas_trmm_rTx_kernelILi16ELb0E19rocblas_complex_numIfES1_KS1_S1_Ev13rocblas_fill_17rocblas_diagonal_iiT2_lPT3_llS7_llPT4_lli
    .private_segment_fixed_size: 0
    .sgpr_count:     34
    .sgpr_spill_count: 0
    .symbol:         _ZL23rocblas_trmm_rTx_kernelILi16ELb0E19rocblas_complex_numIfES1_KS1_S1_Ev13rocblas_fill_17rocblas_diagonal_iiT2_lPT3_llS7_llPT4_lli.kd
    .uniform_work_group_size: 1
    .uses_dynamic_stack: false
    .vgpr_count:     79
    .vgpr_spill_count: 0
    .wavefront_size: 32
    .workgroup_processor_mode: 1
  - .args:
      - .offset:         0
        .size:           4
        .value_kind:     by_value
      - .offset:         4
        .size:           4
        .value_kind:     by_value
      - .offset:         8
        .size:           4
        .value_kind:     by_value
      - .offset:         12
        .size:           4
        .value_kind:     by_value
      - .address_space:  global
        .offset:         16
        .size:           8
        .value_kind:     global_buffer
      - .offset:         24
        .size:           8
        .value_kind:     by_value
      - .address_space:  global
        .offset:         32
        .size:           8
        .value_kind:     global_buffer
      - .offset:         40
        .size:           8
        .value_kind:     by_value
      - .offset:         48
        .size:           8
        .value_kind:     by_value
      - .address_space:  global
        .offset:         56
        .size:           8
        .value_kind:     global_buffer
      - .offset:         64
        .size:           8
        .value_kind:     by_value
      - .offset:         72
        .size:           8
        .value_kind:     by_value
      - .address_space:  global
        .offset:         80
        .size:           8
        .value_kind:     global_buffer
      - .offset:         88
        .size:           8
        .value_kind:     by_value
      - .offset:         96
        .size:           8
        .value_kind:     by_value
      - .offset:         104
        .size:           4
        .value_kind:     by_value
    .group_segment_fixed_size: 4096
    .kernarg_segment_align: 8
    .kernarg_segment_size: 108
    .language:       OpenCL C
    .language_version:
      - 2
      - 0
    .max_flat_workgroup_size: 256
    .name:           _ZL23rocblas_trmm_rTx_kernelILi16ELb1E19rocblas_complex_numIfEPKS1_S2_S1_Ev13rocblas_fill_17rocblas_diagonal_iiT2_lPT3_llS8_llPT4_lli
    .private_segment_fixed_size: 0
    .sgpr_count:     34
    .sgpr_spill_count: 0
    .symbol:         _ZL23rocblas_trmm_rTx_kernelILi16ELb1E19rocblas_complex_numIfEPKS1_S2_S1_Ev13rocblas_fill_17rocblas_diagonal_iiT2_lPT3_llS8_llPT4_lli.kd
    .uniform_work_group_size: 1
    .uses_dynamic_stack: false
    .vgpr_count:     79
    .vgpr_spill_count: 0
    .wavefront_size: 32
    .workgroup_processor_mode: 1
  - .args:
      - .offset:         0
        .size:           4
        .value_kind:     by_value
      - .offset:         4
        .size:           4
        .value_kind:     by_value
      - .offset:         8
        .size:           4
        .value_kind:     by_value
      - .offset:         12
        .size:           4
        .value_kind:     by_value
      - .offset:         16
        .size:           8
        .value_kind:     by_value
      - .offset:         24
        .size:           8
        .value_kind:     by_value
      - .address_space:  global
        .offset:         32
        .size:           8
        .value_kind:     global_buffer
      - .offset:         40
        .size:           8
        .value_kind:     by_value
      - .offset:         48
        .size:           8
        .value_kind:     by_value
      - .address_space:  global
        .offset:         56
        .size:           8
        .value_kind:     global_buffer
      - .offset:         64
        .size:           8
        .value_kind:     by_value
      - .offset:         72
        .size:           8
        .value_kind:     by_value
      - .address_space:  global
        .offset:         80
        .size:           8
        .value_kind:     global_buffer
      - .offset:         88
        .size:           8
        .value_kind:     by_value
      - .offset:         96
        .size:           8
        .value_kind:     by_value
      - .offset:         104
        .size:           4
        .value_kind:     by_value
    .group_segment_fixed_size: 4096
    .kernarg_segment_align: 8
    .kernarg_segment_size: 108
    .language:       OpenCL C
    .language_version:
      - 2
      - 0
    .max_flat_workgroup_size: 256
    .name:           _ZL23rocblas_trmm_rTx_kernelILi16ELb1E19rocblas_complex_numIfES1_KS1_S1_Ev13rocblas_fill_17rocblas_diagonal_iiT2_lPT3_llS7_llPT4_lli
    .private_segment_fixed_size: 0
    .sgpr_count:     34
    .sgpr_spill_count: 0
    .symbol:         _ZL23rocblas_trmm_rTx_kernelILi16ELb1E19rocblas_complex_numIfES1_KS1_S1_Ev13rocblas_fill_17rocblas_diagonal_iiT2_lPT3_llS7_llPT4_lli.kd
    .uniform_work_group_size: 1
    .uses_dynamic_stack: false
    .vgpr_count:     79
    .vgpr_spill_count: 0
    .wavefront_size: 32
    .workgroup_processor_mode: 1
  - .args:
      - .offset:         0
        .size:           4
        .value_kind:     by_value
      - .offset:         4
        .size:           4
        .value_kind:     by_value
      - .offset:         8
        .size:           4
        .value_kind:     by_value
      - .address_space:  global
        .offset:         16
        .size:           8
        .value_kind:     global_buffer
      - .offset:         24
        .size:           8
        .value_kind:     by_value
      - .address_space:  global
        .offset:         32
        .size:           8
        .value_kind:     global_buffer
      - .offset:         40
        .size:           8
        .value_kind:     by_value
      - .offset:         48
        .size:           8
        .value_kind:     by_value
      - .offset:         56
        .size:           8
        .value_kind:     by_value
      - .address_space:  global
        .offset:         64
        .size:           8
        .value_kind:     global_buffer
      - .offset:         72
        .size:           8
        .value_kind:     by_value
      - .offset:         80
        .size:           8
        .value_kind:     by_value
      - .offset:         88
        .size:           8
        .value_kind:     by_value
      - .address_space:  global
        .offset:         96
        .size:           8
        .value_kind:     global_buffer
      - .offset:         104
        .size:           8
        .value_kind:     by_value
      - .offset:         112
        .size:           8
        .value_kind:     by_value
      - .offset:         120
        .size:           8
        .value_kind:     by_value
      - .offset:         128
        .size:           4
        .value_kind:     by_value
      - .offset:         136
        .size:           4
        .value_kind:     hidden_block_count_x
      - .offset:         140
        .size:           4
        .value_kind:     hidden_block_count_y
      - .offset:         144
        .size:           4
        .value_kind:     hidden_block_count_z
      - .offset:         148
        .size:           2
        .value_kind:     hidden_group_size_x
      - .offset:         150
        .size:           2
        .value_kind:     hidden_group_size_y
      - .offset:         152
        .size:           2
        .value_kind:     hidden_group_size_z
      - .offset:         154
        .size:           2
        .value_kind:     hidden_remainder_x
      - .offset:         156
        .size:           2
        .value_kind:     hidden_remainder_y
      - .offset:         158
        .size:           2
        .value_kind:     hidden_remainder_z
      - .offset:         176
        .size:           8
        .value_kind:     hidden_global_offset_x
      - .offset:         184
        .size:           8
        .value_kind:     hidden_global_offset_y
      - .offset:         192
        .size:           8
        .value_kind:     hidden_global_offset_z
      - .offset:         200
        .size:           2
        .value_kind:     hidden_grid_dims
    .group_segment_fixed_size: 32768
    .kernarg_segment_align: 8
    .kernarg_segment_size: 392
    .language:       OpenCL C
    .language_version:
      - 2
      - 0
    .max_flat_workgroup_size: 1024
    .name:           _ZL30rocblas_trmm_outofplace_kernelI19rocblas_complex_numIdELi32ELi2ELb1ELb0ELb0ELb0EPKS1_S2_S1_Ev17rocblas_diagonal_iiT6_lPT7_lllS7_lllPT8_llli
    .private_segment_fixed_size: 0
    .sgpr_count:     52
    .sgpr_spill_count: 0
    .symbol:         _ZL30rocblas_trmm_outofplace_kernelI19rocblas_complex_numIdELi32ELi2ELb1ELb0ELb0ELb0EPKS1_S2_S1_Ev17rocblas_diagonal_iiT6_lPT7_lllS7_lllPT8_llli.kd
    .uniform_work_group_size: 1
    .uses_dynamic_stack: false
    .vgpr_count:     88
    .vgpr_spill_count: 0
    .wavefront_size: 32
    .workgroup_processor_mode: 1
  - .args:
      - .offset:         0
        .size:           4
        .value_kind:     by_value
      - .offset:         4
        .size:           4
        .value_kind:     by_value
      - .offset:         8
        .size:           4
        .value_kind:     by_value
      - .offset:         16
        .size:           16
        .value_kind:     by_value
      - .offset:         32
        .size:           8
        .value_kind:     by_value
      - .address_space:  global
        .offset:         40
        .size:           8
        .value_kind:     global_buffer
      - .offset:         48
        .size:           8
        .value_kind:     by_value
      - .offset:         56
        .size:           8
        .value_kind:     by_value
      - .offset:         64
        .size:           8
        .value_kind:     by_value
      - .address_space:  global
        .offset:         72
        .size:           8
        .value_kind:     global_buffer
      - .offset:         80
        .size:           8
        .value_kind:     by_value
      - .offset:         88
        .size:           8
        .value_kind:     by_value
      - .offset:         96
        .size:           8
        .value_kind:     by_value
      - .address_space:  global
        .offset:         104
        .size:           8
        .value_kind:     global_buffer
      - .offset:         112
        .size:           8
        .value_kind:     by_value
      - .offset:         120
        .size:           8
        .value_kind:     by_value
      - .offset:         128
        .size:           8
        .value_kind:     by_value
      - .offset:         136
        .size:           4
        .value_kind:     by_value
      - .offset:         144
        .size:           4
        .value_kind:     hidden_block_count_x
      - .offset:         148
        .size:           4
        .value_kind:     hidden_block_count_y
      - .offset:         152
        .size:           4
        .value_kind:     hidden_block_count_z
      - .offset:         156
        .size:           2
        .value_kind:     hidden_group_size_x
      - .offset:         158
        .size:           2
        .value_kind:     hidden_group_size_y
      - .offset:         160
        .size:           2
        .value_kind:     hidden_group_size_z
      - .offset:         162
        .size:           2
        .value_kind:     hidden_remainder_x
      - .offset:         164
        .size:           2
        .value_kind:     hidden_remainder_y
      - .offset:         166
        .size:           2
        .value_kind:     hidden_remainder_z
      - .offset:         184
        .size:           8
        .value_kind:     hidden_global_offset_x
      - .offset:         192
        .size:           8
        .value_kind:     hidden_global_offset_y
      - .offset:         200
        .size:           8
        .value_kind:     hidden_global_offset_z
      - .offset:         208
        .size:           2
        .value_kind:     hidden_grid_dims
    .group_segment_fixed_size: 32768
    .kernarg_segment_align: 8
    .kernarg_segment_size: 400
    .language:       OpenCL C
    .language_version:
      - 2
      - 0
    .max_flat_workgroup_size: 1024
    .name:           _ZL30rocblas_trmm_outofplace_kernelI19rocblas_complex_numIdELi32ELi2ELb1ELb0ELb0ELb0ES1_KS1_S1_Ev17rocblas_diagonal_iiT6_lPT7_lllS6_lllPT8_llli
    .private_segment_fixed_size: 0
    .sgpr_count:     52
    .sgpr_spill_count: 0
    .symbol:         _ZL30rocblas_trmm_outofplace_kernelI19rocblas_complex_numIdELi32ELi2ELb1ELb0ELb0ELb0ES1_KS1_S1_Ev17rocblas_diagonal_iiT6_lPT7_lllS6_lllPT8_llli.kd
    .uniform_work_group_size: 1
    .uses_dynamic_stack: false
    .vgpr_count:     88
    .vgpr_spill_count: 0
    .wavefront_size: 32
    .workgroup_processor_mode: 1
  - .args:
      - .offset:         0
        .size:           4
        .value_kind:     by_value
      - .offset:         4
        .size:           4
        .value_kind:     by_value
      - .offset:         8
        .size:           4
        .value_kind:     by_value
      - .address_space:  global
        .offset:         16
        .size:           8
        .value_kind:     global_buffer
      - .offset:         24
        .size:           8
        .value_kind:     by_value
      - .address_space:  global
        .offset:         32
        .size:           8
        .value_kind:     global_buffer
      - .offset:         40
        .size:           8
        .value_kind:     by_value
      - .offset:         48
        .size:           8
        .value_kind:     by_value
      - .offset:         56
        .size:           8
        .value_kind:     by_value
      - .address_space:  global
        .offset:         64
        .size:           8
        .value_kind:     global_buffer
      - .offset:         72
        .size:           8
        .value_kind:     by_value
      - .offset:         80
        .size:           8
        .value_kind:     by_value
      - .offset:         88
        .size:           8
        .value_kind:     by_value
      - .address_space:  global
        .offset:         96
        .size:           8
        .value_kind:     global_buffer
      - .offset:         104
        .size:           8
        .value_kind:     by_value
      - .offset:         112
        .size:           8
        .value_kind:     by_value
      - .offset:         120
        .size:           8
        .value_kind:     by_value
      - .offset:         128
        .size:           4
        .value_kind:     by_value
      - .offset:         136
        .size:           4
        .value_kind:     hidden_block_count_x
      - .offset:         140
        .size:           4
        .value_kind:     hidden_block_count_y
      - .offset:         144
        .size:           4
        .value_kind:     hidden_block_count_z
      - .offset:         148
        .size:           2
        .value_kind:     hidden_group_size_x
      - .offset:         150
        .size:           2
        .value_kind:     hidden_group_size_y
      - .offset:         152
        .size:           2
        .value_kind:     hidden_group_size_z
      - .offset:         154
        .size:           2
        .value_kind:     hidden_remainder_x
      - .offset:         156
        .size:           2
        .value_kind:     hidden_remainder_y
      - .offset:         158
        .size:           2
        .value_kind:     hidden_remainder_z
      - .offset:         176
        .size:           8
        .value_kind:     hidden_global_offset_x
      - .offset:         184
        .size:           8
        .value_kind:     hidden_global_offset_y
      - .offset:         192
        .size:           8
        .value_kind:     hidden_global_offset_z
      - .offset:         200
        .size:           2
        .value_kind:     hidden_grid_dims
    .group_segment_fixed_size: 32768
    .kernarg_segment_align: 8
    .kernarg_segment_size: 392
    .language:       OpenCL C
    .language_version:
      - 2
      - 0
    .max_flat_workgroup_size: 1024
    .name:           _ZL30rocblas_trmm_outofplace_kernelI19rocblas_complex_numIdELi32ELi2ELb1ELb1ELb0ELb0EPKS1_S2_S1_Ev17rocblas_diagonal_iiT6_lPT7_lllS7_lllPT8_llli
    .private_segment_fixed_size: 0
    .sgpr_count:     52
    .sgpr_spill_count: 0
    .symbol:         _ZL30rocblas_trmm_outofplace_kernelI19rocblas_complex_numIdELi32ELi2ELb1ELb1ELb0ELb0EPKS1_S2_S1_Ev17rocblas_diagonal_iiT6_lPT7_lllS7_lllPT8_llli.kd
    .uniform_work_group_size: 1
    .uses_dynamic_stack: false
    .vgpr_count:     87
    .vgpr_spill_count: 0
    .wavefront_size: 32
    .workgroup_processor_mode: 1
  - .args:
      - .offset:         0
        .size:           4
        .value_kind:     by_value
      - .offset:         4
        .size:           4
        .value_kind:     by_value
      - .offset:         8
        .size:           4
        .value_kind:     by_value
      - .offset:         16
        .size:           16
        .value_kind:     by_value
      - .offset:         32
        .size:           8
        .value_kind:     by_value
      - .address_space:  global
        .offset:         40
        .size:           8
        .value_kind:     global_buffer
      - .offset:         48
        .size:           8
        .value_kind:     by_value
      - .offset:         56
        .size:           8
        .value_kind:     by_value
      - .offset:         64
        .size:           8
        .value_kind:     by_value
      - .address_space:  global
        .offset:         72
        .size:           8
        .value_kind:     global_buffer
      - .offset:         80
        .size:           8
        .value_kind:     by_value
      - .offset:         88
        .size:           8
        .value_kind:     by_value
      - .offset:         96
        .size:           8
        .value_kind:     by_value
      - .address_space:  global
        .offset:         104
        .size:           8
        .value_kind:     global_buffer
      - .offset:         112
        .size:           8
        .value_kind:     by_value
      - .offset:         120
        .size:           8
        .value_kind:     by_value
      - .offset:         128
        .size:           8
        .value_kind:     by_value
      - .offset:         136
        .size:           4
        .value_kind:     by_value
      - .offset:         144
        .size:           4
        .value_kind:     hidden_block_count_x
      - .offset:         148
        .size:           4
        .value_kind:     hidden_block_count_y
      - .offset:         152
        .size:           4
        .value_kind:     hidden_block_count_z
      - .offset:         156
        .size:           2
        .value_kind:     hidden_group_size_x
      - .offset:         158
        .size:           2
        .value_kind:     hidden_group_size_y
      - .offset:         160
        .size:           2
        .value_kind:     hidden_group_size_z
      - .offset:         162
        .size:           2
        .value_kind:     hidden_remainder_x
      - .offset:         164
        .size:           2
        .value_kind:     hidden_remainder_y
      - .offset:         166
        .size:           2
        .value_kind:     hidden_remainder_z
      - .offset:         184
        .size:           8
        .value_kind:     hidden_global_offset_x
      - .offset:         192
        .size:           8
        .value_kind:     hidden_global_offset_y
      - .offset:         200
        .size:           8
        .value_kind:     hidden_global_offset_z
      - .offset:         208
        .size:           2
        .value_kind:     hidden_grid_dims
    .group_segment_fixed_size: 32768
    .kernarg_segment_align: 8
    .kernarg_segment_size: 400
    .language:       OpenCL C
    .language_version:
      - 2
      - 0
    .max_flat_workgroup_size: 1024
    .name:           _ZL30rocblas_trmm_outofplace_kernelI19rocblas_complex_numIdELi32ELi2ELb1ELb1ELb0ELb0ES1_KS1_S1_Ev17rocblas_diagonal_iiT6_lPT7_lllS6_lllPT8_llli
    .private_segment_fixed_size: 0
    .sgpr_count:     52
    .sgpr_spill_count: 0
    .symbol:         _ZL30rocblas_trmm_outofplace_kernelI19rocblas_complex_numIdELi32ELi2ELb1ELb1ELb0ELb0ES1_KS1_S1_Ev17rocblas_diagonal_iiT6_lPT7_lllS6_lllPT8_llli.kd
    .uniform_work_group_size: 1
    .uses_dynamic_stack: false
    .vgpr_count:     87
    .vgpr_spill_count: 0
    .wavefront_size: 32
    .workgroup_processor_mode: 1
  - .args:
      - .offset:         0
        .size:           4
        .value_kind:     by_value
      - .offset:         4
        .size:           4
        .value_kind:     by_value
      - .offset:         8
        .size:           4
        .value_kind:     by_value
      - .address_space:  global
        .offset:         16
        .size:           8
        .value_kind:     global_buffer
      - .offset:         24
        .size:           8
        .value_kind:     by_value
      - .address_space:  global
        .offset:         32
        .size:           8
        .value_kind:     global_buffer
      - .offset:         40
        .size:           8
        .value_kind:     by_value
      - .offset:         48
        .size:           8
        .value_kind:     by_value
      - .offset:         56
        .size:           8
        .value_kind:     by_value
      - .address_space:  global
        .offset:         64
        .size:           8
        .value_kind:     global_buffer
      - .offset:         72
        .size:           8
        .value_kind:     by_value
      - .offset:         80
        .size:           8
        .value_kind:     by_value
      - .offset:         88
        .size:           8
        .value_kind:     by_value
      - .address_space:  global
        .offset:         96
        .size:           8
        .value_kind:     global_buffer
      - .offset:         104
        .size:           8
        .value_kind:     by_value
      - .offset:         112
        .size:           8
        .value_kind:     by_value
      - .offset:         120
        .size:           8
        .value_kind:     by_value
      - .offset:         128
        .size:           4
        .value_kind:     by_value
      - .offset:         136
        .size:           4
        .value_kind:     hidden_block_count_x
      - .offset:         140
        .size:           4
        .value_kind:     hidden_block_count_y
      - .offset:         144
        .size:           4
        .value_kind:     hidden_block_count_z
      - .offset:         148
        .size:           2
        .value_kind:     hidden_group_size_x
      - .offset:         150
        .size:           2
        .value_kind:     hidden_group_size_y
      - .offset:         152
        .size:           2
        .value_kind:     hidden_group_size_z
      - .offset:         154
        .size:           2
        .value_kind:     hidden_remainder_x
      - .offset:         156
        .size:           2
        .value_kind:     hidden_remainder_y
      - .offset:         158
        .size:           2
        .value_kind:     hidden_remainder_z
      - .offset:         176
        .size:           8
        .value_kind:     hidden_global_offset_x
      - .offset:         184
        .size:           8
        .value_kind:     hidden_global_offset_y
      - .offset:         192
        .size:           8
        .value_kind:     hidden_global_offset_z
      - .offset:         200
        .size:           2
        .value_kind:     hidden_grid_dims
    .group_segment_fixed_size: 32768
    .kernarg_segment_align: 8
    .kernarg_segment_size: 392
    .language:       OpenCL C
    .language_version:
      - 2
      - 0
    .max_flat_workgroup_size: 1024
    .name:           _ZL30rocblas_trmm_outofplace_kernelI19rocblas_complex_numIdELi32ELi2ELb1ELb0ELb1ELb0EPKS1_S2_S1_Ev17rocblas_diagonal_iiT6_lPT7_lllS7_lllPT8_llli
    .private_segment_fixed_size: 0
    .sgpr_count:     50
    .sgpr_spill_count: 0
    .symbol:         _ZL30rocblas_trmm_outofplace_kernelI19rocblas_complex_numIdELi32ELi2ELb1ELb0ELb1ELb0EPKS1_S2_S1_Ev17rocblas_diagonal_iiT6_lPT7_lllS7_lllPT8_llli.kd
    .uniform_work_group_size: 1
    .uses_dynamic_stack: false
    .vgpr_count:     85
    .vgpr_spill_count: 0
    .wavefront_size: 32
    .workgroup_processor_mode: 1
  - .args:
      - .offset:         0
        .size:           4
        .value_kind:     by_value
      - .offset:         4
        .size:           4
        .value_kind:     by_value
      - .offset:         8
        .size:           4
        .value_kind:     by_value
      - .offset:         16
        .size:           16
        .value_kind:     by_value
      - .offset:         32
        .size:           8
        .value_kind:     by_value
      - .address_space:  global
        .offset:         40
        .size:           8
        .value_kind:     global_buffer
      - .offset:         48
        .size:           8
        .value_kind:     by_value
      - .offset:         56
        .size:           8
        .value_kind:     by_value
      - .offset:         64
        .size:           8
        .value_kind:     by_value
      - .address_space:  global
        .offset:         72
        .size:           8
        .value_kind:     global_buffer
      - .offset:         80
        .size:           8
        .value_kind:     by_value
      - .offset:         88
        .size:           8
        .value_kind:     by_value
      - .offset:         96
        .size:           8
        .value_kind:     by_value
      - .address_space:  global
        .offset:         104
        .size:           8
        .value_kind:     global_buffer
      - .offset:         112
        .size:           8
        .value_kind:     by_value
      - .offset:         120
        .size:           8
        .value_kind:     by_value
      - .offset:         128
        .size:           8
        .value_kind:     by_value
      - .offset:         136
        .size:           4
        .value_kind:     by_value
      - .offset:         144
        .size:           4
        .value_kind:     hidden_block_count_x
      - .offset:         148
        .size:           4
        .value_kind:     hidden_block_count_y
      - .offset:         152
        .size:           4
        .value_kind:     hidden_block_count_z
      - .offset:         156
        .size:           2
        .value_kind:     hidden_group_size_x
      - .offset:         158
        .size:           2
        .value_kind:     hidden_group_size_y
      - .offset:         160
        .size:           2
        .value_kind:     hidden_group_size_z
      - .offset:         162
        .size:           2
        .value_kind:     hidden_remainder_x
      - .offset:         164
        .size:           2
        .value_kind:     hidden_remainder_y
      - .offset:         166
        .size:           2
        .value_kind:     hidden_remainder_z
      - .offset:         184
        .size:           8
        .value_kind:     hidden_global_offset_x
      - .offset:         192
        .size:           8
        .value_kind:     hidden_global_offset_y
      - .offset:         200
        .size:           8
        .value_kind:     hidden_global_offset_z
      - .offset:         208
        .size:           2
        .value_kind:     hidden_grid_dims
    .group_segment_fixed_size: 32768
    .kernarg_segment_align: 8
    .kernarg_segment_size: 400
    .language:       OpenCL C
    .language_version:
      - 2
      - 0
    .max_flat_workgroup_size: 1024
    .name:           _ZL30rocblas_trmm_outofplace_kernelI19rocblas_complex_numIdELi32ELi2ELb1ELb0ELb1ELb0ES1_KS1_S1_Ev17rocblas_diagonal_iiT6_lPT7_lllS6_lllPT8_llli
    .private_segment_fixed_size: 0
    .sgpr_count:     50
    .sgpr_spill_count: 0
    .symbol:         _ZL30rocblas_trmm_outofplace_kernelI19rocblas_complex_numIdELi32ELi2ELb1ELb0ELb1ELb0ES1_KS1_S1_Ev17rocblas_diagonal_iiT6_lPT7_lllS6_lllPT8_llli.kd
    .uniform_work_group_size: 1
    .uses_dynamic_stack: false
    .vgpr_count:     85
    .vgpr_spill_count: 0
    .wavefront_size: 32
    .workgroup_processor_mode: 1
  - .args:
      - .offset:         0
        .size:           4
        .value_kind:     by_value
      - .offset:         4
        .size:           4
        .value_kind:     by_value
      - .offset:         8
        .size:           4
        .value_kind:     by_value
      - .address_space:  global
        .offset:         16
        .size:           8
        .value_kind:     global_buffer
      - .offset:         24
        .size:           8
        .value_kind:     by_value
      - .address_space:  global
        .offset:         32
        .size:           8
        .value_kind:     global_buffer
      - .offset:         40
        .size:           8
        .value_kind:     by_value
      - .offset:         48
        .size:           8
        .value_kind:     by_value
      - .offset:         56
        .size:           8
        .value_kind:     by_value
      - .address_space:  global
        .offset:         64
        .size:           8
        .value_kind:     global_buffer
      - .offset:         72
        .size:           8
        .value_kind:     by_value
      - .offset:         80
        .size:           8
        .value_kind:     by_value
      - .offset:         88
        .size:           8
        .value_kind:     by_value
      - .address_space:  global
        .offset:         96
        .size:           8
        .value_kind:     global_buffer
      - .offset:         104
        .size:           8
        .value_kind:     by_value
      - .offset:         112
        .size:           8
        .value_kind:     by_value
      - .offset:         120
        .size:           8
        .value_kind:     by_value
      - .offset:         128
        .size:           4
        .value_kind:     by_value
      - .offset:         136
        .size:           4
        .value_kind:     hidden_block_count_x
      - .offset:         140
        .size:           4
        .value_kind:     hidden_block_count_y
      - .offset:         144
        .size:           4
        .value_kind:     hidden_block_count_z
      - .offset:         148
        .size:           2
        .value_kind:     hidden_group_size_x
      - .offset:         150
        .size:           2
        .value_kind:     hidden_group_size_y
      - .offset:         152
        .size:           2
        .value_kind:     hidden_group_size_z
      - .offset:         154
        .size:           2
        .value_kind:     hidden_remainder_x
      - .offset:         156
        .size:           2
        .value_kind:     hidden_remainder_y
      - .offset:         158
        .size:           2
        .value_kind:     hidden_remainder_z
      - .offset:         176
        .size:           8
        .value_kind:     hidden_global_offset_x
      - .offset:         184
        .size:           8
        .value_kind:     hidden_global_offset_y
      - .offset:         192
        .size:           8
        .value_kind:     hidden_global_offset_z
      - .offset:         200
        .size:           2
        .value_kind:     hidden_grid_dims
    .group_segment_fixed_size: 32768
    .kernarg_segment_align: 8
    .kernarg_segment_size: 392
    .language:       OpenCL C
    .language_version:
      - 2
      - 0
    .max_flat_workgroup_size: 1024
    .name:           _ZL30rocblas_trmm_outofplace_kernelI19rocblas_complex_numIdELi32ELi2ELb1ELb1ELb1ELb0EPKS1_S2_S1_Ev17rocblas_diagonal_iiT6_lPT7_lllS7_lllPT8_llli
    .private_segment_fixed_size: 0
    .sgpr_count:     50
    .sgpr_spill_count: 0
    .symbol:         _ZL30rocblas_trmm_outofplace_kernelI19rocblas_complex_numIdELi32ELi2ELb1ELb1ELb1ELb0EPKS1_S2_S1_Ev17rocblas_diagonal_iiT6_lPT7_lllS7_lllPT8_llli.kd
    .uniform_work_group_size: 1
    .uses_dynamic_stack: false
    .vgpr_count:     84
    .vgpr_spill_count: 0
    .wavefront_size: 32
    .workgroup_processor_mode: 1
  - .args:
      - .offset:         0
        .size:           4
        .value_kind:     by_value
      - .offset:         4
        .size:           4
        .value_kind:     by_value
      - .offset:         8
        .size:           4
        .value_kind:     by_value
      - .offset:         16
        .size:           16
        .value_kind:     by_value
      - .offset:         32
        .size:           8
        .value_kind:     by_value
      - .address_space:  global
        .offset:         40
        .size:           8
        .value_kind:     global_buffer
      - .offset:         48
        .size:           8
        .value_kind:     by_value
      - .offset:         56
        .size:           8
        .value_kind:     by_value
      - .offset:         64
        .size:           8
        .value_kind:     by_value
      - .address_space:  global
        .offset:         72
        .size:           8
        .value_kind:     global_buffer
      - .offset:         80
        .size:           8
        .value_kind:     by_value
      - .offset:         88
        .size:           8
        .value_kind:     by_value
      - .offset:         96
        .size:           8
        .value_kind:     by_value
      - .address_space:  global
        .offset:         104
        .size:           8
        .value_kind:     global_buffer
      - .offset:         112
        .size:           8
        .value_kind:     by_value
      - .offset:         120
        .size:           8
        .value_kind:     by_value
      - .offset:         128
        .size:           8
        .value_kind:     by_value
      - .offset:         136
        .size:           4
        .value_kind:     by_value
      - .offset:         144
        .size:           4
        .value_kind:     hidden_block_count_x
      - .offset:         148
        .size:           4
        .value_kind:     hidden_block_count_y
      - .offset:         152
        .size:           4
        .value_kind:     hidden_block_count_z
      - .offset:         156
        .size:           2
        .value_kind:     hidden_group_size_x
      - .offset:         158
        .size:           2
        .value_kind:     hidden_group_size_y
      - .offset:         160
        .size:           2
        .value_kind:     hidden_group_size_z
      - .offset:         162
        .size:           2
        .value_kind:     hidden_remainder_x
      - .offset:         164
        .size:           2
        .value_kind:     hidden_remainder_y
      - .offset:         166
        .size:           2
        .value_kind:     hidden_remainder_z
      - .offset:         184
        .size:           8
        .value_kind:     hidden_global_offset_x
      - .offset:         192
        .size:           8
        .value_kind:     hidden_global_offset_y
      - .offset:         200
        .size:           8
        .value_kind:     hidden_global_offset_z
      - .offset:         208
        .size:           2
        .value_kind:     hidden_grid_dims
    .group_segment_fixed_size: 32768
    .kernarg_segment_align: 8
    .kernarg_segment_size: 400
    .language:       OpenCL C
    .language_version:
      - 2
      - 0
    .max_flat_workgroup_size: 1024
    .name:           _ZL30rocblas_trmm_outofplace_kernelI19rocblas_complex_numIdELi32ELi2ELb1ELb1ELb1ELb0ES1_KS1_S1_Ev17rocblas_diagonal_iiT6_lPT7_lllS6_lllPT8_llli
    .private_segment_fixed_size: 0
    .sgpr_count:     50
    .sgpr_spill_count: 0
    .symbol:         _ZL30rocblas_trmm_outofplace_kernelI19rocblas_complex_numIdELi32ELi2ELb1ELb1ELb1ELb0ES1_KS1_S1_Ev17rocblas_diagonal_iiT6_lPT7_lllS6_lllPT8_llli.kd
    .uniform_work_group_size: 1
    .uses_dynamic_stack: false
    .vgpr_count:     84
    .vgpr_spill_count: 0
    .wavefront_size: 32
    .workgroup_processor_mode: 1
  - .args:
      - .offset:         0
        .size:           4
        .value_kind:     by_value
      - .offset:         4
        .size:           4
        .value_kind:     by_value
      - .offset:         8
        .size:           4
        .value_kind:     by_value
      - .address_space:  global
        .offset:         16
        .size:           8
        .value_kind:     global_buffer
      - .offset:         24
        .size:           8
        .value_kind:     by_value
      - .address_space:  global
        .offset:         32
        .size:           8
        .value_kind:     global_buffer
      - .offset:         40
        .size:           8
        .value_kind:     by_value
      - .offset:         48
        .size:           8
        .value_kind:     by_value
      - .offset:         56
        .size:           8
        .value_kind:     by_value
      - .address_space:  global
        .offset:         64
        .size:           8
        .value_kind:     global_buffer
      - .offset:         72
        .size:           8
        .value_kind:     by_value
      - .offset:         80
        .size:           8
        .value_kind:     by_value
      - .offset:         88
        .size:           8
        .value_kind:     by_value
      - .address_space:  global
        .offset:         96
        .size:           8
        .value_kind:     global_buffer
      - .offset:         104
        .size:           8
        .value_kind:     by_value
      - .offset:         112
        .size:           8
        .value_kind:     by_value
      - .offset:         120
        .size:           8
        .value_kind:     by_value
      - .offset:         128
        .size:           4
        .value_kind:     by_value
      - .offset:         136
        .size:           4
        .value_kind:     hidden_block_count_x
      - .offset:         140
        .size:           4
        .value_kind:     hidden_block_count_y
      - .offset:         144
        .size:           4
        .value_kind:     hidden_block_count_z
      - .offset:         148
        .size:           2
        .value_kind:     hidden_group_size_x
      - .offset:         150
        .size:           2
        .value_kind:     hidden_group_size_y
      - .offset:         152
        .size:           2
        .value_kind:     hidden_group_size_z
      - .offset:         154
        .size:           2
        .value_kind:     hidden_remainder_x
      - .offset:         156
        .size:           2
        .value_kind:     hidden_remainder_y
      - .offset:         158
        .size:           2
        .value_kind:     hidden_remainder_z
      - .offset:         176
        .size:           8
        .value_kind:     hidden_global_offset_x
      - .offset:         184
        .size:           8
        .value_kind:     hidden_global_offset_y
      - .offset:         192
        .size:           8
        .value_kind:     hidden_global_offset_z
      - .offset:         200
        .size:           2
        .value_kind:     hidden_grid_dims
    .group_segment_fixed_size: 32768
    .kernarg_segment_align: 8
    .kernarg_segment_size: 392
    .language:       OpenCL C
    .language_version:
      - 2
      - 0
    .max_flat_workgroup_size: 1024
    .name:           _ZL30rocblas_trmm_outofplace_kernelI19rocblas_complex_numIdELi32ELi2ELb1ELb0ELb1ELb1EPKS1_S2_S1_Ev17rocblas_diagonal_iiT6_lPT7_lllS7_lllPT8_llli
    .private_segment_fixed_size: 0
    .sgpr_count:     50
    .sgpr_spill_count: 0
    .symbol:         _ZL30rocblas_trmm_outofplace_kernelI19rocblas_complex_numIdELi32ELi2ELb1ELb0ELb1ELb1EPKS1_S2_S1_Ev17rocblas_diagonal_iiT6_lPT7_lllS7_lllPT8_llli.kd
    .uniform_work_group_size: 1
    .uses_dynamic_stack: false
    .vgpr_count:     82
    .vgpr_spill_count: 0
    .wavefront_size: 32
    .workgroup_processor_mode: 1
  - .args:
      - .offset:         0
        .size:           4
        .value_kind:     by_value
      - .offset:         4
        .size:           4
        .value_kind:     by_value
      - .offset:         8
        .size:           4
        .value_kind:     by_value
      - .offset:         16
        .size:           16
        .value_kind:     by_value
      - .offset:         32
        .size:           8
        .value_kind:     by_value
      - .address_space:  global
        .offset:         40
        .size:           8
        .value_kind:     global_buffer
      - .offset:         48
        .size:           8
        .value_kind:     by_value
      - .offset:         56
        .size:           8
        .value_kind:     by_value
      - .offset:         64
        .size:           8
        .value_kind:     by_value
      - .address_space:  global
        .offset:         72
        .size:           8
        .value_kind:     global_buffer
      - .offset:         80
        .size:           8
        .value_kind:     by_value
      - .offset:         88
        .size:           8
        .value_kind:     by_value
      - .offset:         96
        .size:           8
        .value_kind:     by_value
      - .address_space:  global
        .offset:         104
        .size:           8
        .value_kind:     global_buffer
      - .offset:         112
        .size:           8
        .value_kind:     by_value
      - .offset:         120
        .size:           8
        .value_kind:     by_value
      - .offset:         128
        .size:           8
        .value_kind:     by_value
      - .offset:         136
        .size:           4
        .value_kind:     by_value
      - .offset:         144
        .size:           4
        .value_kind:     hidden_block_count_x
      - .offset:         148
        .size:           4
        .value_kind:     hidden_block_count_y
      - .offset:         152
        .size:           4
        .value_kind:     hidden_block_count_z
      - .offset:         156
        .size:           2
        .value_kind:     hidden_group_size_x
      - .offset:         158
        .size:           2
        .value_kind:     hidden_group_size_y
      - .offset:         160
        .size:           2
        .value_kind:     hidden_group_size_z
      - .offset:         162
        .size:           2
        .value_kind:     hidden_remainder_x
      - .offset:         164
        .size:           2
        .value_kind:     hidden_remainder_y
      - .offset:         166
        .size:           2
        .value_kind:     hidden_remainder_z
      - .offset:         184
        .size:           8
        .value_kind:     hidden_global_offset_x
      - .offset:         192
        .size:           8
        .value_kind:     hidden_global_offset_y
      - .offset:         200
        .size:           8
        .value_kind:     hidden_global_offset_z
      - .offset:         208
        .size:           2
        .value_kind:     hidden_grid_dims
    .group_segment_fixed_size: 32768
    .kernarg_segment_align: 8
    .kernarg_segment_size: 400
    .language:       OpenCL C
    .language_version:
      - 2
      - 0
    .max_flat_workgroup_size: 1024
    .name:           _ZL30rocblas_trmm_outofplace_kernelI19rocblas_complex_numIdELi32ELi2ELb1ELb0ELb1ELb1ES1_KS1_S1_Ev17rocblas_diagonal_iiT6_lPT7_lllS6_lllPT8_llli
    .private_segment_fixed_size: 0
    .sgpr_count:     50
    .sgpr_spill_count: 0
    .symbol:         _ZL30rocblas_trmm_outofplace_kernelI19rocblas_complex_numIdELi32ELi2ELb1ELb0ELb1ELb1ES1_KS1_S1_Ev17rocblas_diagonal_iiT6_lPT7_lllS6_lllPT8_llli.kd
    .uniform_work_group_size: 1
    .uses_dynamic_stack: false
    .vgpr_count:     82
    .vgpr_spill_count: 0
    .wavefront_size: 32
    .workgroup_processor_mode: 1
  - .args:
      - .offset:         0
        .size:           4
        .value_kind:     by_value
      - .offset:         4
        .size:           4
        .value_kind:     by_value
      - .offset:         8
        .size:           4
        .value_kind:     by_value
      - .address_space:  global
        .offset:         16
        .size:           8
        .value_kind:     global_buffer
      - .offset:         24
        .size:           8
        .value_kind:     by_value
      - .address_space:  global
        .offset:         32
        .size:           8
        .value_kind:     global_buffer
      - .offset:         40
        .size:           8
        .value_kind:     by_value
      - .offset:         48
        .size:           8
        .value_kind:     by_value
      - .offset:         56
        .size:           8
        .value_kind:     by_value
      - .address_space:  global
        .offset:         64
        .size:           8
        .value_kind:     global_buffer
      - .offset:         72
        .size:           8
        .value_kind:     by_value
      - .offset:         80
        .size:           8
        .value_kind:     by_value
      - .offset:         88
        .size:           8
        .value_kind:     by_value
      - .address_space:  global
        .offset:         96
        .size:           8
        .value_kind:     global_buffer
      - .offset:         104
        .size:           8
        .value_kind:     by_value
      - .offset:         112
        .size:           8
        .value_kind:     by_value
      - .offset:         120
        .size:           8
        .value_kind:     by_value
      - .offset:         128
        .size:           4
        .value_kind:     by_value
      - .offset:         136
        .size:           4
        .value_kind:     hidden_block_count_x
      - .offset:         140
        .size:           4
        .value_kind:     hidden_block_count_y
      - .offset:         144
        .size:           4
        .value_kind:     hidden_block_count_z
      - .offset:         148
        .size:           2
        .value_kind:     hidden_group_size_x
      - .offset:         150
        .size:           2
        .value_kind:     hidden_group_size_y
      - .offset:         152
        .size:           2
        .value_kind:     hidden_group_size_z
      - .offset:         154
        .size:           2
        .value_kind:     hidden_remainder_x
      - .offset:         156
        .size:           2
        .value_kind:     hidden_remainder_y
      - .offset:         158
        .size:           2
        .value_kind:     hidden_remainder_z
      - .offset:         176
        .size:           8
        .value_kind:     hidden_global_offset_x
      - .offset:         184
        .size:           8
        .value_kind:     hidden_global_offset_y
      - .offset:         192
        .size:           8
        .value_kind:     hidden_global_offset_z
      - .offset:         200
        .size:           2
        .value_kind:     hidden_grid_dims
    .group_segment_fixed_size: 32768
    .kernarg_segment_align: 8
    .kernarg_segment_size: 392
    .language:       OpenCL C
    .language_version:
      - 2
      - 0
    .max_flat_workgroup_size: 1024
    .name:           _ZL30rocblas_trmm_outofplace_kernelI19rocblas_complex_numIdELi32ELi2ELb1ELb1ELb1ELb1EPKS1_S2_S1_Ev17rocblas_diagonal_iiT6_lPT7_lllS7_lllPT8_llli
    .private_segment_fixed_size: 0
    .sgpr_count:     50
    .sgpr_spill_count: 0
    .symbol:         _ZL30rocblas_trmm_outofplace_kernelI19rocblas_complex_numIdELi32ELi2ELb1ELb1ELb1ELb1EPKS1_S2_S1_Ev17rocblas_diagonal_iiT6_lPT7_lllS7_lllPT8_llli.kd
    .uniform_work_group_size: 1
    .uses_dynamic_stack: false
    .vgpr_count:     81
    .vgpr_spill_count: 0
    .wavefront_size: 32
    .workgroup_processor_mode: 1
  - .args:
      - .offset:         0
        .size:           4
        .value_kind:     by_value
      - .offset:         4
        .size:           4
        .value_kind:     by_value
      - .offset:         8
        .size:           4
        .value_kind:     by_value
      - .offset:         16
        .size:           16
        .value_kind:     by_value
      - .offset:         32
        .size:           8
        .value_kind:     by_value
      - .address_space:  global
        .offset:         40
        .size:           8
        .value_kind:     global_buffer
      - .offset:         48
        .size:           8
        .value_kind:     by_value
      - .offset:         56
        .size:           8
        .value_kind:     by_value
      - .offset:         64
        .size:           8
        .value_kind:     by_value
      - .address_space:  global
        .offset:         72
        .size:           8
        .value_kind:     global_buffer
      - .offset:         80
        .size:           8
        .value_kind:     by_value
      - .offset:         88
        .size:           8
        .value_kind:     by_value
      - .offset:         96
        .size:           8
        .value_kind:     by_value
      - .address_space:  global
        .offset:         104
        .size:           8
        .value_kind:     global_buffer
      - .offset:         112
        .size:           8
        .value_kind:     by_value
      - .offset:         120
        .size:           8
        .value_kind:     by_value
      - .offset:         128
        .size:           8
        .value_kind:     by_value
      - .offset:         136
        .size:           4
        .value_kind:     by_value
      - .offset:         144
        .size:           4
        .value_kind:     hidden_block_count_x
      - .offset:         148
        .size:           4
        .value_kind:     hidden_block_count_y
      - .offset:         152
        .size:           4
        .value_kind:     hidden_block_count_z
      - .offset:         156
        .size:           2
        .value_kind:     hidden_group_size_x
      - .offset:         158
        .size:           2
        .value_kind:     hidden_group_size_y
      - .offset:         160
        .size:           2
        .value_kind:     hidden_group_size_z
      - .offset:         162
        .size:           2
        .value_kind:     hidden_remainder_x
      - .offset:         164
        .size:           2
        .value_kind:     hidden_remainder_y
      - .offset:         166
        .size:           2
        .value_kind:     hidden_remainder_z
      - .offset:         184
        .size:           8
        .value_kind:     hidden_global_offset_x
      - .offset:         192
        .size:           8
        .value_kind:     hidden_global_offset_y
      - .offset:         200
        .size:           8
        .value_kind:     hidden_global_offset_z
      - .offset:         208
        .size:           2
        .value_kind:     hidden_grid_dims
    .group_segment_fixed_size: 32768
    .kernarg_segment_align: 8
    .kernarg_segment_size: 400
    .language:       OpenCL C
    .language_version:
      - 2
      - 0
    .max_flat_workgroup_size: 1024
    .name:           _ZL30rocblas_trmm_outofplace_kernelI19rocblas_complex_numIdELi32ELi2ELb1ELb1ELb1ELb1ES1_KS1_S1_Ev17rocblas_diagonal_iiT6_lPT7_lllS6_lllPT8_llli
    .private_segment_fixed_size: 0
    .sgpr_count:     50
    .sgpr_spill_count: 0
    .symbol:         _ZL30rocblas_trmm_outofplace_kernelI19rocblas_complex_numIdELi32ELi2ELb1ELb1ELb1ELb1ES1_KS1_S1_Ev17rocblas_diagonal_iiT6_lPT7_lllS6_lllPT8_llli.kd
    .uniform_work_group_size: 1
    .uses_dynamic_stack: false
    .vgpr_count:     81
    .vgpr_spill_count: 0
    .wavefront_size: 32
    .workgroup_processor_mode: 1
  - .args:
      - .offset:         0
        .size:           4
        .value_kind:     by_value
      - .offset:         4
        .size:           4
        .value_kind:     by_value
      - .offset:         8
        .size:           4
        .value_kind:     by_value
      - .address_space:  global
        .offset:         16
        .size:           8
        .value_kind:     global_buffer
      - .offset:         24
        .size:           8
        .value_kind:     by_value
      - .address_space:  global
        .offset:         32
        .size:           8
        .value_kind:     global_buffer
      - .offset:         40
        .size:           8
        .value_kind:     by_value
      - .offset:         48
        .size:           8
        .value_kind:     by_value
      - .offset:         56
        .size:           8
        .value_kind:     by_value
      - .address_space:  global
        .offset:         64
        .size:           8
        .value_kind:     global_buffer
      - .offset:         72
        .size:           8
        .value_kind:     by_value
      - .offset:         80
        .size:           8
        .value_kind:     by_value
      - .offset:         88
        .size:           8
        .value_kind:     by_value
      - .address_space:  global
        .offset:         96
        .size:           8
        .value_kind:     global_buffer
      - .offset:         104
        .size:           8
        .value_kind:     by_value
      - .offset:         112
        .size:           8
        .value_kind:     by_value
      - .offset:         120
        .size:           8
        .value_kind:     by_value
      - .offset:         128
        .size:           4
        .value_kind:     by_value
      - .offset:         136
        .size:           4
        .value_kind:     hidden_block_count_x
      - .offset:         140
        .size:           4
        .value_kind:     hidden_block_count_y
      - .offset:         144
        .size:           4
        .value_kind:     hidden_block_count_z
      - .offset:         148
        .size:           2
        .value_kind:     hidden_group_size_x
      - .offset:         150
        .size:           2
        .value_kind:     hidden_group_size_y
      - .offset:         152
        .size:           2
        .value_kind:     hidden_group_size_z
      - .offset:         154
        .size:           2
        .value_kind:     hidden_remainder_x
      - .offset:         156
        .size:           2
        .value_kind:     hidden_remainder_y
      - .offset:         158
        .size:           2
        .value_kind:     hidden_remainder_z
      - .offset:         176
        .size:           8
        .value_kind:     hidden_global_offset_x
      - .offset:         184
        .size:           8
        .value_kind:     hidden_global_offset_y
      - .offset:         192
        .size:           8
        .value_kind:     hidden_global_offset_z
      - .offset:         200
        .size:           2
        .value_kind:     hidden_grid_dims
    .group_segment_fixed_size: 32768
    .kernarg_segment_align: 8
    .kernarg_segment_size: 392
    .language:       OpenCL C
    .language_version:
      - 2
      - 0
    .max_flat_workgroup_size: 1024
    .name:           _ZL30rocblas_trmm_outofplace_kernelI19rocblas_complex_numIdELi32ELi2ELb0ELb0ELb0ELb0EPKS1_S2_S1_Ev17rocblas_diagonal_iiT6_lPT7_lllS7_lllPT8_llli
    .private_segment_fixed_size: 0
    .sgpr_count:     51
    .sgpr_spill_count: 0
    .symbol:         _ZL30rocblas_trmm_outofplace_kernelI19rocblas_complex_numIdELi32ELi2ELb0ELb0ELb0ELb0EPKS1_S2_S1_Ev17rocblas_diagonal_iiT6_lPT7_lllS7_lllPT8_llli.kd
    .uniform_work_group_size: 1
    .uses_dynamic_stack: false
    .vgpr_count:     88
    .vgpr_spill_count: 0
    .wavefront_size: 32
    .workgroup_processor_mode: 1
  - .args:
      - .offset:         0
        .size:           4
        .value_kind:     by_value
      - .offset:         4
        .size:           4
        .value_kind:     by_value
      - .offset:         8
        .size:           4
        .value_kind:     by_value
      - .offset:         16
        .size:           16
        .value_kind:     by_value
      - .offset:         32
        .size:           8
        .value_kind:     by_value
      - .address_space:  global
        .offset:         40
        .size:           8
        .value_kind:     global_buffer
      - .offset:         48
        .size:           8
        .value_kind:     by_value
      - .offset:         56
        .size:           8
        .value_kind:     by_value
      - .offset:         64
        .size:           8
        .value_kind:     by_value
      - .address_space:  global
        .offset:         72
        .size:           8
        .value_kind:     global_buffer
      - .offset:         80
        .size:           8
        .value_kind:     by_value
      - .offset:         88
        .size:           8
        .value_kind:     by_value
      - .offset:         96
        .size:           8
        .value_kind:     by_value
      - .address_space:  global
        .offset:         104
        .size:           8
        .value_kind:     global_buffer
      - .offset:         112
        .size:           8
        .value_kind:     by_value
      - .offset:         120
        .size:           8
        .value_kind:     by_value
      - .offset:         128
        .size:           8
        .value_kind:     by_value
      - .offset:         136
        .size:           4
        .value_kind:     by_value
      - .offset:         144
        .size:           4
        .value_kind:     hidden_block_count_x
      - .offset:         148
        .size:           4
        .value_kind:     hidden_block_count_y
      - .offset:         152
        .size:           4
        .value_kind:     hidden_block_count_z
      - .offset:         156
        .size:           2
        .value_kind:     hidden_group_size_x
      - .offset:         158
        .size:           2
        .value_kind:     hidden_group_size_y
      - .offset:         160
        .size:           2
        .value_kind:     hidden_group_size_z
      - .offset:         162
        .size:           2
        .value_kind:     hidden_remainder_x
      - .offset:         164
        .size:           2
        .value_kind:     hidden_remainder_y
      - .offset:         166
        .size:           2
        .value_kind:     hidden_remainder_z
      - .offset:         184
        .size:           8
        .value_kind:     hidden_global_offset_x
      - .offset:         192
        .size:           8
        .value_kind:     hidden_global_offset_y
      - .offset:         200
        .size:           8
        .value_kind:     hidden_global_offset_z
      - .offset:         208
        .size:           2
        .value_kind:     hidden_grid_dims
    .group_segment_fixed_size: 32768
    .kernarg_segment_align: 8
    .kernarg_segment_size: 400
    .language:       OpenCL C
    .language_version:
      - 2
      - 0
    .max_flat_workgroup_size: 1024
    .name:           _ZL30rocblas_trmm_outofplace_kernelI19rocblas_complex_numIdELi32ELi2ELb0ELb0ELb0ELb0ES1_KS1_S1_Ev17rocblas_diagonal_iiT6_lPT7_lllS6_lllPT8_llli
    .private_segment_fixed_size: 0
    .sgpr_count:     50
    .sgpr_spill_count: 0
    .symbol:         _ZL30rocblas_trmm_outofplace_kernelI19rocblas_complex_numIdELi32ELi2ELb0ELb0ELb0ELb0ES1_KS1_S1_Ev17rocblas_diagonal_iiT6_lPT7_lllS6_lllPT8_llli.kd
    .uniform_work_group_size: 1
    .uses_dynamic_stack: false
    .vgpr_count:     88
    .vgpr_spill_count: 0
    .wavefront_size: 32
    .workgroup_processor_mode: 1
  - .args:
      - .offset:         0
        .size:           4
        .value_kind:     by_value
      - .offset:         4
        .size:           4
        .value_kind:     by_value
      - .offset:         8
        .size:           4
        .value_kind:     by_value
      - .address_space:  global
        .offset:         16
        .size:           8
        .value_kind:     global_buffer
      - .offset:         24
        .size:           8
        .value_kind:     by_value
      - .address_space:  global
        .offset:         32
        .size:           8
        .value_kind:     global_buffer
      - .offset:         40
        .size:           8
        .value_kind:     by_value
      - .offset:         48
        .size:           8
        .value_kind:     by_value
      - .offset:         56
        .size:           8
        .value_kind:     by_value
      - .address_space:  global
        .offset:         64
        .size:           8
        .value_kind:     global_buffer
      - .offset:         72
        .size:           8
        .value_kind:     by_value
      - .offset:         80
        .size:           8
        .value_kind:     by_value
      - .offset:         88
        .size:           8
        .value_kind:     by_value
      - .address_space:  global
        .offset:         96
        .size:           8
        .value_kind:     global_buffer
      - .offset:         104
        .size:           8
        .value_kind:     by_value
      - .offset:         112
        .size:           8
        .value_kind:     by_value
      - .offset:         120
        .size:           8
        .value_kind:     by_value
      - .offset:         128
        .size:           4
        .value_kind:     by_value
      - .offset:         136
        .size:           4
        .value_kind:     hidden_block_count_x
      - .offset:         140
        .size:           4
        .value_kind:     hidden_block_count_y
      - .offset:         144
        .size:           4
        .value_kind:     hidden_block_count_z
      - .offset:         148
        .size:           2
        .value_kind:     hidden_group_size_x
      - .offset:         150
        .size:           2
        .value_kind:     hidden_group_size_y
      - .offset:         152
        .size:           2
        .value_kind:     hidden_group_size_z
      - .offset:         154
        .size:           2
        .value_kind:     hidden_remainder_x
      - .offset:         156
        .size:           2
        .value_kind:     hidden_remainder_y
      - .offset:         158
        .size:           2
        .value_kind:     hidden_remainder_z
      - .offset:         176
        .size:           8
        .value_kind:     hidden_global_offset_x
      - .offset:         184
        .size:           8
        .value_kind:     hidden_global_offset_y
      - .offset:         192
        .size:           8
        .value_kind:     hidden_global_offset_z
      - .offset:         200
        .size:           2
        .value_kind:     hidden_grid_dims
    .group_segment_fixed_size: 32768
    .kernarg_segment_align: 8
    .kernarg_segment_size: 392
    .language:       OpenCL C
    .language_version:
      - 2
      - 0
    .max_flat_workgroup_size: 1024
    .name:           _ZL30rocblas_trmm_outofplace_kernelI19rocblas_complex_numIdELi32ELi2ELb0ELb1ELb0ELb0EPKS1_S2_S1_Ev17rocblas_diagonal_iiT6_lPT7_lllS7_lllPT8_llli
    .private_segment_fixed_size: 0
    .sgpr_count:     46
    .sgpr_spill_count: 0
    .symbol:         _ZL30rocblas_trmm_outofplace_kernelI19rocblas_complex_numIdELi32ELi2ELb0ELb1ELb0ELb0EPKS1_S2_S1_Ev17rocblas_diagonal_iiT6_lPT7_lllS7_lllPT8_llli.kd
    .uniform_work_group_size: 1
    .uses_dynamic_stack: false
    .vgpr_count:     88
    .vgpr_spill_count: 0
    .wavefront_size: 32
    .workgroup_processor_mode: 1
  - .args:
      - .offset:         0
        .size:           4
        .value_kind:     by_value
      - .offset:         4
        .size:           4
        .value_kind:     by_value
      - .offset:         8
        .size:           4
        .value_kind:     by_value
      - .offset:         16
        .size:           16
        .value_kind:     by_value
      - .offset:         32
        .size:           8
        .value_kind:     by_value
      - .address_space:  global
        .offset:         40
        .size:           8
        .value_kind:     global_buffer
      - .offset:         48
        .size:           8
        .value_kind:     by_value
      - .offset:         56
        .size:           8
        .value_kind:     by_value
      - .offset:         64
        .size:           8
        .value_kind:     by_value
      - .address_space:  global
        .offset:         72
        .size:           8
        .value_kind:     global_buffer
      - .offset:         80
        .size:           8
        .value_kind:     by_value
      - .offset:         88
        .size:           8
        .value_kind:     by_value
      - .offset:         96
        .size:           8
        .value_kind:     by_value
      - .address_space:  global
        .offset:         104
        .size:           8
        .value_kind:     global_buffer
      - .offset:         112
        .size:           8
        .value_kind:     by_value
      - .offset:         120
        .size:           8
        .value_kind:     by_value
      - .offset:         128
        .size:           8
        .value_kind:     by_value
      - .offset:         136
        .size:           4
        .value_kind:     by_value
      - .offset:         144
        .size:           4
        .value_kind:     hidden_block_count_x
      - .offset:         148
        .size:           4
        .value_kind:     hidden_block_count_y
      - .offset:         152
        .size:           4
        .value_kind:     hidden_block_count_z
      - .offset:         156
        .size:           2
        .value_kind:     hidden_group_size_x
      - .offset:         158
        .size:           2
        .value_kind:     hidden_group_size_y
      - .offset:         160
        .size:           2
        .value_kind:     hidden_group_size_z
      - .offset:         162
        .size:           2
        .value_kind:     hidden_remainder_x
      - .offset:         164
        .size:           2
        .value_kind:     hidden_remainder_y
      - .offset:         166
        .size:           2
        .value_kind:     hidden_remainder_z
      - .offset:         184
        .size:           8
        .value_kind:     hidden_global_offset_x
      - .offset:         192
        .size:           8
        .value_kind:     hidden_global_offset_y
      - .offset:         200
        .size:           8
        .value_kind:     hidden_global_offset_z
      - .offset:         208
        .size:           2
        .value_kind:     hidden_grid_dims
    .group_segment_fixed_size: 32768
    .kernarg_segment_align: 8
    .kernarg_segment_size: 400
    .language:       OpenCL C
    .language_version:
      - 2
      - 0
    .max_flat_workgroup_size: 1024
    .name:           _ZL30rocblas_trmm_outofplace_kernelI19rocblas_complex_numIdELi32ELi2ELb0ELb1ELb0ELb0ES1_KS1_S1_Ev17rocblas_diagonal_iiT6_lPT7_lllS6_lllPT8_llli
    .private_segment_fixed_size: 0
    .sgpr_count:     51
    .sgpr_spill_count: 0
    .symbol:         _ZL30rocblas_trmm_outofplace_kernelI19rocblas_complex_numIdELi32ELi2ELb0ELb1ELb0ELb0ES1_KS1_S1_Ev17rocblas_diagonal_iiT6_lPT7_lllS6_lllPT8_llli.kd
    .uniform_work_group_size: 1
    .uses_dynamic_stack: false
    .vgpr_count:     88
    .vgpr_spill_count: 0
    .wavefront_size: 32
    .workgroup_processor_mode: 1
  - .args:
      - .offset:         0
        .size:           4
        .value_kind:     by_value
      - .offset:         4
        .size:           4
        .value_kind:     by_value
      - .offset:         8
        .size:           4
        .value_kind:     by_value
      - .address_space:  global
        .offset:         16
        .size:           8
        .value_kind:     global_buffer
      - .offset:         24
        .size:           8
        .value_kind:     by_value
      - .address_space:  global
        .offset:         32
        .size:           8
        .value_kind:     global_buffer
      - .offset:         40
        .size:           8
        .value_kind:     by_value
      - .offset:         48
        .size:           8
        .value_kind:     by_value
      - .offset:         56
        .size:           8
        .value_kind:     by_value
      - .address_space:  global
        .offset:         64
        .size:           8
        .value_kind:     global_buffer
      - .offset:         72
        .size:           8
        .value_kind:     by_value
      - .offset:         80
        .size:           8
        .value_kind:     by_value
      - .offset:         88
        .size:           8
        .value_kind:     by_value
      - .address_space:  global
        .offset:         96
        .size:           8
        .value_kind:     global_buffer
      - .offset:         104
        .size:           8
        .value_kind:     by_value
      - .offset:         112
        .size:           8
        .value_kind:     by_value
      - .offset:         120
        .size:           8
        .value_kind:     by_value
      - .offset:         128
        .size:           4
        .value_kind:     by_value
      - .offset:         136
        .size:           4
        .value_kind:     hidden_block_count_x
      - .offset:         140
        .size:           4
        .value_kind:     hidden_block_count_y
      - .offset:         144
        .size:           4
        .value_kind:     hidden_block_count_z
      - .offset:         148
        .size:           2
        .value_kind:     hidden_group_size_x
      - .offset:         150
        .size:           2
        .value_kind:     hidden_group_size_y
      - .offset:         152
        .size:           2
        .value_kind:     hidden_group_size_z
      - .offset:         154
        .size:           2
        .value_kind:     hidden_remainder_x
      - .offset:         156
        .size:           2
        .value_kind:     hidden_remainder_y
      - .offset:         158
        .size:           2
        .value_kind:     hidden_remainder_z
      - .offset:         176
        .size:           8
        .value_kind:     hidden_global_offset_x
      - .offset:         184
        .size:           8
        .value_kind:     hidden_global_offset_y
      - .offset:         192
        .size:           8
        .value_kind:     hidden_global_offset_z
      - .offset:         200
        .size:           2
        .value_kind:     hidden_grid_dims
    .group_segment_fixed_size: 32768
    .kernarg_segment_align: 8
    .kernarg_segment_size: 392
    .language:       OpenCL C
    .language_version:
      - 2
      - 0
    .max_flat_workgroup_size: 1024
    .name:           _ZL30rocblas_trmm_outofplace_kernelI19rocblas_complex_numIdELi32ELi2ELb0ELb0ELb1ELb0EPKS1_S2_S1_Ev17rocblas_diagonal_iiT6_lPT7_lllS7_lllPT8_llli
    .private_segment_fixed_size: 0
    .sgpr_count:     47
    .sgpr_spill_count: 0
    .symbol:         _ZL30rocblas_trmm_outofplace_kernelI19rocblas_complex_numIdELi32ELi2ELb0ELb0ELb1ELb0EPKS1_S2_S1_Ev17rocblas_diagonal_iiT6_lPT7_lllS7_lllPT8_llli.kd
    .uniform_work_group_size: 1
    .uses_dynamic_stack: false
    .vgpr_count:     93
    .vgpr_spill_count: 0
    .wavefront_size: 32
    .workgroup_processor_mode: 1
  - .args:
      - .offset:         0
        .size:           4
        .value_kind:     by_value
      - .offset:         4
        .size:           4
        .value_kind:     by_value
      - .offset:         8
        .size:           4
        .value_kind:     by_value
      - .offset:         16
        .size:           16
        .value_kind:     by_value
      - .offset:         32
        .size:           8
        .value_kind:     by_value
      - .address_space:  global
        .offset:         40
        .size:           8
        .value_kind:     global_buffer
      - .offset:         48
        .size:           8
        .value_kind:     by_value
      - .offset:         56
        .size:           8
        .value_kind:     by_value
      - .offset:         64
        .size:           8
        .value_kind:     by_value
      - .address_space:  global
        .offset:         72
        .size:           8
        .value_kind:     global_buffer
      - .offset:         80
        .size:           8
        .value_kind:     by_value
      - .offset:         88
        .size:           8
        .value_kind:     by_value
      - .offset:         96
        .size:           8
        .value_kind:     by_value
      - .address_space:  global
        .offset:         104
        .size:           8
        .value_kind:     global_buffer
      - .offset:         112
        .size:           8
        .value_kind:     by_value
      - .offset:         120
        .size:           8
        .value_kind:     by_value
      - .offset:         128
        .size:           8
        .value_kind:     by_value
      - .offset:         136
        .size:           4
        .value_kind:     by_value
      - .offset:         144
        .size:           4
        .value_kind:     hidden_block_count_x
      - .offset:         148
        .size:           4
        .value_kind:     hidden_block_count_y
      - .offset:         152
        .size:           4
        .value_kind:     hidden_block_count_z
      - .offset:         156
        .size:           2
        .value_kind:     hidden_group_size_x
      - .offset:         158
        .size:           2
        .value_kind:     hidden_group_size_y
      - .offset:         160
        .size:           2
        .value_kind:     hidden_group_size_z
      - .offset:         162
        .size:           2
        .value_kind:     hidden_remainder_x
      - .offset:         164
        .size:           2
        .value_kind:     hidden_remainder_y
      - .offset:         166
        .size:           2
        .value_kind:     hidden_remainder_z
      - .offset:         184
        .size:           8
        .value_kind:     hidden_global_offset_x
      - .offset:         192
        .size:           8
        .value_kind:     hidden_global_offset_y
      - .offset:         200
        .size:           8
        .value_kind:     hidden_global_offset_z
      - .offset:         208
        .size:           2
        .value_kind:     hidden_grid_dims
    .group_segment_fixed_size: 32768
    .kernarg_segment_align: 8
    .kernarg_segment_size: 400
    .language:       OpenCL C
    .language_version:
      - 2
      - 0
    .max_flat_workgroup_size: 1024
    .name:           _ZL30rocblas_trmm_outofplace_kernelI19rocblas_complex_numIdELi32ELi2ELb0ELb0ELb1ELb0ES1_KS1_S1_Ev17rocblas_diagonal_iiT6_lPT7_lllS6_lllPT8_llli
    .private_segment_fixed_size: 0
    .sgpr_count:     51
    .sgpr_spill_count: 0
    .symbol:         _ZL30rocblas_trmm_outofplace_kernelI19rocblas_complex_numIdELi32ELi2ELb0ELb0ELb1ELb0ES1_KS1_S1_Ev17rocblas_diagonal_iiT6_lPT7_lllS6_lllPT8_llli.kd
    .uniform_work_group_size: 1
    .uses_dynamic_stack: false
    .vgpr_count:     93
    .vgpr_spill_count: 0
    .wavefront_size: 32
    .workgroup_processor_mode: 1
  - .args:
      - .offset:         0
        .size:           4
        .value_kind:     by_value
      - .offset:         4
        .size:           4
        .value_kind:     by_value
      - .offset:         8
        .size:           4
        .value_kind:     by_value
      - .address_space:  global
        .offset:         16
        .size:           8
        .value_kind:     global_buffer
      - .offset:         24
        .size:           8
        .value_kind:     by_value
      - .address_space:  global
        .offset:         32
        .size:           8
        .value_kind:     global_buffer
      - .offset:         40
        .size:           8
        .value_kind:     by_value
      - .offset:         48
        .size:           8
        .value_kind:     by_value
      - .offset:         56
        .size:           8
        .value_kind:     by_value
      - .address_space:  global
        .offset:         64
        .size:           8
        .value_kind:     global_buffer
      - .offset:         72
        .size:           8
        .value_kind:     by_value
      - .offset:         80
        .size:           8
        .value_kind:     by_value
      - .offset:         88
        .size:           8
        .value_kind:     by_value
      - .address_space:  global
        .offset:         96
        .size:           8
        .value_kind:     global_buffer
      - .offset:         104
        .size:           8
        .value_kind:     by_value
      - .offset:         112
        .size:           8
        .value_kind:     by_value
      - .offset:         120
        .size:           8
        .value_kind:     by_value
      - .offset:         128
        .size:           4
        .value_kind:     by_value
      - .offset:         136
        .size:           4
        .value_kind:     hidden_block_count_x
      - .offset:         140
        .size:           4
        .value_kind:     hidden_block_count_y
      - .offset:         144
        .size:           4
        .value_kind:     hidden_block_count_z
      - .offset:         148
        .size:           2
        .value_kind:     hidden_group_size_x
      - .offset:         150
        .size:           2
        .value_kind:     hidden_group_size_y
      - .offset:         152
        .size:           2
        .value_kind:     hidden_group_size_z
      - .offset:         154
        .size:           2
        .value_kind:     hidden_remainder_x
      - .offset:         156
        .size:           2
        .value_kind:     hidden_remainder_y
      - .offset:         158
        .size:           2
        .value_kind:     hidden_remainder_z
      - .offset:         176
        .size:           8
        .value_kind:     hidden_global_offset_x
      - .offset:         184
        .size:           8
        .value_kind:     hidden_global_offset_y
      - .offset:         192
        .size:           8
        .value_kind:     hidden_global_offset_z
      - .offset:         200
        .size:           2
        .value_kind:     hidden_grid_dims
    .group_segment_fixed_size: 32768
    .kernarg_segment_align: 8
    .kernarg_segment_size: 392
    .language:       OpenCL C
    .language_version:
      - 2
      - 0
    .max_flat_workgroup_size: 1024
    .name:           _ZL30rocblas_trmm_outofplace_kernelI19rocblas_complex_numIdELi32ELi2ELb0ELb1ELb1ELb0EPKS1_S2_S1_Ev17rocblas_diagonal_iiT6_lPT7_lllS7_lllPT8_llli
    .private_segment_fixed_size: 0
    .sgpr_count:     52
    .sgpr_spill_count: 0
    .symbol:         _ZL30rocblas_trmm_outofplace_kernelI19rocblas_complex_numIdELi32ELi2ELb0ELb1ELb1ELb0EPKS1_S2_S1_Ev17rocblas_diagonal_iiT6_lPT7_lllS7_lllPT8_llli.kd
    .uniform_work_group_size: 1
    .uses_dynamic_stack: false
    .vgpr_count:     88
    .vgpr_spill_count: 0
    .wavefront_size: 32
    .workgroup_processor_mode: 1
  - .args:
      - .offset:         0
        .size:           4
        .value_kind:     by_value
      - .offset:         4
        .size:           4
        .value_kind:     by_value
      - .offset:         8
        .size:           4
        .value_kind:     by_value
      - .offset:         16
        .size:           16
        .value_kind:     by_value
      - .offset:         32
        .size:           8
        .value_kind:     by_value
      - .address_space:  global
        .offset:         40
        .size:           8
        .value_kind:     global_buffer
      - .offset:         48
        .size:           8
        .value_kind:     by_value
      - .offset:         56
        .size:           8
        .value_kind:     by_value
      - .offset:         64
        .size:           8
        .value_kind:     by_value
      - .address_space:  global
        .offset:         72
        .size:           8
        .value_kind:     global_buffer
      - .offset:         80
        .size:           8
        .value_kind:     by_value
      - .offset:         88
        .size:           8
        .value_kind:     by_value
      - .offset:         96
        .size:           8
        .value_kind:     by_value
      - .address_space:  global
        .offset:         104
        .size:           8
        .value_kind:     global_buffer
      - .offset:         112
        .size:           8
        .value_kind:     by_value
      - .offset:         120
        .size:           8
        .value_kind:     by_value
      - .offset:         128
        .size:           8
        .value_kind:     by_value
      - .offset:         136
        .size:           4
        .value_kind:     by_value
      - .offset:         144
        .size:           4
        .value_kind:     hidden_block_count_x
      - .offset:         148
        .size:           4
        .value_kind:     hidden_block_count_y
      - .offset:         152
        .size:           4
        .value_kind:     hidden_block_count_z
      - .offset:         156
        .size:           2
        .value_kind:     hidden_group_size_x
      - .offset:         158
        .size:           2
        .value_kind:     hidden_group_size_y
      - .offset:         160
        .size:           2
        .value_kind:     hidden_group_size_z
      - .offset:         162
        .size:           2
        .value_kind:     hidden_remainder_x
      - .offset:         164
        .size:           2
        .value_kind:     hidden_remainder_y
      - .offset:         166
        .size:           2
        .value_kind:     hidden_remainder_z
      - .offset:         184
        .size:           8
        .value_kind:     hidden_global_offset_x
      - .offset:         192
        .size:           8
        .value_kind:     hidden_global_offset_y
      - .offset:         200
        .size:           8
        .value_kind:     hidden_global_offset_z
      - .offset:         208
        .size:           2
        .value_kind:     hidden_grid_dims
    .group_segment_fixed_size: 32768
    .kernarg_segment_align: 8
    .kernarg_segment_size: 400
    .language:       OpenCL C
    .language_version:
      - 2
      - 0
    .max_flat_workgroup_size: 1024
    .name:           _ZL30rocblas_trmm_outofplace_kernelI19rocblas_complex_numIdELi32ELi2ELb0ELb1ELb1ELb0ES1_KS1_S1_Ev17rocblas_diagonal_iiT6_lPT7_lllS6_lllPT8_llli
    .private_segment_fixed_size: 0
    .sgpr_count:     52
    .sgpr_spill_count: 0
    .symbol:         _ZL30rocblas_trmm_outofplace_kernelI19rocblas_complex_numIdELi32ELi2ELb0ELb1ELb1ELb0ES1_KS1_S1_Ev17rocblas_diagonal_iiT6_lPT7_lllS6_lllPT8_llli.kd
    .uniform_work_group_size: 1
    .uses_dynamic_stack: false
    .vgpr_count:     88
    .vgpr_spill_count: 0
    .wavefront_size: 32
    .workgroup_processor_mode: 1
  - .args:
      - .offset:         0
        .size:           4
        .value_kind:     by_value
      - .offset:         4
        .size:           4
        .value_kind:     by_value
      - .offset:         8
        .size:           4
        .value_kind:     by_value
      - .address_space:  global
        .offset:         16
        .size:           8
        .value_kind:     global_buffer
      - .offset:         24
        .size:           8
        .value_kind:     by_value
      - .address_space:  global
        .offset:         32
        .size:           8
        .value_kind:     global_buffer
      - .offset:         40
        .size:           8
        .value_kind:     by_value
      - .offset:         48
        .size:           8
        .value_kind:     by_value
      - .offset:         56
        .size:           8
        .value_kind:     by_value
      - .address_space:  global
        .offset:         64
        .size:           8
        .value_kind:     global_buffer
      - .offset:         72
        .size:           8
        .value_kind:     by_value
      - .offset:         80
        .size:           8
        .value_kind:     by_value
      - .offset:         88
        .size:           8
        .value_kind:     by_value
      - .address_space:  global
        .offset:         96
        .size:           8
        .value_kind:     global_buffer
      - .offset:         104
        .size:           8
        .value_kind:     by_value
      - .offset:         112
        .size:           8
        .value_kind:     by_value
      - .offset:         120
        .size:           8
        .value_kind:     by_value
      - .offset:         128
        .size:           4
        .value_kind:     by_value
      - .offset:         136
        .size:           4
        .value_kind:     hidden_block_count_x
      - .offset:         140
        .size:           4
        .value_kind:     hidden_block_count_y
      - .offset:         144
        .size:           4
        .value_kind:     hidden_block_count_z
      - .offset:         148
        .size:           2
        .value_kind:     hidden_group_size_x
      - .offset:         150
        .size:           2
        .value_kind:     hidden_group_size_y
      - .offset:         152
        .size:           2
        .value_kind:     hidden_group_size_z
      - .offset:         154
        .size:           2
        .value_kind:     hidden_remainder_x
      - .offset:         156
        .size:           2
        .value_kind:     hidden_remainder_y
      - .offset:         158
        .size:           2
        .value_kind:     hidden_remainder_z
      - .offset:         176
        .size:           8
        .value_kind:     hidden_global_offset_x
      - .offset:         184
        .size:           8
        .value_kind:     hidden_global_offset_y
      - .offset:         192
        .size:           8
        .value_kind:     hidden_global_offset_z
      - .offset:         200
        .size:           2
        .value_kind:     hidden_grid_dims
    .group_segment_fixed_size: 32768
    .kernarg_segment_align: 8
    .kernarg_segment_size: 392
    .language:       OpenCL C
    .language_version:
      - 2
      - 0
    .max_flat_workgroup_size: 1024
    .name:           _ZL30rocblas_trmm_outofplace_kernelI19rocblas_complex_numIdELi32ELi2ELb0ELb0ELb1ELb1EPKS1_S2_S1_Ev17rocblas_diagonal_iiT6_lPT7_lllS7_lllPT8_llli
    .private_segment_fixed_size: 0
    .sgpr_count:     47
    .sgpr_spill_count: 0
    .symbol:         _ZL30rocblas_trmm_outofplace_kernelI19rocblas_complex_numIdELi32ELi2ELb0ELb0ELb1ELb1EPKS1_S2_S1_Ev17rocblas_diagonal_iiT6_lPT7_lllS7_lllPT8_llli.kd
    .uniform_work_group_size: 1
    .uses_dynamic_stack: false
    .vgpr_count:     90
    .vgpr_spill_count: 0
    .wavefront_size: 32
    .workgroup_processor_mode: 1
  - .args:
      - .offset:         0
        .size:           4
        .value_kind:     by_value
      - .offset:         4
        .size:           4
        .value_kind:     by_value
      - .offset:         8
        .size:           4
        .value_kind:     by_value
      - .offset:         16
        .size:           16
        .value_kind:     by_value
      - .offset:         32
        .size:           8
        .value_kind:     by_value
      - .address_space:  global
        .offset:         40
        .size:           8
        .value_kind:     global_buffer
      - .offset:         48
        .size:           8
        .value_kind:     by_value
      - .offset:         56
        .size:           8
        .value_kind:     by_value
      - .offset:         64
        .size:           8
        .value_kind:     by_value
      - .address_space:  global
        .offset:         72
        .size:           8
        .value_kind:     global_buffer
      - .offset:         80
        .size:           8
        .value_kind:     by_value
      - .offset:         88
        .size:           8
        .value_kind:     by_value
      - .offset:         96
        .size:           8
        .value_kind:     by_value
      - .address_space:  global
        .offset:         104
        .size:           8
        .value_kind:     global_buffer
      - .offset:         112
        .size:           8
        .value_kind:     by_value
      - .offset:         120
        .size:           8
        .value_kind:     by_value
      - .offset:         128
        .size:           8
        .value_kind:     by_value
      - .offset:         136
        .size:           4
        .value_kind:     by_value
      - .offset:         144
        .size:           4
        .value_kind:     hidden_block_count_x
      - .offset:         148
        .size:           4
        .value_kind:     hidden_block_count_y
      - .offset:         152
        .size:           4
        .value_kind:     hidden_block_count_z
      - .offset:         156
        .size:           2
        .value_kind:     hidden_group_size_x
      - .offset:         158
        .size:           2
        .value_kind:     hidden_group_size_y
      - .offset:         160
        .size:           2
        .value_kind:     hidden_group_size_z
      - .offset:         162
        .size:           2
        .value_kind:     hidden_remainder_x
      - .offset:         164
        .size:           2
        .value_kind:     hidden_remainder_y
      - .offset:         166
        .size:           2
        .value_kind:     hidden_remainder_z
      - .offset:         184
        .size:           8
        .value_kind:     hidden_global_offset_x
      - .offset:         192
        .size:           8
        .value_kind:     hidden_global_offset_y
      - .offset:         200
        .size:           8
        .value_kind:     hidden_global_offset_z
      - .offset:         208
        .size:           2
        .value_kind:     hidden_grid_dims
    .group_segment_fixed_size: 32768
    .kernarg_segment_align: 8
    .kernarg_segment_size: 400
    .language:       OpenCL C
    .language_version:
      - 2
      - 0
    .max_flat_workgroup_size: 1024
    .name:           _ZL30rocblas_trmm_outofplace_kernelI19rocblas_complex_numIdELi32ELi2ELb0ELb0ELb1ELb1ES1_KS1_S1_Ev17rocblas_diagonal_iiT6_lPT7_lllS6_lllPT8_llli
    .private_segment_fixed_size: 0
    .sgpr_count:     50
    .sgpr_spill_count: 0
    .symbol:         _ZL30rocblas_trmm_outofplace_kernelI19rocblas_complex_numIdELi32ELi2ELb0ELb0ELb1ELb1ES1_KS1_S1_Ev17rocblas_diagonal_iiT6_lPT7_lllS6_lllPT8_llli.kd
    .uniform_work_group_size: 1
    .uses_dynamic_stack: false
    .vgpr_count:     90
    .vgpr_spill_count: 0
    .wavefront_size: 32
    .workgroup_processor_mode: 1
  - .args:
      - .offset:         0
        .size:           4
        .value_kind:     by_value
      - .offset:         4
        .size:           4
        .value_kind:     by_value
      - .offset:         8
        .size:           4
        .value_kind:     by_value
      - .address_space:  global
        .offset:         16
        .size:           8
        .value_kind:     global_buffer
      - .offset:         24
        .size:           8
        .value_kind:     by_value
      - .address_space:  global
        .offset:         32
        .size:           8
        .value_kind:     global_buffer
      - .offset:         40
        .size:           8
        .value_kind:     by_value
      - .offset:         48
        .size:           8
        .value_kind:     by_value
      - .offset:         56
        .size:           8
        .value_kind:     by_value
      - .address_space:  global
        .offset:         64
        .size:           8
        .value_kind:     global_buffer
      - .offset:         72
        .size:           8
        .value_kind:     by_value
      - .offset:         80
        .size:           8
        .value_kind:     by_value
      - .offset:         88
        .size:           8
        .value_kind:     by_value
      - .address_space:  global
        .offset:         96
        .size:           8
        .value_kind:     global_buffer
      - .offset:         104
        .size:           8
        .value_kind:     by_value
      - .offset:         112
        .size:           8
        .value_kind:     by_value
      - .offset:         120
        .size:           8
        .value_kind:     by_value
      - .offset:         128
        .size:           4
        .value_kind:     by_value
      - .offset:         136
        .size:           4
        .value_kind:     hidden_block_count_x
      - .offset:         140
        .size:           4
        .value_kind:     hidden_block_count_y
      - .offset:         144
        .size:           4
        .value_kind:     hidden_block_count_z
      - .offset:         148
        .size:           2
        .value_kind:     hidden_group_size_x
      - .offset:         150
        .size:           2
        .value_kind:     hidden_group_size_y
      - .offset:         152
        .size:           2
        .value_kind:     hidden_group_size_z
      - .offset:         154
        .size:           2
        .value_kind:     hidden_remainder_x
      - .offset:         156
        .size:           2
        .value_kind:     hidden_remainder_y
      - .offset:         158
        .size:           2
        .value_kind:     hidden_remainder_z
      - .offset:         176
        .size:           8
        .value_kind:     hidden_global_offset_x
      - .offset:         184
        .size:           8
        .value_kind:     hidden_global_offset_y
      - .offset:         192
        .size:           8
        .value_kind:     hidden_global_offset_z
      - .offset:         200
        .size:           2
        .value_kind:     hidden_grid_dims
    .group_segment_fixed_size: 32768
    .kernarg_segment_align: 8
    .kernarg_segment_size: 392
    .language:       OpenCL C
    .language_version:
      - 2
      - 0
    .max_flat_workgroup_size: 1024
    .name:           _ZL30rocblas_trmm_outofplace_kernelI19rocblas_complex_numIdELi32ELi2ELb0ELb1ELb1ELb1EPKS1_S2_S1_Ev17rocblas_diagonal_iiT6_lPT7_lllS7_lllPT8_llli
    .private_segment_fixed_size: 0
    .sgpr_count:     51
    .sgpr_spill_count: 0
    .symbol:         _ZL30rocblas_trmm_outofplace_kernelI19rocblas_complex_numIdELi32ELi2ELb0ELb1ELb1ELb1EPKS1_S2_S1_Ev17rocblas_diagonal_iiT6_lPT7_lllS7_lllPT8_llli.kd
    .uniform_work_group_size: 1
    .uses_dynamic_stack: false
    .vgpr_count:     85
    .vgpr_spill_count: 0
    .wavefront_size: 32
    .workgroup_processor_mode: 1
  - .args:
      - .offset:         0
        .size:           4
        .value_kind:     by_value
      - .offset:         4
        .size:           4
        .value_kind:     by_value
      - .offset:         8
        .size:           4
        .value_kind:     by_value
      - .offset:         16
        .size:           16
        .value_kind:     by_value
      - .offset:         32
        .size:           8
        .value_kind:     by_value
      - .address_space:  global
        .offset:         40
        .size:           8
        .value_kind:     global_buffer
      - .offset:         48
        .size:           8
        .value_kind:     by_value
      - .offset:         56
        .size:           8
        .value_kind:     by_value
      - .offset:         64
        .size:           8
        .value_kind:     by_value
      - .address_space:  global
        .offset:         72
        .size:           8
        .value_kind:     global_buffer
      - .offset:         80
        .size:           8
        .value_kind:     by_value
      - .offset:         88
        .size:           8
        .value_kind:     by_value
      - .offset:         96
        .size:           8
        .value_kind:     by_value
      - .address_space:  global
        .offset:         104
        .size:           8
        .value_kind:     global_buffer
      - .offset:         112
        .size:           8
        .value_kind:     by_value
      - .offset:         120
        .size:           8
        .value_kind:     by_value
      - .offset:         128
        .size:           8
        .value_kind:     by_value
      - .offset:         136
        .size:           4
        .value_kind:     by_value
      - .offset:         144
        .size:           4
        .value_kind:     hidden_block_count_x
      - .offset:         148
        .size:           4
        .value_kind:     hidden_block_count_y
      - .offset:         152
        .size:           4
        .value_kind:     hidden_block_count_z
      - .offset:         156
        .size:           2
        .value_kind:     hidden_group_size_x
      - .offset:         158
        .size:           2
        .value_kind:     hidden_group_size_y
      - .offset:         160
        .size:           2
        .value_kind:     hidden_group_size_z
      - .offset:         162
        .size:           2
        .value_kind:     hidden_remainder_x
      - .offset:         164
        .size:           2
        .value_kind:     hidden_remainder_y
      - .offset:         166
        .size:           2
        .value_kind:     hidden_remainder_z
      - .offset:         184
        .size:           8
        .value_kind:     hidden_global_offset_x
      - .offset:         192
        .size:           8
        .value_kind:     hidden_global_offset_y
      - .offset:         200
        .size:           8
        .value_kind:     hidden_global_offset_z
      - .offset:         208
        .size:           2
        .value_kind:     hidden_grid_dims
    .group_segment_fixed_size: 32768
    .kernarg_segment_align: 8
    .kernarg_segment_size: 400
    .language:       OpenCL C
    .language_version:
      - 2
      - 0
    .max_flat_workgroup_size: 1024
    .name:           _ZL30rocblas_trmm_outofplace_kernelI19rocblas_complex_numIdELi32ELi2ELb0ELb1ELb1ELb1ES1_KS1_S1_Ev17rocblas_diagonal_iiT6_lPT7_lllS6_lllPT8_llli
    .private_segment_fixed_size: 0
    .sgpr_count:     50
    .sgpr_spill_count: 0
    .symbol:         _ZL30rocblas_trmm_outofplace_kernelI19rocblas_complex_numIdELi32ELi2ELb0ELb1ELb1ELb1ES1_KS1_S1_Ev17rocblas_diagonal_iiT6_lPT7_lllS6_lllPT8_llli.kd
    .uniform_work_group_size: 1
    .uses_dynamic_stack: false
    .vgpr_count:     85
    .vgpr_spill_count: 0
    .wavefront_size: 32
    .workgroup_processor_mode: 1
  - .args:
      - .offset:         0
        .size:           4
        .value_kind:     by_value
      - .offset:         4
        .size:           4
        .value_kind:     by_value
      - .offset:         8
        .size:           4
        .value_kind:     by_value
      - .offset:         12
        .size:           4
        .value_kind:     by_value
      - .address_space:  global
        .offset:         16
        .size:           8
        .value_kind:     global_buffer
      - .offset:         24
        .size:           8
        .value_kind:     by_value
      - .address_space:  global
        .offset:         32
        .size:           8
        .value_kind:     global_buffer
      - .offset:         40
        .size:           8
        .value_kind:     by_value
      - .offset:         48
        .size:           8
        .value_kind:     by_value
      - .address_space:  global
        .offset:         56
        .size:           8
        .value_kind:     global_buffer
      - .offset:         64
        .size:           8
        .value_kind:     by_value
      - .offset:         72
        .size:           8
        .value_kind:     by_value
      - .address_space:  global
        .offset:         80
        .size:           8
        .value_kind:     global_buffer
      - .offset:         88
        .size:           8
        .value_kind:     by_value
      - .offset:         96
        .size:           8
        .value_kind:     by_value
      - .offset:         104
        .size:           4
        .value_kind:     by_value
    .group_segment_fixed_size: 8192
    .kernarg_segment_align: 8
    .kernarg_segment_size: 108
    .language:       OpenCL C
    .language_version:
      - 2
      - 0
    .max_flat_workgroup_size: 256
    .name:           _ZL23rocblas_trmm_lNx_kernelILi16E19rocblas_complex_numIdEPKS1_S2_S1_Ev13rocblas_fill_17rocblas_diagonal_iiT1_lPT2_llS8_llPT3_lli
    .private_segment_fixed_size: 0
    .sgpr_count:     34
    .sgpr_spill_count: 0
    .symbol:         _ZL23rocblas_trmm_lNx_kernelILi16E19rocblas_complex_numIdEPKS1_S2_S1_Ev13rocblas_fill_17rocblas_diagonal_iiT1_lPT2_llS8_llPT3_lli.kd
    .uniform_work_group_size: 1
    .uses_dynamic_stack: false
    .vgpr_count:     45
    .vgpr_spill_count: 0
    .wavefront_size: 32
    .workgroup_processor_mode: 1
  - .args:
      - .offset:         0
        .size:           4
        .value_kind:     by_value
      - .offset:         4
        .size:           4
        .value_kind:     by_value
      - .offset:         8
        .size:           4
        .value_kind:     by_value
      - .offset:         12
        .size:           4
        .value_kind:     by_value
      - .offset:         16
        .size:           16
        .value_kind:     by_value
      - .offset:         32
        .size:           8
        .value_kind:     by_value
      - .address_space:  global
        .offset:         40
        .size:           8
        .value_kind:     global_buffer
      - .offset:         48
        .size:           8
        .value_kind:     by_value
      - .offset:         56
        .size:           8
        .value_kind:     by_value
      - .address_space:  global
        .offset:         64
        .size:           8
        .value_kind:     global_buffer
      - .offset:         72
        .size:           8
        .value_kind:     by_value
      - .offset:         80
        .size:           8
        .value_kind:     by_value
      - .address_space:  global
        .offset:         88
        .size:           8
        .value_kind:     global_buffer
      - .offset:         96
        .size:           8
        .value_kind:     by_value
      - .offset:         104
        .size:           8
        .value_kind:     by_value
      - .offset:         112
        .size:           4
        .value_kind:     by_value
    .group_segment_fixed_size: 8192
    .kernarg_segment_align: 8
    .kernarg_segment_size: 116
    .language:       OpenCL C
    .language_version:
      - 2
      - 0
    .max_flat_workgroup_size: 256
    .name:           _ZL23rocblas_trmm_lNx_kernelILi16E19rocblas_complex_numIdES1_KS1_S1_Ev13rocblas_fill_17rocblas_diagonal_iiT1_lPT2_llS7_llPT3_lli
    .private_segment_fixed_size: 0
    .sgpr_count:     42
    .sgpr_spill_count: 0
    .symbol:         _ZL23rocblas_trmm_lNx_kernelILi16E19rocblas_complex_numIdES1_KS1_S1_Ev13rocblas_fill_17rocblas_diagonal_iiT1_lPT2_llS7_llPT3_lli.kd
    .uniform_work_group_size: 1
    .uses_dynamic_stack: false
    .vgpr_count:     45
    .vgpr_spill_count: 0
    .wavefront_size: 32
    .workgroup_processor_mode: 1
  - .args:
      - .offset:         0
        .size:           4
        .value_kind:     by_value
      - .offset:         4
        .size:           4
        .value_kind:     by_value
      - .offset:         8
        .size:           4
        .value_kind:     by_value
      - .offset:         12
        .size:           4
        .value_kind:     by_value
      - .address_space:  global
        .offset:         16
        .size:           8
        .value_kind:     global_buffer
      - .offset:         24
        .size:           8
        .value_kind:     by_value
      - .address_space:  global
        .offset:         32
        .size:           8
        .value_kind:     global_buffer
      - .offset:         40
        .size:           8
        .value_kind:     by_value
      - .offset:         48
        .size:           8
        .value_kind:     by_value
      - .address_space:  global
        .offset:         56
        .size:           8
        .value_kind:     global_buffer
      - .offset:         64
        .size:           8
        .value_kind:     by_value
      - .offset:         72
        .size:           8
        .value_kind:     by_value
      - .address_space:  global
        .offset:         80
        .size:           8
        .value_kind:     global_buffer
      - .offset:         88
        .size:           8
        .value_kind:     by_value
      - .offset:         96
        .size:           8
        .value_kind:     by_value
      - .offset:         104
        .size:           4
        .value_kind:     by_value
    .group_segment_fixed_size: 8192
    .kernarg_segment_align: 8
    .kernarg_segment_size: 108
    .language:       OpenCL C
    .language_version:
      - 2
      - 0
    .max_flat_workgroup_size: 256
    .name:           _ZL23rocblas_trmm_lTx_kernelILi16ELb0E19rocblas_complex_numIdEPKS1_S2_S1_Ev13rocblas_fill_17rocblas_diagonal_iiT2_lPT3_llS8_llPT4_lli
    .private_segment_fixed_size: 0
    .sgpr_count:     34
    .sgpr_spill_count: 0
    .symbol:         _ZL23rocblas_trmm_lTx_kernelILi16ELb0E19rocblas_complex_numIdEPKS1_S2_S1_Ev13rocblas_fill_17rocblas_diagonal_iiT2_lPT3_llS8_llPT4_lli.kd
    .uniform_work_group_size: 1
    .uses_dynamic_stack: false
    .vgpr_count:     45
    .vgpr_spill_count: 0
    .wavefront_size: 32
    .workgroup_processor_mode: 1
  - .args:
      - .offset:         0
        .size:           4
        .value_kind:     by_value
      - .offset:         4
        .size:           4
        .value_kind:     by_value
      - .offset:         8
        .size:           4
        .value_kind:     by_value
      - .offset:         12
        .size:           4
        .value_kind:     by_value
      - .offset:         16
        .size:           16
        .value_kind:     by_value
      - .offset:         32
        .size:           8
        .value_kind:     by_value
      - .address_space:  global
        .offset:         40
        .size:           8
        .value_kind:     global_buffer
      - .offset:         48
        .size:           8
        .value_kind:     by_value
      - .offset:         56
        .size:           8
        .value_kind:     by_value
      - .address_space:  global
        .offset:         64
        .size:           8
        .value_kind:     global_buffer
      - .offset:         72
        .size:           8
        .value_kind:     by_value
      - .offset:         80
        .size:           8
        .value_kind:     by_value
      - .address_space:  global
        .offset:         88
        .size:           8
        .value_kind:     global_buffer
      - .offset:         96
        .size:           8
        .value_kind:     by_value
      - .offset:         104
        .size:           8
        .value_kind:     by_value
      - .offset:         112
        .size:           4
        .value_kind:     by_value
    .group_segment_fixed_size: 8192
    .kernarg_segment_align: 8
    .kernarg_segment_size: 116
    .language:       OpenCL C
    .language_version:
      - 2
      - 0
    .max_flat_workgroup_size: 256
    .name:           _ZL23rocblas_trmm_lTx_kernelILi16ELb0E19rocblas_complex_numIdES1_KS1_S1_Ev13rocblas_fill_17rocblas_diagonal_iiT2_lPT3_llS7_llPT4_lli
    .private_segment_fixed_size: 0
    .sgpr_count:     42
    .sgpr_spill_count: 0
    .symbol:         _ZL23rocblas_trmm_lTx_kernelILi16ELb0E19rocblas_complex_numIdES1_KS1_S1_Ev13rocblas_fill_17rocblas_diagonal_iiT2_lPT3_llS7_llPT4_lli.kd
    .uniform_work_group_size: 1
    .uses_dynamic_stack: false
    .vgpr_count:     45
    .vgpr_spill_count: 0
    .wavefront_size: 32
    .workgroup_processor_mode: 1
  - .args:
      - .offset:         0
        .size:           4
        .value_kind:     by_value
      - .offset:         4
        .size:           4
        .value_kind:     by_value
      - .offset:         8
        .size:           4
        .value_kind:     by_value
      - .offset:         12
        .size:           4
        .value_kind:     by_value
      - .address_space:  global
        .offset:         16
        .size:           8
        .value_kind:     global_buffer
      - .offset:         24
        .size:           8
        .value_kind:     by_value
      - .address_space:  global
        .offset:         32
        .size:           8
        .value_kind:     global_buffer
      - .offset:         40
        .size:           8
        .value_kind:     by_value
      - .offset:         48
        .size:           8
        .value_kind:     by_value
      - .address_space:  global
        .offset:         56
        .size:           8
        .value_kind:     global_buffer
      - .offset:         64
        .size:           8
        .value_kind:     by_value
      - .offset:         72
        .size:           8
        .value_kind:     by_value
      - .address_space:  global
        .offset:         80
        .size:           8
        .value_kind:     global_buffer
      - .offset:         88
        .size:           8
        .value_kind:     by_value
      - .offset:         96
        .size:           8
        .value_kind:     by_value
      - .offset:         104
        .size:           4
        .value_kind:     by_value
    .group_segment_fixed_size: 8192
    .kernarg_segment_align: 8
    .kernarg_segment_size: 108
    .language:       OpenCL C
    .language_version:
      - 2
      - 0
    .max_flat_workgroup_size: 256
    .name:           _ZL23rocblas_trmm_lTx_kernelILi16ELb1E19rocblas_complex_numIdEPKS1_S2_S1_Ev13rocblas_fill_17rocblas_diagonal_iiT2_lPT3_llS8_llPT4_lli
    .private_segment_fixed_size: 0
    .sgpr_count:     34
    .sgpr_spill_count: 0
    .symbol:         _ZL23rocblas_trmm_lTx_kernelILi16ELb1E19rocblas_complex_numIdEPKS1_S2_S1_Ev13rocblas_fill_17rocblas_diagonal_iiT2_lPT3_llS8_llPT4_lli.kd
    .uniform_work_group_size: 1
    .uses_dynamic_stack: false
    .vgpr_count:     45
    .vgpr_spill_count: 0
    .wavefront_size: 32
    .workgroup_processor_mode: 1
  - .args:
      - .offset:         0
        .size:           4
        .value_kind:     by_value
      - .offset:         4
        .size:           4
        .value_kind:     by_value
      - .offset:         8
        .size:           4
        .value_kind:     by_value
      - .offset:         12
        .size:           4
        .value_kind:     by_value
      - .offset:         16
        .size:           16
        .value_kind:     by_value
      - .offset:         32
        .size:           8
        .value_kind:     by_value
      - .address_space:  global
        .offset:         40
        .size:           8
        .value_kind:     global_buffer
      - .offset:         48
        .size:           8
        .value_kind:     by_value
      - .offset:         56
        .size:           8
        .value_kind:     by_value
      - .address_space:  global
        .offset:         64
        .size:           8
        .value_kind:     global_buffer
      - .offset:         72
        .size:           8
        .value_kind:     by_value
      - .offset:         80
        .size:           8
        .value_kind:     by_value
      - .address_space:  global
        .offset:         88
        .size:           8
        .value_kind:     global_buffer
      - .offset:         96
        .size:           8
        .value_kind:     by_value
      - .offset:         104
        .size:           8
        .value_kind:     by_value
      - .offset:         112
        .size:           4
        .value_kind:     by_value
    .group_segment_fixed_size: 8192
    .kernarg_segment_align: 8
    .kernarg_segment_size: 116
    .language:       OpenCL C
    .language_version:
      - 2
      - 0
    .max_flat_workgroup_size: 256
    .name:           _ZL23rocblas_trmm_lTx_kernelILi16ELb1E19rocblas_complex_numIdES1_KS1_S1_Ev13rocblas_fill_17rocblas_diagonal_iiT2_lPT3_llS7_llPT4_lli
    .private_segment_fixed_size: 0
    .sgpr_count:     42
    .sgpr_spill_count: 0
    .symbol:         _ZL23rocblas_trmm_lTx_kernelILi16ELb1E19rocblas_complex_numIdES1_KS1_S1_Ev13rocblas_fill_17rocblas_diagonal_iiT2_lPT3_llS7_llPT4_lli.kd
    .uniform_work_group_size: 1
    .uses_dynamic_stack: false
    .vgpr_count:     45
    .vgpr_spill_count: 0
    .wavefront_size: 32
    .workgroup_processor_mode: 1
  - .args:
      - .offset:         0
        .size:           4
        .value_kind:     by_value
      - .offset:         4
        .size:           4
        .value_kind:     by_value
      - .offset:         8
        .size:           4
        .value_kind:     by_value
      - .offset:         12
        .size:           4
        .value_kind:     by_value
      - .address_space:  global
        .offset:         16
        .size:           8
        .value_kind:     global_buffer
      - .offset:         24
        .size:           8
        .value_kind:     by_value
      - .address_space:  global
        .offset:         32
        .size:           8
        .value_kind:     global_buffer
      - .offset:         40
        .size:           8
        .value_kind:     by_value
      - .offset:         48
        .size:           8
        .value_kind:     by_value
      - .address_space:  global
        .offset:         56
        .size:           8
        .value_kind:     global_buffer
      - .offset:         64
        .size:           8
        .value_kind:     by_value
      - .offset:         72
        .size:           8
        .value_kind:     by_value
      - .address_space:  global
        .offset:         80
        .size:           8
        .value_kind:     global_buffer
      - .offset:         88
        .size:           8
        .value_kind:     by_value
      - .offset:         96
        .size:           8
        .value_kind:     by_value
      - .offset:         104
        .size:           4
        .value_kind:     by_value
    .group_segment_fixed_size: 8192
    .kernarg_segment_align: 8
    .kernarg_segment_size: 108
    .language:       OpenCL C
    .language_version:
      - 2
      - 0
    .max_flat_workgroup_size: 256
    .name:           _ZL23rocblas_trmm_rNx_kernelILi16E19rocblas_complex_numIdEPKS1_S2_S1_Ev13rocblas_fill_17rocblas_diagonal_iiT1_lPT2_llS8_llPT3_lli
    .private_segment_fixed_size: 0
    .sgpr_count:     34
    .sgpr_spill_count: 0
    .symbol:         _ZL23rocblas_trmm_rNx_kernelILi16E19rocblas_complex_numIdEPKS1_S2_S1_Ev13rocblas_fill_17rocblas_diagonal_iiT1_lPT2_llS8_llPT3_lli.kd
    .uniform_work_group_size: 1
    .uses_dynamic_stack: false
    .vgpr_count:     45
    .vgpr_spill_count: 0
    .wavefront_size: 32
    .workgroup_processor_mode: 1
  - .args:
      - .offset:         0
        .size:           4
        .value_kind:     by_value
      - .offset:         4
        .size:           4
        .value_kind:     by_value
      - .offset:         8
        .size:           4
        .value_kind:     by_value
      - .offset:         12
        .size:           4
        .value_kind:     by_value
      - .offset:         16
        .size:           16
        .value_kind:     by_value
      - .offset:         32
        .size:           8
        .value_kind:     by_value
      - .address_space:  global
        .offset:         40
        .size:           8
        .value_kind:     global_buffer
      - .offset:         48
        .size:           8
        .value_kind:     by_value
      - .offset:         56
        .size:           8
        .value_kind:     by_value
      - .address_space:  global
        .offset:         64
        .size:           8
        .value_kind:     global_buffer
      - .offset:         72
        .size:           8
        .value_kind:     by_value
      - .offset:         80
        .size:           8
        .value_kind:     by_value
      - .address_space:  global
        .offset:         88
        .size:           8
        .value_kind:     global_buffer
      - .offset:         96
        .size:           8
        .value_kind:     by_value
      - .offset:         104
        .size:           8
        .value_kind:     by_value
      - .offset:         112
        .size:           4
        .value_kind:     by_value
    .group_segment_fixed_size: 8192
    .kernarg_segment_align: 8
    .kernarg_segment_size: 116
    .language:       OpenCL C
    .language_version:
      - 2
      - 0
    .max_flat_workgroup_size: 256
    .name:           _ZL23rocblas_trmm_rNx_kernelILi16E19rocblas_complex_numIdES1_KS1_S1_Ev13rocblas_fill_17rocblas_diagonal_iiT1_lPT2_llS7_llPT3_lli
    .private_segment_fixed_size: 0
    .sgpr_count:     42
    .sgpr_spill_count: 0
    .symbol:         _ZL23rocblas_trmm_rNx_kernelILi16E19rocblas_complex_numIdES1_KS1_S1_Ev13rocblas_fill_17rocblas_diagonal_iiT1_lPT2_llS7_llPT3_lli.kd
    .uniform_work_group_size: 1
    .uses_dynamic_stack: false
    .vgpr_count:     45
    .vgpr_spill_count: 0
    .wavefront_size: 32
    .workgroup_processor_mode: 1
  - .args:
      - .offset:         0
        .size:           4
        .value_kind:     by_value
      - .offset:         4
        .size:           4
        .value_kind:     by_value
      - .offset:         8
        .size:           4
        .value_kind:     by_value
      - .offset:         12
        .size:           4
        .value_kind:     by_value
      - .address_space:  global
        .offset:         16
        .size:           8
        .value_kind:     global_buffer
      - .offset:         24
        .size:           8
        .value_kind:     by_value
      - .address_space:  global
        .offset:         32
        .size:           8
        .value_kind:     global_buffer
      - .offset:         40
        .size:           8
        .value_kind:     by_value
      - .offset:         48
        .size:           8
        .value_kind:     by_value
      - .address_space:  global
        .offset:         56
        .size:           8
        .value_kind:     global_buffer
      - .offset:         64
        .size:           8
        .value_kind:     by_value
      - .offset:         72
        .size:           8
        .value_kind:     by_value
      - .address_space:  global
        .offset:         80
        .size:           8
        .value_kind:     global_buffer
      - .offset:         88
        .size:           8
        .value_kind:     by_value
      - .offset:         96
        .size:           8
        .value_kind:     by_value
      - .offset:         104
        .size:           4
        .value_kind:     by_value
    .group_segment_fixed_size: 8192
    .kernarg_segment_align: 8
    .kernarg_segment_size: 108
    .language:       OpenCL C
    .language_version:
      - 2
      - 0
    .max_flat_workgroup_size: 256
    .name:           _ZL23rocblas_trmm_rTx_kernelILi16ELb0E19rocblas_complex_numIdEPKS1_S2_S1_Ev13rocblas_fill_17rocblas_diagonal_iiT2_lPT3_llS8_llPT4_lli
    .private_segment_fixed_size: 0
    .sgpr_count:     34
    .sgpr_spill_count: 0
    .symbol:         _ZL23rocblas_trmm_rTx_kernelILi16ELb0E19rocblas_complex_numIdEPKS1_S2_S1_Ev13rocblas_fill_17rocblas_diagonal_iiT2_lPT3_llS8_llPT4_lli.kd
    .uniform_work_group_size: 1
    .uses_dynamic_stack: false
    .vgpr_count:     45
    .vgpr_spill_count: 0
    .wavefront_size: 32
    .workgroup_processor_mode: 1
  - .args:
      - .offset:         0
        .size:           4
        .value_kind:     by_value
      - .offset:         4
        .size:           4
        .value_kind:     by_value
      - .offset:         8
        .size:           4
        .value_kind:     by_value
      - .offset:         12
        .size:           4
        .value_kind:     by_value
      - .offset:         16
        .size:           16
        .value_kind:     by_value
      - .offset:         32
        .size:           8
        .value_kind:     by_value
      - .address_space:  global
        .offset:         40
        .size:           8
        .value_kind:     global_buffer
      - .offset:         48
        .size:           8
        .value_kind:     by_value
      - .offset:         56
        .size:           8
        .value_kind:     by_value
      - .address_space:  global
        .offset:         64
        .size:           8
        .value_kind:     global_buffer
      - .offset:         72
        .size:           8
        .value_kind:     by_value
      - .offset:         80
        .size:           8
        .value_kind:     by_value
      - .address_space:  global
        .offset:         88
        .size:           8
        .value_kind:     global_buffer
      - .offset:         96
        .size:           8
        .value_kind:     by_value
      - .offset:         104
        .size:           8
        .value_kind:     by_value
      - .offset:         112
        .size:           4
        .value_kind:     by_value
    .group_segment_fixed_size: 8192
    .kernarg_segment_align: 8
    .kernarg_segment_size: 116
    .language:       OpenCL C
    .language_version:
      - 2
      - 0
    .max_flat_workgroup_size: 256
    .name:           _ZL23rocblas_trmm_rTx_kernelILi16ELb0E19rocblas_complex_numIdES1_KS1_S1_Ev13rocblas_fill_17rocblas_diagonal_iiT2_lPT3_llS7_llPT4_lli
    .private_segment_fixed_size: 0
    .sgpr_count:     42
    .sgpr_spill_count: 0
    .symbol:         _ZL23rocblas_trmm_rTx_kernelILi16ELb0E19rocblas_complex_numIdES1_KS1_S1_Ev13rocblas_fill_17rocblas_diagonal_iiT2_lPT3_llS7_llPT4_lli.kd
    .uniform_work_group_size: 1
    .uses_dynamic_stack: false
    .vgpr_count:     45
    .vgpr_spill_count: 0
    .wavefront_size: 32
    .workgroup_processor_mode: 1
  - .args:
      - .offset:         0
        .size:           4
        .value_kind:     by_value
      - .offset:         4
        .size:           4
        .value_kind:     by_value
      - .offset:         8
        .size:           4
        .value_kind:     by_value
      - .offset:         12
        .size:           4
        .value_kind:     by_value
      - .address_space:  global
        .offset:         16
        .size:           8
        .value_kind:     global_buffer
      - .offset:         24
        .size:           8
        .value_kind:     by_value
      - .address_space:  global
        .offset:         32
        .size:           8
        .value_kind:     global_buffer
      - .offset:         40
        .size:           8
        .value_kind:     by_value
      - .offset:         48
        .size:           8
        .value_kind:     by_value
      - .address_space:  global
        .offset:         56
        .size:           8
        .value_kind:     global_buffer
      - .offset:         64
        .size:           8
        .value_kind:     by_value
      - .offset:         72
        .size:           8
        .value_kind:     by_value
      - .address_space:  global
        .offset:         80
        .size:           8
        .value_kind:     global_buffer
      - .offset:         88
        .size:           8
        .value_kind:     by_value
      - .offset:         96
        .size:           8
        .value_kind:     by_value
      - .offset:         104
        .size:           4
        .value_kind:     by_value
    .group_segment_fixed_size: 8192
    .kernarg_segment_align: 8
    .kernarg_segment_size: 108
    .language:       OpenCL C
    .language_version:
      - 2
      - 0
    .max_flat_workgroup_size: 256
    .name:           _ZL23rocblas_trmm_rTx_kernelILi16ELb1E19rocblas_complex_numIdEPKS1_S2_S1_Ev13rocblas_fill_17rocblas_diagonal_iiT2_lPT3_llS8_llPT4_lli
    .private_segment_fixed_size: 0
    .sgpr_count:     34
    .sgpr_spill_count: 0
    .symbol:         _ZL23rocblas_trmm_rTx_kernelILi16ELb1E19rocblas_complex_numIdEPKS1_S2_S1_Ev13rocblas_fill_17rocblas_diagonal_iiT2_lPT3_llS8_llPT4_lli.kd
    .uniform_work_group_size: 1
    .uses_dynamic_stack: false
    .vgpr_count:     45
    .vgpr_spill_count: 0
    .wavefront_size: 32
    .workgroup_processor_mode: 1
  - .args:
      - .offset:         0
        .size:           4
        .value_kind:     by_value
      - .offset:         4
        .size:           4
        .value_kind:     by_value
      - .offset:         8
        .size:           4
        .value_kind:     by_value
      - .offset:         12
        .size:           4
        .value_kind:     by_value
      - .offset:         16
        .size:           16
        .value_kind:     by_value
      - .offset:         32
        .size:           8
        .value_kind:     by_value
      - .address_space:  global
        .offset:         40
        .size:           8
        .value_kind:     global_buffer
      - .offset:         48
        .size:           8
        .value_kind:     by_value
      - .offset:         56
        .size:           8
        .value_kind:     by_value
      - .address_space:  global
        .offset:         64
        .size:           8
        .value_kind:     global_buffer
      - .offset:         72
        .size:           8
        .value_kind:     by_value
      - .offset:         80
        .size:           8
        .value_kind:     by_value
      - .address_space:  global
        .offset:         88
        .size:           8
        .value_kind:     global_buffer
      - .offset:         96
        .size:           8
        .value_kind:     by_value
      - .offset:         104
        .size:           8
        .value_kind:     by_value
      - .offset:         112
        .size:           4
        .value_kind:     by_value
    .group_segment_fixed_size: 8192
    .kernarg_segment_align: 8
    .kernarg_segment_size: 116
    .language:       OpenCL C
    .language_version:
      - 2
      - 0
    .max_flat_workgroup_size: 256
    .name:           _ZL23rocblas_trmm_rTx_kernelILi16ELb1E19rocblas_complex_numIdES1_KS1_S1_Ev13rocblas_fill_17rocblas_diagonal_iiT2_lPT3_llS7_llPT4_lli
    .private_segment_fixed_size: 0
    .sgpr_count:     42
    .sgpr_spill_count: 0
    .symbol:         _ZL23rocblas_trmm_rTx_kernelILi16ELb1E19rocblas_complex_numIdES1_KS1_S1_Ev13rocblas_fill_17rocblas_diagonal_iiT2_lPT3_llS7_llPT4_lli.kd
    .uniform_work_group_size: 1
    .uses_dynamic_stack: false
    .vgpr_count:     45
    .vgpr_spill_count: 0
    .wavefront_size: 32
    .workgroup_processor_mode: 1
  - .args:
      - .offset:         0
        .size:           4
        .value_kind:     by_value
      - .offset:         4
        .size:           4
        .value_kind:     by_value
      - .offset:         8
        .size:           4
        .value_kind:     by_value
      - .offset:         12
        .size:           4
        .value_kind:     by_value
      - .address_space:  global
        .offset:         16
        .size:           8
        .value_kind:     global_buffer
      - .offset:         24
        .size:           8
        .value_kind:     by_value
      - .address_space:  global
        .offset:         32
        .size:           8
        .value_kind:     global_buffer
      - .offset:         40
        .size:           8
        .value_kind:     by_value
      - .offset:         48
        .size:           8
        .value_kind:     by_value
      - .address_space:  global
        .offset:         56
        .size:           8
        .value_kind:     global_buffer
      - .offset:         64
        .size:           8
        .value_kind:     by_value
      - .offset:         72
        .size:           8
        .value_kind:     by_value
      - .address_space:  global
        .offset:         80
        .size:           8
        .value_kind:     global_buffer
      - .offset:         88
        .size:           8
        .value_kind:     by_value
      - .offset:         96
        .size:           8
        .value_kind:     by_value
      - .offset:         104
        .size:           4
        .value_kind:     by_value
    .group_segment_fixed_size: 8192
    .kernarg_segment_align: 8
    .kernarg_segment_size: 108
    .language:       OpenCL C
    .language_version:
      - 2
      - 0
    .max_flat_workgroup_size: 1024
    .name:           _ZL23rocblas_trmm_lNx_kernelILi32EfPKfKS1_KPfEv13rocblas_fill_17rocblas_diagonal_iiT1_lPT2_llS9_llPT3_lli
    .private_segment_fixed_size: 0
    .sgpr_count:     34
    .sgpr_spill_count: 0
    .symbol:         _ZL23rocblas_trmm_lNx_kernelILi32EfPKfKS1_KPfEv13rocblas_fill_17rocblas_diagonal_iiT1_lPT2_llS9_llPT3_lli.kd
    .uniform_work_group_size: 1
    .uses_dynamic_stack: false
    .vgpr_count:     20
    .vgpr_spill_count: 0
    .wavefront_size: 32
    .workgroup_processor_mode: 1
  - .args:
      - .offset:         0
        .size:           4
        .value_kind:     by_value
      - .offset:         4
        .size:           4
        .value_kind:     by_value
      - .offset:         8
        .size:           4
        .value_kind:     by_value
      - .offset:         12
        .size:           4
        .value_kind:     by_value
      - .offset:         16
        .size:           4
        .value_kind:     by_value
      - .offset:         24
        .size:           8
        .value_kind:     by_value
      - .address_space:  global
        .offset:         32
        .size:           8
        .value_kind:     global_buffer
      - .offset:         40
        .size:           8
        .value_kind:     by_value
      - .offset:         48
        .size:           8
        .value_kind:     by_value
      - .address_space:  global
        .offset:         56
        .size:           8
        .value_kind:     global_buffer
      - .offset:         64
        .size:           8
        .value_kind:     by_value
      - .offset:         72
        .size:           8
        .value_kind:     by_value
      - .address_space:  global
        .offset:         80
        .size:           8
        .value_kind:     global_buffer
      - .offset:         88
        .size:           8
        .value_kind:     by_value
      - .offset:         96
        .size:           8
        .value_kind:     by_value
      - .offset:         104
        .size:           4
        .value_kind:     by_value
    .group_segment_fixed_size: 8192
    .kernarg_segment_align: 8
    .kernarg_segment_size: 108
    .language:       OpenCL C
    .language_version:
      - 2
      - 0
    .max_flat_workgroup_size: 1024
    .name:           _ZL23rocblas_trmm_lNx_kernelILi32EffKPKfKPfEv13rocblas_fill_17rocblas_diagonal_iiT1_lPT2_llS9_llPT3_lli
    .private_segment_fixed_size: 0
    .sgpr_count:     34
    .sgpr_spill_count: 0
    .symbol:         _ZL23rocblas_trmm_lNx_kernelILi32EffKPKfKPfEv13rocblas_fill_17rocblas_diagonal_iiT1_lPT2_llS9_llPT3_lli.kd
    .uniform_work_group_size: 1
    .uses_dynamic_stack: false
    .vgpr_count:     20
    .vgpr_spill_count: 0
    .wavefront_size: 32
    .workgroup_processor_mode: 1
  - .args:
      - .offset:         0
        .size:           4
        .value_kind:     by_value
      - .offset:         4
        .size:           4
        .value_kind:     by_value
      - .offset:         8
        .size:           4
        .value_kind:     by_value
      - .offset:         12
        .size:           4
        .value_kind:     by_value
      - .address_space:  global
        .offset:         16
        .size:           8
        .value_kind:     global_buffer
      - .offset:         24
        .size:           8
        .value_kind:     by_value
      - .address_space:  global
        .offset:         32
        .size:           8
        .value_kind:     global_buffer
      - .offset:         40
        .size:           8
        .value_kind:     by_value
      - .offset:         48
        .size:           8
        .value_kind:     by_value
      - .address_space:  global
        .offset:         56
        .size:           8
        .value_kind:     global_buffer
      - .offset:         64
        .size:           8
        .value_kind:     by_value
      - .offset:         72
        .size:           8
        .value_kind:     by_value
      - .address_space:  global
        .offset:         80
        .size:           8
        .value_kind:     global_buffer
      - .offset:         88
        .size:           8
        .value_kind:     by_value
      - .offset:         96
        .size:           8
        .value_kind:     by_value
      - .offset:         104
        .size:           4
        .value_kind:     by_value
    .group_segment_fixed_size: 8192
    .kernarg_segment_align: 8
    .kernarg_segment_size: 108
    .language:       OpenCL C
    .language_version:
      - 2
      - 0
    .max_flat_workgroup_size: 1024
    .name:           _ZL23rocblas_trmm_lTx_kernelILi32ELb0EfPKfKS1_KPfEv13rocblas_fill_17rocblas_diagonal_iiT2_lPT3_llS9_llPT4_lli
    .private_segment_fixed_size: 0
    .sgpr_count:     34
    .sgpr_spill_count: 0
    .symbol:         _ZL23rocblas_trmm_lTx_kernelILi32ELb0EfPKfKS1_KPfEv13rocblas_fill_17rocblas_diagonal_iiT2_lPT3_llS9_llPT4_lli.kd
    .uniform_work_group_size: 1
    .uses_dynamic_stack: false
    .vgpr_count:     20
    .vgpr_spill_count: 0
    .wavefront_size: 32
    .workgroup_processor_mode: 1
  - .args:
      - .offset:         0
        .size:           4
        .value_kind:     by_value
      - .offset:         4
        .size:           4
        .value_kind:     by_value
      - .offset:         8
        .size:           4
        .value_kind:     by_value
      - .offset:         12
        .size:           4
        .value_kind:     by_value
      - .offset:         16
        .size:           4
        .value_kind:     by_value
      - .offset:         24
        .size:           8
        .value_kind:     by_value
      - .address_space:  global
        .offset:         32
        .size:           8
        .value_kind:     global_buffer
      - .offset:         40
        .size:           8
        .value_kind:     by_value
      - .offset:         48
        .size:           8
        .value_kind:     by_value
      - .address_space:  global
        .offset:         56
        .size:           8
        .value_kind:     global_buffer
      - .offset:         64
        .size:           8
        .value_kind:     by_value
      - .offset:         72
        .size:           8
        .value_kind:     by_value
      - .address_space:  global
        .offset:         80
        .size:           8
        .value_kind:     global_buffer
      - .offset:         88
        .size:           8
        .value_kind:     by_value
      - .offset:         96
        .size:           8
        .value_kind:     by_value
      - .offset:         104
        .size:           4
        .value_kind:     by_value
    .group_segment_fixed_size: 8192
    .kernarg_segment_align: 8
    .kernarg_segment_size: 108
    .language:       OpenCL C
    .language_version:
      - 2
      - 0
    .max_flat_workgroup_size: 1024
    .name:           _ZL23rocblas_trmm_lTx_kernelILi32ELb0EffKPKfKPfEv13rocblas_fill_17rocblas_diagonal_iiT2_lPT3_llS9_llPT4_lli
    .private_segment_fixed_size: 0
    .sgpr_count:     34
    .sgpr_spill_count: 0
    .symbol:         _ZL23rocblas_trmm_lTx_kernelILi32ELb0EffKPKfKPfEv13rocblas_fill_17rocblas_diagonal_iiT2_lPT3_llS9_llPT4_lli.kd
    .uniform_work_group_size: 1
    .uses_dynamic_stack: false
    .vgpr_count:     20
    .vgpr_spill_count: 0
    .wavefront_size: 32
    .workgroup_processor_mode: 1
  - .args:
      - .offset:         0
        .size:           4
        .value_kind:     by_value
      - .offset:         4
        .size:           4
        .value_kind:     by_value
      - .offset:         8
        .size:           4
        .value_kind:     by_value
      - .offset:         12
        .size:           4
        .value_kind:     by_value
      - .address_space:  global
        .offset:         16
        .size:           8
        .value_kind:     global_buffer
      - .offset:         24
        .size:           8
        .value_kind:     by_value
      - .address_space:  global
        .offset:         32
        .size:           8
        .value_kind:     global_buffer
      - .offset:         40
        .size:           8
        .value_kind:     by_value
      - .offset:         48
        .size:           8
        .value_kind:     by_value
      - .address_space:  global
        .offset:         56
        .size:           8
        .value_kind:     global_buffer
      - .offset:         64
        .size:           8
        .value_kind:     by_value
      - .offset:         72
        .size:           8
        .value_kind:     by_value
      - .address_space:  global
        .offset:         80
        .size:           8
        .value_kind:     global_buffer
      - .offset:         88
        .size:           8
        .value_kind:     by_value
      - .offset:         96
        .size:           8
        .value_kind:     by_value
      - .offset:         104
        .size:           4
        .value_kind:     by_value
    .group_segment_fixed_size: 8192
    .kernarg_segment_align: 8
    .kernarg_segment_size: 108
    .language:       OpenCL C
    .language_version:
      - 2
      - 0
    .max_flat_workgroup_size: 1024
    .name:           _ZL23rocblas_trmm_lTx_kernelILi32ELb1EfPKfKS1_KPfEv13rocblas_fill_17rocblas_diagonal_iiT2_lPT3_llS9_llPT4_lli
    .private_segment_fixed_size: 0
    .sgpr_count:     34
    .sgpr_spill_count: 0
    .symbol:         _ZL23rocblas_trmm_lTx_kernelILi32ELb1EfPKfKS1_KPfEv13rocblas_fill_17rocblas_diagonal_iiT2_lPT3_llS9_llPT4_lli.kd
    .uniform_work_group_size: 1
    .uses_dynamic_stack: false
    .vgpr_count:     20
    .vgpr_spill_count: 0
    .wavefront_size: 32
    .workgroup_processor_mode: 1
  - .args:
      - .offset:         0
        .size:           4
        .value_kind:     by_value
      - .offset:         4
        .size:           4
        .value_kind:     by_value
      - .offset:         8
        .size:           4
        .value_kind:     by_value
      - .offset:         12
        .size:           4
        .value_kind:     by_value
      - .offset:         16
        .size:           4
        .value_kind:     by_value
      - .offset:         24
        .size:           8
        .value_kind:     by_value
      - .address_space:  global
        .offset:         32
        .size:           8
        .value_kind:     global_buffer
      - .offset:         40
        .size:           8
        .value_kind:     by_value
      - .offset:         48
        .size:           8
        .value_kind:     by_value
      - .address_space:  global
        .offset:         56
        .size:           8
        .value_kind:     global_buffer
      - .offset:         64
        .size:           8
        .value_kind:     by_value
      - .offset:         72
        .size:           8
        .value_kind:     by_value
      - .address_space:  global
        .offset:         80
        .size:           8
        .value_kind:     global_buffer
      - .offset:         88
        .size:           8
        .value_kind:     by_value
      - .offset:         96
        .size:           8
        .value_kind:     by_value
      - .offset:         104
        .size:           4
        .value_kind:     by_value
    .group_segment_fixed_size: 8192
    .kernarg_segment_align: 8
    .kernarg_segment_size: 108
    .language:       OpenCL C
    .language_version:
      - 2
      - 0
    .max_flat_workgroup_size: 1024
    .name:           _ZL23rocblas_trmm_lTx_kernelILi32ELb1EffKPKfKPfEv13rocblas_fill_17rocblas_diagonal_iiT2_lPT3_llS9_llPT4_lli
    .private_segment_fixed_size: 0
    .sgpr_count:     34
    .sgpr_spill_count: 0
    .symbol:         _ZL23rocblas_trmm_lTx_kernelILi32ELb1EffKPKfKPfEv13rocblas_fill_17rocblas_diagonal_iiT2_lPT3_llS9_llPT4_lli.kd
    .uniform_work_group_size: 1
    .uses_dynamic_stack: false
    .vgpr_count:     20
    .vgpr_spill_count: 0
    .wavefront_size: 32
    .workgroup_processor_mode: 1
  - .args:
      - .offset:         0
        .size:           4
        .value_kind:     by_value
      - .offset:         4
        .size:           4
        .value_kind:     by_value
      - .offset:         8
        .size:           4
        .value_kind:     by_value
      - .offset:         12
        .size:           4
        .value_kind:     by_value
      - .address_space:  global
        .offset:         16
        .size:           8
        .value_kind:     global_buffer
      - .offset:         24
        .size:           8
        .value_kind:     by_value
      - .address_space:  global
        .offset:         32
        .size:           8
        .value_kind:     global_buffer
      - .offset:         40
        .size:           8
        .value_kind:     by_value
      - .offset:         48
        .size:           8
        .value_kind:     by_value
      - .address_space:  global
        .offset:         56
        .size:           8
        .value_kind:     global_buffer
      - .offset:         64
        .size:           8
        .value_kind:     by_value
      - .offset:         72
        .size:           8
        .value_kind:     by_value
      - .address_space:  global
        .offset:         80
        .size:           8
        .value_kind:     global_buffer
      - .offset:         88
        .size:           8
        .value_kind:     by_value
      - .offset:         96
        .size:           8
        .value_kind:     by_value
      - .offset:         104
        .size:           4
        .value_kind:     by_value
    .group_segment_fixed_size: 8192
    .kernarg_segment_align: 8
    .kernarg_segment_size: 108
    .language:       OpenCL C
    .language_version:
      - 2
      - 0
    .max_flat_workgroup_size: 1024
    .name:           _ZL23rocblas_trmm_rNx_kernelILi32EfPKfKS1_KPfEv13rocblas_fill_17rocblas_diagonal_iiT1_lPT2_llS9_llPT3_lli
    .private_segment_fixed_size: 0
    .sgpr_count:     34
    .sgpr_spill_count: 0
    .symbol:         _ZL23rocblas_trmm_rNx_kernelILi32EfPKfKS1_KPfEv13rocblas_fill_17rocblas_diagonal_iiT1_lPT2_llS9_llPT3_lli.kd
    .uniform_work_group_size: 1
    .uses_dynamic_stack: false
    .vgpr_count:     20
    .vgpr_spill_count: 0
    .wavefront_size: 32
    .workgroup_processor_mode: 1
  - .args:
      - .offset:         0
        .size:           4
        .value_kind:     by_value
      - .offset:         4
        .size:           4
        .value_kind:     by_value
      - .offset:         8
        .size:           4
        .value_kind:     by_value
      - .offset:         12
        .size:           4
        .value_kind:     by_value
      - .offset:         16
        .size:           4
        .value_kind:     by_value
      - .offset:         24
        .size:           8
        .value_kind:     by_value
      - .address_space:  global
        .offset:         32
        .size:           8
        .value_kind:     global_buffer
      - .offset:         40
        .size:           8
        .value_kind:     by_value
      - .offset:         48
        .size:           8
        .value_kind:     by_value
      - .address_space:  global
        .offset:         56
        .size:           8
        .value_kind:     global_buffer
      - .offset:         64
        .size:           8
        .value_kind:     by_value
      - .offset:         72
        .size:           8
        .value_kind:     by_value
      - .address_space:  global
        .offset:         80
        .size:           8
        .value_kind:     global_buffer
      - .offset:         88
        .size:           8
        .value_kind:     by_value
      - .offset:         96
        .size:           8
        .value_kind:     by_value
      - .offset:         104
        .size:           4
        .value_kind:     by_value
    .group_segment_fixed_size: 8192
    .kernarg_segment_align: 8
    .kernarg_segment_size: 108
    .language:       OpenCL C
    .language_version:
      - 2
      - 0
    .max_flat_workgroup_size: 1024
    .name:           _ZL23rocblas_trmm_rNx_kernelILi32EffKPKfKPfEv13rocblas_fill_17rocblas_diagonal_iiT1_lPT2_llS9_llPT3_lli
    .private_segment_fixed_size: 0
    .sgpr_count:     34
    .sgpr_spill_count: 0
    .symbol:         _ZL23rocblas_trmm_rNx_kernelILi32EffKPKfKPfEv13rocblas_fill_17rocblas_diagonal_iiT1_lPT2_llS9_llPT3_lli.kd
    .uniform_work_group_size: 1
    .uses_dynamic_stack: false
    .vgpr_count:     20
    .vgpr_spill_count: 0
    .wavefront_size: 32
    .workgroup_processor_mode: 1
  - .args:
      - .offset:         0
        .size:           4
        .value_kind:     by_value
      - .offset:         4
        .size:           4
        .value_kind:     by_value
      - .offset:         8
        .size:           4
        .value_kind:     by_value
      - .offset:         12
        .size:           4
        .value_kind:     by_value
      - .address_space:  global
        .offset:         16
        .size:           8
        .value_kind:     global_buffer
      - .offset:         24
        .size:           8
        .value_kind:     by_value
      - .address_space:  global
        .offset:         32
        .size:           8
        .value_kind:     global_buffer
      - .offset:         40
        .size:           8
        .value_kind:     by_value
      - .offset:         48
        .size:           8
        .value_kind:     by_value
      - .address_space:  global
        .offset:         56
        .size:           8
        .value_kind:     global_buffer
      - .offset:         64
        .size:           8
        .value_kind:     by_value
      - .offset:         72
        .size:           8
        .value_kind:     by_value
      - .address_space:  global
        .offset:         80
        .size:           8
        .value_kind:     global_buffer
      - .offset:         88
        .size:           8
        .value_kind:     by_value
      - .offset:         96
        .size:           8
        .value_kind:     by_value
      - .offset:         104
        .size:           4
        .value_kind:     by_value
    .group_segment_fixed_size: 8192
    .kernarg_segment_align: 8
    .kernarg_segment_size: 108
    .language:       OpenCL C
    .language_version:
      - 2
      - 0
    .max_flat_workgroup_size: 1024
    .name:           _ZL23rocblas_trmm_rTx_kernelILi32ELb0EfPKfKS1_KPfEv13rocblas_fill_17rocblas_diagonal_iiT2_lPT3_llS9_llPT4_lli
    .private_segment_fixed_size: 0
    .sgpr_count:     34
    .sgpr_spill_count: 0
    .symbol:         _ZL23rocblas_trmm_rTx_kernelILi32ELb0EfPKfKS1_KPfEv13rocblas_fill_17rocblas_diagonal_iiT2_lPT3_llS9_llPT4_lli.kd
    .uniform_work_group_size: 1
    .uses_dynamic_stack: false
    .vgpr_count:     19
    .vgpr_spill_count: 0
    .wavefront_size: 32
    .workgroup_processor_mode: 1
  - .args:
      - .offset:         0
        .size:           4
        .value_kind:     by_value
      - .offset:         4
        .size:           4
        .value_kind:     by_value
      - .offset:         8
        .size:           4
        .value_kind:     by_value
      - .offset:         12
        .size:           4
        .value_kind:     by_value
      - .offset:         16
        .size:           4
        .value_kind:     by_value
      - .offset:         24
        .size:           8
        .value_kind:     by_value
      - .address_space:  global
        .offset:         32
        .size:           8
        .value_kind:     global_buffer
      - .offset:         40
        .size:           8
        .value_kind:     by_value
      - .offset:         48
        .size:           8
        .value_kind:     by_value
      - .address_space:  global
        .offset:         56
        .size:           8
        .value_kind:     global_buffer
      - .offset:         64
        .size:           8
        .value_kind:     by_value
      - .offset:         72
        .size:           8
        .value_kind:     by_value
      - .address_space:  global
        .offset:         80
        .size:           8
        .value_kind:     global_buffer
      - .offset:         88
        .size:           8
        .value_kind:     by_value
      - .offset:         96
        .size:           8
        .value_kind:     by_value
      - .offset:         104
        .size:           4
        .value_kind:     by_value
    .group_segment_fixed_size: 8192
    .kernarg_segment_align: 8
    .kernarg_segment_size: 108
    .language:       OpenCL C
    .language_version:
      - 2
      - 0
    .max_flat_workgroup_size: 1024
    .name:           _ZL23rocblas_trmm_rTx_kernelILi32ELb0EffKPKfKPfEv13rocblas_fill_17rocblas_diagonal_iiT2_lPT3_llS9_llPT4_lli
    .private_segment_fixed_size: 0
    .sgpr_count:     34
    .sgpr_spill_count: 0
    .symbol:         _ZL23rocblas_trmm_rTx_kernelILi32ELb0EffKPKfKPfEv13rocblas_fill_17rocblas_diagonal_iiT2_lPT3_llS9_llPT4_lli.kd
    .uniform_work_group_size: 1
    .uses_dynamic_stack: false
    .vgpr_count:     19
    .vgpr_spill_count: 0
    .wavefront_size: 32
    .workgroup_processor_mode: 1
  - .args:
      - .offset:         0
        .size:           4
        .value_kind:     by_value
      - .offset:         4
        .size:           4
        .value_kind:     by_value
      - .offset:         8
        .size:           4
        .value_kind:     by_value
      - .offset:         12
        .size:           4
        .value_kind:     by_value
      - .address_space:  global
        .offset:         16
        .size:           8
        .value_kind:     global_buffer
      - .offset:         24
        .size:           8
        .value_kind:     by_value
      - .address_space:  global
        .offset:         32
        .size:           8
        .value_kind:     global_buffer
      - .offset:         40
        .size:           8
        .value_kind:     by_value
      - .offset:         48
        .size:           8
        .value_kind:     by_value
      - .address_space:  global
        .offset:         56
        .size:           8
        .value_kind:     global_buffer
      - .offset:         64
        .size:           8
        .value_kind:     by_value
      - .offset:         72
        .size:           8
        .value_kind:     by_value
      - .address_space:  global
        .offset:         80
        .size:           8
        .value_kind:     global_buffer
      - .offset:         88
        .size:           8
        .value_kind:     by_value
      - .offset:         96
        .size:           8
        .value_kind:     by_value
      - .offset:         104
        .size:           4
        .value_kind:     by_value
    .group_segment_fixed_size: 8192
    .kernarg_segment_align: 8
    .kernarg_segment_size: 108
    .language:       OpenCL C
    .language_version:
      - 2
      - 0
    .max_flat_workgroup_size: 1024
    .name:           _ZL23rocblas_trmm_rTx_kernelILi32ELb1EfPKfKS1_KPfEv13rocblas_fill_17rocblas_diagonal_iiT2_lPT3_llS9_llPT4_lli
    .private_segment_fixed_size: 0
    .sgpr_count:     34
    .sgpr_spill_count: 0
    .symbol:         _ZL23rocblas_trmm_rTx_kernelILi32ELb1EfPKfKS1_KPfEv13rocblas_fill_17rocblas_diagonal_iiT2_lPT3_llS9_llPT4_lli.kd
    .uniform_work_group_size: 1
    .uses_dynamic_stack: false
    .vgpr_count:     19
    .vgpr_spill_count: 0
    .wavefront_size: 32
    .workgroup_processor_mode: 1
  - .args:
      - .offset:         0
        .size:           4
        .value_kind:     by_value
      - .offset:         4
        .size:           4
        .value_kind:     by_value
      - .offset:         8
        .size:           4
        .value_kind:     by_value
      - .offset:         12
        .size:           4
        .value_kind:     by_value
      - .offset:         16
        .size:           4
        .value_kind:     by_value
      - .offset:         24
        .size:           8
        .value_kind:     by_value
      - .address_space:  global
        .offset:         32
        .size:           8
        .value_kind:     global_buffer
      - .offset:         40
        .size:           8
        .value_kind:     by_value
      - .offset:         48
        .size:           8
        .value_kind:     by_value
      - .address_space:  global
        .offset:         56
        .size:           8
        .value_kind:     global_buffer
      - .offset:         64
        .size:           8
        .value_kind:     by_value
      - .offset:         72
        .size:           8
        .value_kind:     by_value
      - .address_space:  global
        .offset:         80
        .size:           8
        .value_kind:     global_buffer
      - .offset:         88
        .size:           8
        .value_kind:     by_value
      - .offset:         96
        .size:           8
        .value_kind:     by_value
      - .offset:         104
        .size:           4
        .value_kind:     by_value
    .group_segment_fixed_size: 8192
    .kernarg_segment_align: 8
    .kernarg_segment_size: 108
    .language:       OpenCL C
    .language_version:
      - 2
      - 0
    .max_flat_workgroup_size: 1024
    .name:           _ZL23rocblas_trmm_rTx_kernelILi32ELb1EffKPKfKPfEv13rocblas_fill_17rocblas_diagonal_iiT2_lPT3_llS9_llPT4_lli
    .private_segment_fixed_size: 0
    .sgpr_count:     34
    .sgpr_spill_count: 0
    .symbol:         _ZL23rocblas_trmm_rTx_kernelILi32ELb1EffKPKfKPfEv13rocblas_fill_17rocblas_diagonal_iiT2_lPT3_llS9_llPT4_lli.kd
    .uniform_work_group_size: 1
    .uses_dynamic_stack: false
    .vgpr_count:     19
    .vgpr_spill_count: 0
    .wavefront_size: 32
    .workgroup_processor_mode: 1
  - .args:
      - .offset:         0
        .size:           4
        .value_kind:     by_value
      - .offset:         4
        .size:           4
        .value_kind:     by_value
      - .offset:         8
        .size:           4
        .value_kind:     by_value
      - .offset:         12
        .size:           4
        .value_kind:     by_value
      - .address_space:  global
        .offset:         16
        .size:           8
        .value_kind:     global_buffer
      - .offset:         24
        .size:           8
        .value_kind:     by_value
      - .address_space:  global
        .offset:         32
        .size:           8
        .value_kind:     global_buffer
      - .offset:         40
        .size:           8
        .value_kind:     by_value
      - .offset:         48
        .size:           8
        .value_kind:     by_value
      - .address_space:  global
        .offset:         56
        .size:           8
        .value_kind:     global_buffer
      - .offset:         64
        .size:           8
        .value_kind:     by_value
      - .offset:         72
        .size:           8
        .value_kind:     by_value
      - .address_space:  global
        .offset:         80
        .size:           8
        .value_kind:     global_buffer
      - .offset:         88
        .size:           8
        .value_kind:     by_value
      - .offset:         96
        .size:           8
        .value_kind:     by_value
      - .offset:         104
        .size:           4
        .value_kind:     by_value
    .group_segment_fixed_size: 16384
    .kernarg_segment_align: 8
    .kernarg_segment_size: 108
    .language:       OpenCL C
    .language_version:
      - 2
      - 0
    .max_flat_workgroup_size: 1024
    .name:           _ZL23rocblas_trmm_lNx_kernelILi32EdPKdKS1_KPdEv13rocblas_fill_17rocblas_diagonal_iiT1_lPT2_llS9_llPT3_lli
    .private_segment_fixed_size: 0
    .sgpr_count:     38
    .sgpr_spill_count: 0
    .symbol:         _ZL23rocblas_trmm_lNx_kernelILi32EdPKdKS1_KPdEv13rocblas_fill_17rocblas_diagonal_iiT1_lPT2_llS9_llPT3_lli.kd
    .uniform_work_group_size: 1
    .uses_dynamic_stack: false
    .vgpr_count:     18
    .vgpr_spill_count: 0
    .wavefront_size: 32
    .workgroup_processor_mode: 1
  - .args:
      - .offset:         0
        .size:           4
        .value_kind:     by_value
      - .offset:         4
        .size:           4
        .value_kind:     by_value
      - .offset:         8
        .size:           4
        .value_kind:     by_value
      - .offset:         12
        .size:           4
        .value_kind:     by_value
      - .offset:         16
        .size:           8
        .value_kind:     by_value
      - .offset:         24
        .size:           8
        .value_kind:     by_value
      - .address_space:  global
        .offset:         32
        .size:           8
        .value_kind:     global_buffer
      - .offset:         40
        .size:           8
        .value_kind:     by_value
      - .offset:         48
        .size:           8
        .value_kind:     by_value
      - .address_space:  global
        .offset:         56
        .size:           8
        .value_kind:     global_buffer
      - .offset:         64
        .size:           8
        .value_kind:     by_value
      - .offset:         72
        .size:           8
        .value_kind:     by_value
      - .address_space:  global
        .offset:         80
        .size:           8
        .value_kind:     global_buffer
      - .offset:         88
        .size:           8
        .value_kind:     by_value
      - .offset:         96
        .size:           8
        .value_kind:     by_value
      - .offset:         104
        .size:           4
        .value_kind:     by_value
    .group_segment_fixed_size: 16384
    .kernarg_segment_align: 8
    .kernarg_segment_size: 108
    .language:       OpenCL C
    .language_version:
      - 2
      - 0
    .max_flat_workgroup_size: 1024
    .name:           _ZL23rocblas_trmm_lNx_kernelILi32EddKPKdKPdEv13rocblas_fill_17rocblas_diagonal_iiT1_lPT2_llS9_llPT3_lli
    .private_segment_fixed_size: 0
    .sgpr_count:     40
    .sgpr_spill_count: 0
    .symbol:         _ZL23rocblas_trmm_lNx_kernelILi32EddKPKdKPdEv13rocblas_fill_17rocblas_diagonal_iiT1_lPT2_llS9_llPT3_lli.kd
    .uniform_work_group_size: 1
    .uses_dynamic_stack: false
    .vgpr_count:     18
    .vgpr_spill_count: 0
    .wavefront_size: 32
    .workgroup_processor_mode: 1
  - .args:
      - .offset:         0
        .size:           4
        .value_kind:     by_value
      - .offset:         4
        .size:           4
        .value_kind:     by_value
      - .offset:         8
        .size:           4
        .value_kind:     by_value
      - .offset:         12
        .size:           4
        .value_kind:     by_value
      - .address_space:  global
        .offset:         16
        .size:           8
        .value_kind:     global_buffer
      - .offset:         24
        .size:           8
        .value_kind:     by_value
      - .address_space:  global
        .offset:         32
        .size:           8
        .value_kind:     global_buffer
      - .offset:         40
        .size:           8
        .value_kind:     by_value
      - .offset:         48
        .size:           8
        .value_kind:     by_value
      - .address_space:  global
        .offset:         56
        .size:           8
        .value_kind:     global_buffer
      - .offset:         64
        .size:           8
        .value_kind:     by_value
      - .offset:         72
        .size:           8
        .value_kind:     by_value
      - .address_space:  global
        .offset:         80
        .size:           8
        .value_kind:     global_buffer
      - .offset:         88
        .size:           8
        .value_kind:     by_value
      - .offset:         96
        .size:           8
        .value_kind:     by_value
      - .offset:         104
        .size:           4
        .value_kind:     by_value
    .group_segment_fixed_size: 16384
    .kernarg_segment_align: 8
    .kernarg_segment_size: 108
    .language:       OpenCL C
    .language_version:
      - 2
      - 0
    .max_flat_workgroup_size: 1024
    .name:           _ZL23rocblas_trmm_lTx_kernelILi32ELb0EdPKdKS1_KPdEv13rocblas_fill_17rocblas_diagonal_iiT2_lPT3_llS9_llPT4_lli
    .private_segment_fixed_size: 0
    .sgpr_count:     34
    .sgpr_spill_count: 0
    .symbol:         _ZL23rocblas_trmm_lTx_kernelILi32ELb0EdPKdKS1_KPdEv13rocblas_fill_17rocblas_diagonal_iiT2_lPT3_llS9_llPT4_lli.kd
    .uniform_work_group_size: 1
    .uses_dynamic_stack: false
    .vgpr_count:     18
    .vgpr_spill_count: 0
    .wavefront_size: 32
    .workgroup_processor_mode: 1
  - .args:
      - .offset:         0
        .size:           4
        .value_kind:     by_value
      - .offset:         4
        .size:           4
        .value_kind:     by_value
      - .offset:         8
        .size:           4
        .value_kind:     by_value
      - .offset:         12
        .size:           4
        .value_kind:     by_value
      - .offset:         16
        .size:           8
        .value_kind:     by_value
      - .offset:         24
        .size:           8
        .value_kind:     by_value
      - .address_space:  global
        .offset:         32
        .size:           8
        .value_kind:     global_buffer
      - .offset:         40
        .size:           8
        .value_kind:     by_value
      - .offset:         48
        .size:           8
        .value_kind:     by_value
      - .address_space:  global
        .offset:         56
        .size:           8
        .value_kind:     global_buffer
      - .offset:         64
        .size:           8
        .value_kind:     by_value
      - .offset:         72
        .size:           8
        .value_kind:     by_value
      - .address_space:  global
        .offset:         80
        .size:           8
        .value_kind:     global_buffer
      - .offset:         88
        .size:           8
        .value_kind:     by_value
      - .offset:         96
        .size:           8
        .value_kind:     by_value
      - .offset:         104
        .size:           4
        .value_kind:     by_value
    .group_segment_fixed_size: 16384
    .kernarg_segment_align: 8
    .kernarg_segment_size: 108
    .language:       OpenCL C
    .language_version:
      - 2
      - 0
    .max_flat_workgroup_size: 1024
    .name:           _ZL23rocblas_trmm_lTx_kernelILi32ELb0EddKPKdKPdEv13rocblas_fill_17rocblas_diagonal_iiT2_lPT3_llS9_llPT4_lli
    .private_segment_fixed_size: 0
    .sgpr_count:     34
    .sgpr_spill_count: 0
    .symbol:         _ZL23rocblas_trmm_lTx_kernelILi32ELb0EddKPKdKPdEv13rocblas_fill_17rocblas_diagonal_iiT2_lPT3_llS9_llPT4_lli.kd
    .uniform_work_group_size: 1
    .uses_dynamic_stack: false
    .vgpr_count:     18
    .vgpr_spill_count: 0
    .wavefront_size: 32
    .workgroup_processor_mode: 1
  - .args:
      - .offset:         0
        .size:           4
        .value_kind:     by_value
      - .offset:         4
        .size:           4
        .value_kind:     by_value
      - .offset:         8
        .size:           4
        .value_kind:     by_value
      - .offset:         12
        .size:           4
        .value_kind:     by_value
      - .address_space:  global
        .offset:         16
        .size:           8
        .value_kind:     global_buffer
      - .offset:         24
        .size:           8
        .value_kind:     by_value
      - .address_space:  global
        .offset:         32
        .size:           8
        .value_kind:     global_buffer
      - .offset:         40
        .size:           8
        .value_kind:     by_value
      - .offset:         48
        .size:           8
        .value_kind:     by_value
      - .address_space:  global
        .offset:         56
        .size:           8
        .value_kind:     global_buffer
      - .offset:         64
        .size:           8
        .value_kind:     by_value
      - .offset:         72
        .size:           8
        .value_kind:     by_value
      - .address_space:  global
        .offset:         80
        .size:           8
        .value_kind:     global_buffer
      - .offset:         88
        .size:           8
        .value_kind:     by_value
      - .offset:         96
        .size:           8
        .value_kind:     by_value
      - .offset:         104
        .size:           4
        .value_kind:     by_value
    .group_segment_fixed_size: 16384
    .kernarg_segment_align: 8
    .kernarg_segment_size: 108
    .language:       OpenCL C
    .language_version:
      - 2
      - 0
    .max_flat_workgroup_size: 1024
    .name:           _ZL23rocblas_trmm_lTx_kernelILi32ELb1EdPKdKS1_KPdEv13rocblas_fill_17rocblas_diagonal_iiT2_lPT3_llS9_llPT4_lli
    .private_segment_fixed_size: 0
    .sgpr_count:     34
    .sgpr_spill_count: 0
    .symbol:         _ZL23rocblas_trmm_lTx_kernelILi32ELb1EdPKdKS1_KPdEv13rocblas_fill_17rocblas_diagonal_iiT2_lPT3_llS9_llPT4_lli.kd
    .uniform_work_group_size: 1
    .uses_dynamic_stack: false
    .vgpr_count:     18
    .vgpr_spill_count: 0
    .wavefront_size: 32
    .workgroup_processor_mode: 1
  - .args:
      - .offset:         0
        .size:           4
        .value_kind:     by_value
      - .offset:         4
        .size:           4
        .value_kind:     by_value
      - .offset:         8
        .size:           4
        .value_kind:     by_value
      - .offset:         12
        .size:           4
        .value_kind:     by_value
      - .offset:         16
        .size:           8
        .value_kind:     by_value
      - .offset:         24
        .size:           8
        .value_kind:     by_value
      - .address_space:  global
        .offset:         32
        .size:           8
        .value_kind:     global_buffer
      - .offset:         40
        .size:           8
        .value_kind:     by_value
      - .offset:         48
        .size:           8
        .value_kind:     by_value
      - .address_space:  global
        .offset:         56
        .size:           8
        .value_kind:     global_buffer
      - .offset:         64
        .size:           8
        .value_kind:     by_value
      - .offset:         72
        .size:           8
        .value_kind:     by_value
      - .address_space:  global
        .offset:         80
        .size:           8
        .value_kind:     global_buffer
      - .offset:         88
        .size:           8
        .value_kind:     by_value
      - .offset:         96
        .size:           8
        .value_kind:     by_value
      - .offset:         104
        .size:           4
        .value_kind:     by_value
    .group_segment_fixed_size: 16384
    .kernarg_segment_align: 8
    .kernarg_segment_size: 108
    .language:       OpenCL C
    .language_version:
      - 2
      - 0
    .max_flat_workgroup_size: 1024
    .name:           _ZL23rocblas_trmm_lTx_kernelILi32ELb1EddKPKdKPdEv13rocblas_fill_17rocblas_diagonal_iiT2_lPT3_llS9_llPT4_lli
    .private_segment_fixed_size: 0
    .sgpr_count:     34
    .sgpr_spill_count: 0
    .symbol:         _ZL23rocblas_trmm_lTx_kernelILi32ELb1EddKPKdKPdEv13rocblas_fill_17rocblas_diagonal_iiT2_lPT3_llS9_llPT4_lli.kd
    .uniform_work_group_size: 1
    .uses_dynamic_stack: false
    .vgpr_count:     18
    .vgpr_spill_count: 0
    .wavefront_size: 32
    .workgroup_processor_mode: 1
  - .args:
      - .offset:         0
        .size:           4
        .value_kind:     by_value
      - .offset:         4
        .size:           4
        .value_kind:     by_value
      - .offset:         8
        .size:           4
        .value_kind:     by_value
      - .offset:         12
        .size:           4
        .value_kind:     by_value
      - .address_space:  global
        .offset:         16
        .size:           8
        .value_kind:     global_buffer
      - .offset:         24
        .size:           8
        .value_kind:     by_value
      - .address_space:  global
        .offset:         32
        .size:           8
        .value_kind:     global_buffer
      - .offset:         40
        .size:           8
        .value_kind:     by_value
      - .offset:         48
        .size:           8
        .value_kind:     by_value
      - .address_space:  global
        .offset:         56
        .size:           8
        .value_kind:     global_buffer
      - .offset:         64
        .size:           8
        .value_kind:     by_value
      - .offset:         72
        .size:           8
        .value_kind:     by_value
      - .address_space:  global
        .offset:         80
        .size:           8
        .value_kind:     global_buffer
      - .offset:         88
        .size:           8
        .value_kind:     by_value
      - .offset:         96
        .size:           8
        .value_kind:     by_value
      - .offset:         104
        .size:           4
        .value_kind:     by_value
    .group_segment_fixed_size: 16384
    .kernarg_segment_align: 8
    .kernarg_segment_size: 108
    .language:       OpenCL C
    .language_version:
      - 2
      - 0
    .max_flat_workgroup_size: 1024
    .name:           _ZL23rocblas_trmm_rNx_kernelILi32EdPKdKS1_KPdEv13rocblas_fill_17rocblas_diagonal_iiT1_lPT2_llS9_llPT3_lli
    .private_segment_fixed_size: 0
    .sgpr_count:     38
    .sgpr_spill_count: 0
    .symbol:         _ZL23rocblas_trmm_rNx_kernelILi32EdPKdKS1_KPdEv13rocblas_fill_17rocblas_diagonal_iiT1_lPT2_llS9_llPT3_lli.kd
    .uniform_work_group_size: 1
    .uses_dynamic_stack: false
    .vgpr_count:     18
    .vgpr_spill_count: 0
    .wavefront_size: 32
    .workgroup_processor_mode: 1
  - .args:
      - .offset:         0
        .size:           4
        .value_kind:     by_value
      - .offset:         4
        .size:           4
        .value_kind:     by_value
      - .offset:         8
        .size:           4
        .value_kind:     by_value
      - .offset:         12
        .size:           4
        .value_kind:     by_value
      - .offset:         16
        .size:           8
        .value_kind:     by_value
      - .offset:         24
        .size:           8
        .value_kind:     by_value
      - .address_space:  global
        .offset:         32
        .size:           8
        .value_kind:     global_buffer
      - .offset:         40
        .size:           8
        .value_kind:     by_value
      - .offset:         48
        .size:           8
        .value_kind:     by_value
      - .address_space:  global
        .offset:         56
        .size:           8
        .value_kind:     global_buffer
      - .offset:         64
        .size:           8
        .value_kind:     by_value
      - .offset:         72
        .size:           8
        .value_kind:     by_value
      - .address_space:  global
        .offset:         80
        .size:           8
        .value_kind:     global_buffer
      - .offset:         88
        .size:           8
        .value_kind:     by_value
      - .offset:         96
        .size:           8
        .value_kind:     by_value
      - .offset:         104
        .size:           4
        .value_kind:     by_value
    .group_segment_fixed_size: 16384
    .kernarg_segment_align: 8
    .kernarg_segment_size: 108
    .language:       OpenCL C
    .language_version:
      - 2
      - 0
    .max_flat_workgroup_size: 1024
    .name:           _ZL23rocblas_trmm_rNx_kernelILi32EddKPKdKPdEv13rocblas_fill_17rocblas_diagonal_iiT1_lPT2_llS9_llPT3_lli
    .private_segment_fixed_size: 0
    .sgpr_count:     40
    .sgpr_spill_count: 0
    .symbol:         _ZL23rocblas_trmm_rNx_kernelILi32EddKPKdKPdEv13rocblas_fill_17rocblas_diagonal_iiT1_lPT2_llS9_llPT3_lli.kd
    .uniform_work_group_size: 1
    .uses_dynamic_stack: false
    .vgpr_count:     18
    .vgpr_spill_count: 0
    .wavefront_size: 32
    .workgroup_processor_mode: 1
  - .args:
      - .offset:         0
        .size:           4
        .value_kind:     by_value
      - .offset:         4
        .size:           4
        .value_kind:     by_value
      - .offset:         8
        .size:           4
        .value_kind:     by_value
      - .offset:         12
        .size:           4
        .value_kind:     by_value
      - .address_space:  global
        .offset:         16
        .size:           8
        .value_kind:     global_buffer
      - .offset:         24
        .size:           8
        .value_kind:     by_value
      - .address_space:  global
        .offset:         32
        .size:           8
        .value_kind:     global_buffer
      - .offset:         40
        .size:           8
        .value_kind:     by_value
      - .offset:         48
        .size:           8
        .value_kind:     by_value
      - .address_space:  global
        .offset:         56
        .size:           8
        .value_kind:     global_buffer
      - .offset:         64
        .size:           8
        .value_kind:     by_value
      - .offset:         72
        .size:           8
        .value_kind:     by_value
      - .address_space:  global
        .offset:         80
        .size:           8
        .value_kind:     global_buffer
      - .offset:         88
        .size:           8
        .value_kind:     by_value
      - .offset:         96
        .size:           8
        .value_kind:     by_value
      - .offset:         104
        .size:           4
        .value_kind:     by_value
    .group_segment_fixed_size: 16384
    .kernarg_segment_align: 8
    .kernarg_segment_size: 108
    .language:       OpenCL C
    .language_version:
      - 2
      - 0
    .max_flat_workgroup_size: 1024
    .name:           _ZL23rocblas_trmm_rTx_kernelILi32ELb0EdPKdKS1_KPdEv13rocblas_fill_17rocblas_diagonal_iiT2_lPT3_llS9_llPT4_lli
    .private_segment_fixed_size: 0
    .sgpr_count:     38
    .sgpr_spill_count: 0
    .symbol:         _ZL23rocblas_trmm_rTx_kernelILi32ELb0EdPKdKS1_KPdEv13rocblas_fill_17rocblas_diagonal_iiT2_lPT3_llS9_llPT4_lli.kd
    .uniform_work_group_size: 1
    .uses_dynamic_stack: false
    .vgpr_count:     15
    .vgpr_spill_count: 0
    .wavefront_size: 32
    .workgroup_processor_mode: 1
  - .args:
      - .offset:         0
        .size:           4
        .value_kind:     by_value
      - .offset:         4
        .size:           4
        .value_kind:     by_value
      - .offset:         8
        .size:           4
        .value_kind:     by_value
      - .offset:         12
        .size:           4
        .value_kind:     by_value
      - .offset:         16
        .size:           8
        .value_kind:     by_value
      - .offset:         24
        .size:           8
        .value_kind:     by_value
      - .address_space:  global
        .offset:         32
        .size:           8
        .value_kind:     global_buffer
      - .offset:         40
        .size:           8
        .value_kind:     by_value
      - .offset:         48
        .size:           8
        .value_kind:     by_value
      - .address_space:  global
        .offset:         56
        .size:           8
        .value_kind:     global_buffer
      - .offset:         64
        .size:           8
        .value_kind:     by_value
      - .offset:         72
        .size:           8
        .value_kind:     by_value
      - .address_space:  global
        .offset:         80
        .size:           8
        .value_kind:     global_buffer
      - .offset:         88
        .size:           8
        .value_kind:     by_value
      - .offset:         96
        .size:           8
        .value_kind:     by_value
      - .offset:         104
        .size:           4
        .value_kind:     by_value
    .group_segment_fixed_size: 16384
    .kernarg_segment_align: 8
    .kernarg_segment_size: 108
    .language:       OpenCL C
    .language_version:
      - 2
      - 0
    .max_flat_workgroup_size: 1024
    .name:           _ZL23rocblas_trmm_rTx_kernelILi32ELb0EddKPKdKPdEv13rocblas_fill_17rocblas_diagonal_iiT2_lPT3_llS9_llPT4_lli
    .private_segment_fixed_size: 0
    .sgpr_count:     40
    .sgpr_spill_count: 0
    .symbol:         _ZL23rocblas_trmm_rTx_kernelILi32ELb0EddKPKdKPdEv13rocblas_fill_17rocblas_diagonal_iiT2_lPT3_llS9_llPT4_lli.kd
    .uniform_work_group_size: 1
    .uses_dynamic_stack: false
    .vgpr_count:     15
    .vgpr_spill_count: 0
    .wavefront_size: 32
    .workgroup_processor_mode: 1
  - .args:
      - .offset:         0
        .size:           4
        .value_kind:     by_value
      - .offset:         4
        .size:           4
        .value_kind:     by_value
      - .offset:         8
        .size:           4
        .value_kind:     by_value
      - .offset:         12
        .size:           4
        .value_kind:     by_value
      - .address_space:  global
        .offset:         16
        .size:           8
        .value_kind:     global_buffer
      - .offset:         24
        .size:           8
        .value_kind:     by_value
      - .address_space:  global
        .offset:         32
        .size:           8
        .value_kind:     global_buffer
      - .offset:         40
        .size:           8
        .value_kind:     by_value
      - .offset:         48
        .size:           8
        .value_kind:     by_value
      - .address_space:  global
        .offset:         56
        .size:           8
        .value_kind:     global_buffer
      - .offset:         64
        .size:           8
        .value_kind:     by_value
      - .offset:         72
        .size:           8
        .value_kind:     by_value
      - .address_space:  global
        .offset:         80
        .size:           8
        .value_kind:     global_buffer
      - .offset:         88
        .size:           8
        .value_kind:     by_value
      - .offset:         96
        .size:           8
        .value_kind:     by_value
      - .offset:         104
        .size:           4
        .value_kind:     by_value
    .group_segment_fixed_size: 16384
    .kernarg_segment_align: 8
    .kernarg_segment_size: 108
    .language:       OpenCL C
    .language_version:
      - 2
      - 0
    .max_flat_workgroup_size: 1024
    .name:           _ZL23rocblas_trmm_rTx_kernelILi32ELb1EdPKdKS1_KPdEv13rocblas_fill_17rocblas_diagonal_iiT2_lPT3_llS9_llPT4_lli
    .private_segment_fixed_size: 0
    .sgpr_count:     38
    .sgpr_spill_count: 0
    .symbol:         _ZL23rocblas_trmm_rTx_kernelILi32ELb1EdPKdKS1_KPdEv13rocblas_fill_17rocblas_diagonal_iiT2_lPT3_llS9_llPT4_lli.kd
    .uniform_work_group_size: 1
    .uses_dynamic_stack: false
    .vgpr_count:     15
    .vgpr_spill_count: 0
    .wavefront_size: 32
    .workgroup_processor_mode: 1
  - .args:
      - .offset:         0
        .size:           4
        .value_kind:     by_value
      - .offset:         4
        .size:           4
        .value_kind:     by_value
      - .offset:         8
        .size:           4
        .value_kind:     by_value
      - .offset:         12
        .size:           4
        .value_kind:     by_value
      - .offset:         16
        .size:           8
        .value_kind:     by_value
      - .offset:         24
        .size:           8
        .value_kind:     by_value
      - .address_space:  global
        .offset:         32
        .size:           8
        .value_kind:     global_buffer
      - .offset:         40
        .size:           8
        .value_kind:     by_value
      - .offset:         48
        .size:           8
        .value_kind:     by_value
      - .address_space:  global
        .offset:         56
        .size:           8
        .value_kind:     global_buffer
      - .offset:         64
        .size:           8
        .value_kind:     by_value
      - .offset:         72
        .size:           8
        .value_kind:     by_value
      - .address_space:  global
        .offset:         80
        .size:           8
        .value_kind:     global_buffer
      - .offset:         88
        .size:           8
        .value_kind:     by_value
      - .offset:         96
        .size:           8
        .value_kind:     by_value
      - .offset:         104
        .size:           4
        .value_kind:     by_value
    .group_segment_fixed_size: 16384
    .kernarg_segment_align: 8
    .kernarg_segment_size: 108
    .language:       OpenCL C
    .language_version:
      - 2
      - 0
    .max_flat_workgroup_size: 1024
    .name:           _ZL23rocblas_trmm_rTx_kernelILi32ELb1EddKPKdKPdEv13rocblas_fill_17rocblas_diagonal_iiT2_lPT3_llS9_llPT4_lli
    .private_segment_fixed_size: 0
    .sgpr_count:     40
    .sgpr_spill_count: 0
    .symbol:         _ZL23rocblas_trmm_rTx_kernelILi32ELb1EddKPKdKPdEv13rocblas_fill_17rocblas_diagonal_iiT2_lPT3_llS9_llPT4_lli.kd
    .uniform_work_group_size: 1
    .uses_dynamic_stack: false
    .vgpr_count:     15
    .vgpr_spill_count: 0
    .wavefront_size: 32
    .workgroup_processor_mode: 1
  - .args:
      - .offset:         0
        .size:           4
        .value_kind:     by_value
      - .offset:         4
        .size:           4
        .value_kind:     by_value
      - .offset:         8
        .size:           4
        .value_kind:     by_value
      - .offset:         12
        .size:           4
        .value_kind:     by_value
      - .address_space:  global
        .offset:         16
        .size:           8
        .value_kind:     global_buffer
      - .offset:         24
        .size:           8
        .value_kind:     by_value
      - .address_space:  global
        .offset:         32
        .size:           8
        .value_kind:     global_buffer
      - .offset:         40
        .size:           8
        .value_kind:     by_value
      - .offset:         48
        .size:           8
        .value_kind:     by_value
      - .address_space:  global
        .offset:         56
        .size:           8
        .value_kind:     global_buffer
      - .offset:         64
        .size:           8
        .value_kind:     by_value
      - .offset:         72
        .size:           8
        .value_kind:     by_value
      - .address_space:  global
        .offset:         80
        .size:           8
        .value_kind:     global_buffer
      - .offset:         88
        .size:           8
        .value_kind:     by_value
      - .offset:         96
        .size:           8
        .value_kind:     by_value
      - .offset:         104
        .size:           4
        .value_kind:     by_value
    .group_segment_fixed_size: 4096
    .kernarg_segment_align: 8
    .kernarg_segment_size: 108
    .language:       OpenCL C
    .language_version:
      - 2
      - 0
    .max_flat_workgroup_size: 256
    .name:           _ZL23rocblas_trmm_lNx_kernelILi16E19rocblas_complex_numIfEPKS1_KS3_KPS1_Ev13rocblas_fill_17rocblas_diagonal_iiT1_lPT2_llSB_llPT3_lli
    .private_segment_fixed_size: 0
    .sgpr_count:     38
    .sgpr_spill_count: 0
    .symbol:         _ZL23rocblas_trmm_lNx_kernelILi16E19rocblas_complex_numIfEPKS1_KS3_KPS1_Ev13rocblas_fill_17rocblas_diagonal_iiT1_lPT2_llSB_llPT3_lli.kd
    .uniform_work_group_size: 1
    .uses_dynamic_stack: false
    .vgpr_count:     79
    .vgpr_spill_count: 0
    .wavefront_size: 32
    .workgroup_processor_mode: 1
  - .args:
      - .offset:         0
        .size:           4
        .value_kind:     by_value
      - .offset:         4
        .size:           4
        .value_kind:     by_value
      - .offset:         8
        .size:           4
        .value_kind:     by_value
      - .offset:         12
        .size:           4
        .value_kind:     by_value
      - .offset:         16
        .size:           8
        .value_kind:     by_value
      - .offset:         24
        .size:           8
        .value_kind:     by_value
      - .address_space:  global
        .offset:         32
        .size:           8
        .value_kind:     global_buffer
      - .offset:         40
        .size:           8
        .value_kind:     by_value
      - .offset:         48
        .size:           8
        .value_kind:     by_value
      - .address_space:  global
        .offset:         56
        .size:           8
        .value_kind:     global_buffer
      - .offset:         64
        .size:           8
        .value_kind:     by_value
      - .offset:         72
        .size:           8
        .value_kind:     by_value
      - .address_space:  global
        .offset:         80
        .size:           8
        .value_kind:     global_buffer
      - .offset:         88
        .size:           8
        .value_kind:     by_value
      - .offset:         96
        .size:           8
        .value_kind:     by_value
      - .offset:         104
        .size:           4
        .value_kind:     by_value
    .group_segment_fixed_size: 4096
    .kernarg_segment_align: 8
    .kernarg_segment_size: 108
    .language:       OpenCL C
    .language_version:
      - 2
      - 0
    .max_flat_workgroup_size: 256
    .name:           _ZL23rocblas_trmm_lNx_kernelILi16E19rocblas_complex_numIfES1_KPKS1_KPS1_Ev13rocblas_fill_17rocblas_diagonal_iiT1_lPT2_llSB_llPT3_lli
    .private_segment_fixed_size: 0
    .sgpr_count:     40
    .sgpr_spill_count: 0
    .symbol:         _ZL23rocblas_trmm_lNx_kernelILi16E19rocblas_complex_numIfES1_KPKS1_KPS1_Ev13rocblas_fill_17rocblas_diagonal_iiT1_lPT2_llSB_llPT3_lli.kd
    .uniform_work_group_size: 1
    .uses_dynamic_stack: false
    .vgpr_count:     79
    .vgpr_spill_count: 0
    .wavefront_size: 32
    .workgroup_processor_mode: 1
  - .args:
      - .offset:         0
        .size:           4
        .value_kind:     by_value
      - .offset:         4
        .size:           4
        .value_kind:     by_value
      - .offset:         8
        .size:           4
        .value_kind:     by_value
      - .offset:         12
        .size:           4
        .value_kind:     by_value
      - .address_space:  global
        .offset:         16
        .size:           8
        .value_kind:     global_buffer
      - .offset:         24
        .size:           8
        .value_kind:     by_value
      - .address_space:  global
        .offset:         32
        .size:           8
        .value_kind:     global_buffer
      - .offset:         40
        .size:           8
        .value_kind:     by_value
      - .offset:         48
        .size:           8
        .value_kind:     by_value
      - .address_space:  global
        .offset:         56
        .size:           8
        .value_kind:     global_buffer
      - .offset:         64
        .size:           8
        .value_kind:     by_value
      - .offset:         72
        .size:           8
        .value_kind:     by_value
      - .address_space:  global
        .offset:         80
        .size:           8
        .value_kind:     global_buffer
      - .offset:         88
        .size:           8
        .value_kind:     by_value
      - .offset:         96
        .size:           8
        .value_kind:     by_value
      - .offset:         104
        .size:           4
        .value_kind:     by_value
    .group_segment_fixed_size: 4096
    .kernarg_segment_align: 8
    .kernarg_segment_size: 108
    .language:       OpenCL C
    .language_version:
      - 2
      - 0
    .max_flat_workgroup_size: 256
    .name:           _ZL23rocblas_trmm_lTx_kernelILi16ELb0E19rocblas_complex_numIfEPKS1_KS3_KPS1_Ev13rocblas_fill_17rocblas_diagonal_iiT2_lPT3_llSB_llPT4_lli
    .private_segment_fixed_size: 0
    .sgpr_count:     34
    .sgpr_spill_count: 0
    .symbol:         _ZL23rocblas_trmm_lTx_kernelILi16ELb0E19rocblas_complex_numIfEPKS1_KS3_KPS1_Ev13rocblas_fill_17rocblas_diagonal_iiT2_lPT3_llSB_llPT4_lli.kd
    .uniform_work_group_size: 1
    .uses_dynamic_stack: false
    .vgpr_count:     79
    .vgpr_spill_count: 0
    .wavefront_size: 32
    .workgroup_processor_mode: 1
  - .args:
      - .offset:         0
        .size:           4
        .value_kind:     by_value
      - .offset:         4
        .size:           4
        .value_kind:     by_value
      - .offset:         8
        .size:           4
        .value_kind:     by_value
      - .offset:         12
        .size:           4
        .value_kind:     by_value
      - .offset:         16
        .size:           8
        .value_kind:     by_value
      - .offset:         24
        .size:           8
        .value_kind:     by_value
      - .address_space:  global
        .offset:         32
        .size:           8
        .value_kind:     global_buffer
      - .offset:         40
        .size:           8
        .value_kind:     by_value
      - .offset:         48
        .size:           8
        .value_kind:     by_value
      - .address_space:  global
        .offset:         56
        .size:           8
        .value_kind:     global_buffer
      - .offset:         64
        .size:           8
        .value_kind:     by_value
      - .offset:         72
        .size:           8
        .value_kind:     by_value
      - .address_space:  global
        .offset:         80
        .size:           8
        .value_kind:     global_buffer
      - .offset:         88
        .size:           8
        .value_kind:     by_value
      - .offset:         96
        .size:           8
        .value_kind:     by_value
      - .offset:         104
        .size:           4
        .value_kind:     by_value
    .group_segment_fixed_size: 4096
    .kernarg_segment_align: 8
    .kernarg_segment_size: 108
    .language:       OpenCL C
    .language_version:
      - 2
      - 0
    .max_flat_workgroup_size: 256
    .name:           _ZL23rocblas_trmm_lTx_kernelILi16ELb0E19rocblas_complex_numIfES1_KPKS1_KPS1_Ev13rocblas_fill_17rocblas_diagonal_iiT2_lPT3_llSB_llPT4_lli
    .private_segment_fixed_size: 0
    .sgpr_count:     34
    .sgpr_spill_count: 0
    .symbol:         _ZL23rocblas_trmm_lTx_kernelILi16ELb0E19rocblas_complex_numIfES1_KPKS1_KPS1_Ev13rocblas_fill_17rocblas_diagonal_iiT2_lPT3_llSB_llPT4_lli.kd
    .uniform_work_group_size: 1
    .uses_dynamic_stack: false
    .vgpr_count:     79
    .vgpr_spill_count: 0
    .wavefront_size: 32
    .workgroup_processor_mode: 1
  - .args:
      - .offset:         0
        .size:           4
        .value_kind:     by_value
      - .offset:         4
        .size:           4
        .value_kind:     by_value
      - .offset:         8
        .size:           4
        .value_kind:     by_value
      - .offset:         12
        .size:           4
        .value_kind:     by_value
      - .address_space:  global
        .offset:         16
        .size:           8
        .value_kind:     global_buffer
      - .offset:         24
        .size:           8
        .value_kind:     by_value
      - .address_space:  global
        .offset:         32
        .size:           8
        .value_kind:     global_buffer
      - .offset:         40
        .size:           8
        .value_kind:     by_value
      - .offset:         48
        .size:           8
        .value_kind:     by_value
      - .address_space:  global
        .offset:         56
        .size:           8
        .value_kind:     global_buffer
      - .offset:         64
        .size:           8
        .value_kind:     by_value
      - .offset:         72
        .size:           8
        .value_kind:     by_value
      - .address_space:  global
        .offset:         80
        .size:           8
        .value_kind:     global_buffer
      - .offset:         88
        .size:           8
        .value_kind:     by_value
      - .offset:         96
        .size:           8
        .value_kind:     by_value
      - .offset:         104
        .size:           4
        .value_kind:     by_value
    .group_segment_fixed_size: 4096
    .kernarg_segment_align: 8
    .kernarg_segment_size: 108
    .language:       OpenCL C
    .language_version:
      - 2
      - 0
    .max_flat_workgroup_size: 256
    .name:           _ZL23rocblas_trmm_lTx_kernelILi16ELb1E19rocblas_complex_numIfEPKS1_KS3_KPS1_Ev13rocblas_fill_17rocblas_diagonal_iiT2_lPT3_llSB_llPT4_lli
    .private_segment_fixed_size: 0
    .sgpr_count:     34
    .sgpr_spill_count: 0
    .symbol:         _ZL23rocblas_trmm_lTx_kernelILi16ELb1E19rocblas_complex_numIfEPKS1_KS3_KPS1_Ev13rocblas_fill_17rocblas_diagonal_iiT2_lPT3_llSB_llPT4_lli.kd
    .uniform_work_group_size: 1
    .uses_dynamic_stack: false
    .vgpr_count:     79
    .vgpr_spill_count: 0
    .wavefront_size: 32
    .workgroup_processor_mode: 1
  - .args:
      - .offset:         0
        .size:           4
        .value_kind:     by_value
      - .offset:         4
        .size:           4
        .value_kind:     by_value
      - .offset:         8
        .size:           4
        .value_kind:     by_value
      - .offset:         12
        .size:           4
        .value_kind:     by_value
      - .offset:         16
        .size:           8
        .value_kind:     by_value
      - .offset:         24
        .size:           8
        .value_kind:     by_value
      - .address_space:  global
        .offset:         32
        .size:           8
        .value_kind:     global_buffer
      - .offset:         40
        .size:           8
        .value_kind:     by_value
      - .offset:         48
        .size:           8
        .value_kind:     by_value
      - .address_space:  global
        .offset:         56
        .size:           8
        .value_kind:     global_buffer
      - .offset:         64
        .size:           8
        .value_kind:     by_value
      - .offset:         72
        .size:           8
        .value_kind:     by_value
      - .address_space:  global
        .offset:         80
        .size:           8
        .value_kind:     global_buffer
      - .offset:         88
        .size:           8
        .value_kind:     by_value
      - .offset:         96
        .size:           8
        .value_kind:     by_value
      - .offset:         104
        .size:           4
        .value_kind:     by_value
    .group_segment_fixed_size: 4096
    .kernarg_segment_align: 8
    .kernarg_segment_size: 108
    .language:       OpenCL C
    .language_version:
      - 2
      - 0
    .max_flat_workgroup_size: 256
    .name:           _ZL23rocblas_trmm_lTx_kernelILi16ELb1E19rocblas_complex_numIfES1_KPKS1_KPS1_Ev13rocblas_fill_17rocblas_diagonal_iiT2_lPT3_llSB_llPT4_lli
    .private_segment_fixed_size: 0
    .sgpr_count:     34
    .sgpr_spill_count: 0
    .symbol:         _ZL23rocblas_trmm_lTx_kernelILi16ELb1E19rocblas_complex_numIfES1_KPKS1_KPS1_Ev13rocblas_fill_17rocblas_diagonal_iiT2_lPT3_llSB_llPT4_lli.kd
    .uniform_work_group_size: 1
    .uses_dynamic_stack: false
    .vgpr_count:     79
    .vgpr_spill_count: 0
    .wavefront_size: 32
    .workgroup_processor_mode: 1
  - .args:
      - .offset:         0
        .size:           4
        .value_kind:     by_value
      - .offset:         4
        .size:           4
        .value_kind:     by_value
      - .offset:         8
        .size:           4
        .value_kind:     by_value
      - .offset:         12
        .size:           4
        .value_kind:     by_value
      - .address_space:  global
        .offset:         16
        .size:           8
        .value_kind:     global_buffer
      - .offset:         24
        .size:           8
        .value_kind:     by_value
      - .address_space:  global
        .offset:         32
        .size:           8
        .value_kind:     global_buffer
      - .offset:         40
        .size:           8
        .value_kind:     by_value
      - .offset:         48
        .size:           8
        .value_kind:     by_value
      - .address_space:  global
        .offset:         56
        .size:           8
        .value_kind:     global_buffer
      - .offset:         64
        .size:           8
        .value_kind:     by_value
      - .offset:         72
        .size:           8
        .value_kind:     by_value
      - .address_space:  global
        .offset:         80
        .size:           8
        .value_kind:     global_buffer
      - .offset:         88
        .size:           8
        .value_kind:     by_value
      - .offset:         96
        .size:           8
        .value_kind:     by_value
      - .offset:         104
        .size:           4
        .value_kind:     by_value
    .group_segment_fixed_size: 4096
    .kernarg_segment_align: 8
    .kernarg_segment_size: 108
    .language:       OpenCL C
    .language_version:
      - 2
      - 0
    .max_flat_workgroup_size: 256
    .name:           _ZL23rocblas_trmm_rNx_kernelILi16E19rocblas_complex_numIfEPKS1_KS3_KPS1_Ev13rocblas_fill_17rocblas_diagonal_iiT1_lPT2_llSB_llPT3_lli
    .private_segment_fixed_size: 0
    .sgpr_count:     38
    .sgpr_spill_count: 0
    .symbol:         _ZL23rocblas_trmm_rNx_kernelILi16E19rocblas_complex_numIfEPKS1_KS3_KPS1_Ev13rocblas_fill_17rocblas_diagonal_iiT1_lPT2_llSB_llPT3_lli.kd
    .uniform_work_group_size: 1
    .uses_dynamic_stack: false
    .vgpr_count:     79
    .vgpr_spill_count: 0
    .wavefront_size: 32
    .workgroup_processor_mode: 1
  - .args:
      - .offset:         0
        .size:           4
        .value_kind:     by_value
      - .offset:         4
        .size:           4
        .value_kind:     by_value
      - .offset:         8
        .size:           4
        .value_kind:     by_value
      - .offset:         12
        .size:           4
        .value_kind:     by_value
      - .offset:         16
        .size:           8
        .value_kind:     by_value
      - .offset:         24
        .size:           8
        .value_kind:     by_value
      - .address_space:  global
        .offset:         32
        .size:           8
        .value_kind:     global_buffer
      - .offset:         40
        .size:           8
        .value_kind:     by_value
      - .offset:         48
        .size:           8
        .value_kind:     by_value
      - .address_space:  global
        .offset:         56
        .size:           8
        .value_kind:     global_buffer
      - .offset:         64
        .size:           8
        .value_kind:     by_value
      - .offset:         72
        .size:           8
        .value_kind:     by_value
      - .address_space:  global
        .offset:         80
        .size:           8
        .value_kind:     global_buffer
      - .offset:         88
        .size:           8
        .value_kind:     by_value
      - .offset:         96
        .size:           8
        .value_kind:     by_value
      - .offset:         104
        .size:           4
        .value_kind:     by_value
    .group_segment_fixed_size: 4096
    .kernarg_segment_align: 8
    .kernarg_segment_size: 108
    .language:       OpenCL C
    .language_version:
      - 2
      - 0
    .max_flat_workgroup_size: 256
    .name:           _ZL23rocblas_trmm_rNx_kernelILi16E19rocblas_complex_numIfES1_KPKS1_KPS1_Ev13rocblas_fill_17rocblas_diagonal_iiT1_lPT2_llSB_llPT3_lli
    .private_segment_fixed_size: 0
    .sgpr_count:     40
    .sgpr_spill_count: 0
    .symbol:         _ZL23rocblas_trmm_rNx_kernelILi16E19rocblas_complex_numIfES1_KPKS1_KPS1_Ev13rocblas_fill_17rocblas_diagonal_iiT1_lPT2_llSB_llPT3_lli.kd
    .uniform_work_group_size: 1
    .uses_dynamic_stack: false
    .vgpr_count:     79
    .vgpr_spill_count: 0
    .wavefront_size: 32
    .workgroup_processor_mode: 1
  - .args:
      - .offset:         0
        .size:           4
        .value_kind:     by_value
      - .offset:         4
        .size:           4
        .value_kind:     by_value
      - .offset:         8
        .size:           4
        .value_kind:     by_value
      - .offset:         12
        .size:           4
        .value_kind:     by_value
      - .address_space:  global
        .offset:         16
        .size:           8
        .value_kind:     global_buffer
      - .offset:         24
        .size:           8
        .value_kind:     by_value
      - .address_space:  global
        .offset:         32
        .size:           8
        .value_kind:     global_buffer
      - .offset:         40
        .size:           8
        .value_kind:     by_value
      - .offset:         48
        .size:           8
        .value_kind:     by_value
      - .address_space:  global
        .offset:         56
        .size:           8
        .value_kind:     global_buffer
      - .offset:         64
        .size:           8
        .value_kind:     by_value
      - .offset:         72
        .size:           8
        .value_kind:     by_value
      - .address_space:  global
        .offset:         80
        .size:           8
        .value_kind:     global_buffer
      - .offset:         88
        .size:           8
        .value_kind:     by_value
      - .offset:         96
        .size:           8
        .value_kind:     by_value
      - .offset:         104
        .size:           4
        .value_kind:     by_value
    .group_segment_fixed_size: 4096
    .kernarg_segment_align: 8
    .kernarg_segment_size: 108
    .language:       OpenCL C
    .language_version:
      - 2
      - 0
    .max_flat_workgroup_size: 256
    .name:           _ZL23rocblas_trmm_rTx_kernelILi16ELb0E19rocblas_complex_numIfEPKS1_KS3_KPS1_Ev13rocblas_fill_17rocblas_diagonal_iiT2_lPT3_llSB_llPT4_lli
    .private_segment_fixed_size: 0
    .sgpr_count:     38
    .sgpr_spill_count: 0
    .symbol:         _ZL23rocblas_trmm_rTx_kernelILi16ELb0E19rocblas_complex_numIfEPKS1_KS3_KPS1_Ev13rocblas_fill_17rocblas_diagonal_iiT2_lPT3_llSB_llPT4_lli.kd
    .uniform_work_group_size: 1
    .uses_dynamic_stack: false
    .vgpr_count:     79
    .vgpr_spill_count: 0
    .wavefront_size: 32
    .workgroup_processor_mode: 1
  - .args:
      - .offset:         0
        .size:           4
        .value_kind:     by_value
      - .offset:         4
        .size:           4
        .value_kind:     by_value
      - .offset:         8
        .size:           4
        .value_kind:     by_value
      - .offset:         12
        .size:           4
        .value_kind:     by_value
      - .offset:         16
        .size:           8
        .value_kind:     by_value
      - .offset:         24
        .size:           8
        .value_kind:     by_value
      - .address_space:  global
        .offset:         32
        .size:           8
        .value_kind:     global_buffer
      - .offset:         40
        .size:           8
        .value_kind:     by_value
      - .offset:         48
        .size:           8
        .value_kind:     by_value
      - .address_space:  global
        .offset:         56
        .size:           8
        .value_kind:     global_buffer
      - .offset:         64
        .size:           8
        .value_kind:     by_value
      - .offset:         72
        .size:           8
        .value_kind:     by_value
      - .address_space:  global
        .offset:         80
        .size:           8
        .value_kind:     global_buffer
      - .offset:         88
        .size:           8
        .value_kind:     by_value
      - .offset:         96
        .size:           8
        .value_kind:     by_value
      - .offset:         104
        .size:           4
        .value_kind:     by_value
    .group_segment_fixed_size: 4096
    .kernarg_segment_align: 8
    .kernarg_segment_size: 108
    .language:       OpenCL C
    .language_version:
      - 2
      - 0
    .max_flat_workgroup_size: 256
    .name:           _ZL23rocblas_trmm_rTx_kernelILi16ELb0E19rocblas_complex_numIfES1_KPKS1_KPS1_Ev13rocblas_fill_17rocblas_diagonal_iiT2_lPT3_llSB_llPT4_lli
    .private_segment_fixed_size: 0
    .sgpr_count:     40
    .sgpr_spill_count: 0
    .symbol:         _ZL23rocblas_trmm_rTx_kernelILi16ELb0E19rocblas_complex_numIfES1_KPKS1_KPS1_Ev13rocblas_fill_17rocblas_diagonal_iiT2_lPT3_llSB_llPT4_lli.kd
    .uniform_work_group_size: 1
    .uses_dynamic_stack: false
    .vgpr_count:     79
    .vgpr_spill_count: 0
    .wavefront_size: 32
    .workgroup_processor_mode: 1
  - .args:
      - .offset:         0
        .size:           4
        .value_kind:     by_value
      - .offset:         4
        .size:           4
        .value_kind:     by_value
      - .offset:         8
        .size:           4
        .value_kind:     by_value
      - .offset:         12
        .size:           4
        .value_kind:     by_value
      - .address_space:  global
        .offset:         16
        .size:           8
        .value_kind:     global_buffer
      - .offset:         24
        .size:           8
        .value_kind:     by_value
      - .address_space:  global
        .offset:         32
        .size:           8
        .value_kind:     global_buffer
      - .offset:         40
        .size:           8
        .value_kind:     by_value
      - .offset:         48
        .size:           8
        .value_kind:     by_value
      - .address_space:  global
        .offset:         56
        .size:           8
        .value_kind:     global_buffer
      - .offset:         64
        .size:           8
        .value_kind:     by_value
      - .offset:         72
        .size:           8
        .value_kind:     by_value
      - .address_space:  global
        .offset:         80
        .size:           8
        .value_kind:     global_buffer
      - .offset:         88
        .size:           8
        .value_kind:     by_value
      - .offset:         96
        .size:           8
        .value_kind:     by_value
      - .offset:         104
        .size:           4
        .value_kind:     by_value
    .group_segment_fixed_size: 4096
    .kernarg_segment_align: 8
    .kernarg_segment_size: 108
    .language:       OpenCL C
    .language_version:
      - 2
      - 0
    .max_flat_workgroup_size: 256
    .name:           _ZL23rocblas_trmm_rTx_kernelILi16ELb1E19rocblas_complex_numIfEPKS1_KS3_KPS1_Ev13rocblas_fill_17rocblas_diagonal_iiT2_lPT3_llSB_llPT4_lli
    .private_segment_fixed_size: 0
    .sgpr_count:     38
    .sgpr_spill_count: 0
    .symbol:         _ZL23rocblas_trmm_rTx_kernelILi16ELb1E19rocblas_complex_numIfEPKS1_KS3_KPS1_Ev13rocblas_fill_17rocblas_diagonal_iiT2_lPT3_llSB_llPT4_lli.kd
    .uniform_work_group_size: 1
    .uses_dynamic_stack: false
    .vgpr_count:     79
    .vgpr_spill_count: 0
    .wavefront_size: 32
    .workgroup_processor_mode: 1
  - .args:
      - .offset:         0
        .size:           4
        .value_kind:     by_value
      - .offset:         4
        .size:           4
        .value_kind:     by_value
      - .offset:         8
        .size:           4
        .value_kind:     by_value
      - .offset:         12
        .size:           4
        .value_kind:     by_value
      - .offset:         16
        .size:           8
        .value_kind:     by_value
      - .offset:         24
        .size:           8
        .value_kind:     by_value
      - .address_space:  global
        .offset:         32
        .size:           8
        .value_kind:     global_buffer
      - .offset:         40
        .size:           8
        .value_kind:     by_value
      - .offset:         48
        .size:           8
        .value_kind:     by_value
      - .address_space:  global
        .offset:         56
        .size:           8
        .value_kind:     global_buffer
      - .offset:         64
        .size:           8
        .value_kind:     by_value
      - .offset:         72
        .size:           8
        .value_kind:     by_value
      - .address_space:  global
        .offset:         80
        .size:           8
        .value_kind:     global_buffer
      - .offset:         88
        .size:           8
        .value_kind:     by_value
      - .offset:         96
        .size:           8
        .value_kind:     by_value
      - .offset:         104
        .size:           4
        .value_kind:     by_value
    .group_segment_fixed_size: 4096
    .kernarg_segment_align: 8
    .kernarg_segment_size: 108
    .language:       OpenCL C
    .language_version:
      - 2
      - 0
    .max_flat_workgroup_size: 256
    .name:           _ZL23rocblas_trmm_rTx_kernelILi16ELb1E19rocblas_complex_numIfES1_KPKS1_KPS1_Ev13rocblas_fill_17rocblas_diagonal_iiT2_lPT3_llSB_llPT4_lli
    .private_segment_fixed_size: 0
    .sgpr_count:     40
    .sgpr_spill_count: 0
    .symbol:         _ZL23rocblas_trmm_rTx_kernelILi16ELb1E19rocblas_complex_numIfES1_KPKS1_KPS1_Ev13rocblas_fill_17rocblas_diagonal_iiT2_lPT3_llSB_llPT4_lli.kd
    .uniform_work_group_size: 1
    .uses_dynamic_stack: false
    .vgpr_count:     79
    .vgpr_spill_count: 0
    .wavefront_size: 32
    .workgroup_processor_mode: 1
  - .args:
      - .offset:         0
        .size:           4
        .value_kind:     by_value
      - .offset:         4
        .size:           4
        .value_kind:     by_value
      - .offset:         8
        .size:           4
        .value_kind:     by_value
      - .offset:         12
        .size:           4
        .value_kind:     by_value
      - .address_space:  global
        .offset:         16
        .size:           8
        .value_kind:     global_buffer
      - .offset:         24
        .size:           8
        .value_kind:     by_value
      - .address_space:  global
        .offset:         32
        .size:           8
        .value_kind:     global_buffer
      - .offset:         40
        .size:           8
        .value_kind:     by_value
      - .offset:         48
        .size:           8
        .value_kind:     by_value
      - .address_space:  global
        .offset:         56
        .size:           8
        .value_kind:     global_buffer
      - .offset:         64
        .size:           8
        .value_kind:     by_value
      - .offset:         72
        .size:           8
        .value_kind:     by_value
      - .address_space:  global
        .offset:         80
        .size:           8
        .value_kind:     global_buffer
      - .offset:         88
        .size:           8
        .value_kind:     by_value
      - .offset:         96
        .size:           8
        .value_kind:     by_value
      - .offset:         104
        .size:           4
        .value_kind:     by_value
    .group_segment_fixed_size: 8192
    .kernarg_segment_align: 8
    .kernarg_segment_size: 108
    .language:       OpenCL C
    .language_version:
      - 2
      - 0
    .max_flat_workgroup_size: 256
    .name:           _ZL23rocblas_trmm_lNx_kernelILi16E19rocblas_complex_numIdEPKS1_KS3_KPS1_Ev13rocblas_fill_17rocblas_diagonal_iiT1_lPT2_llSB_llPT3_lli
    .private_segment_fixed_size: 0
    .sgpr_count:     42
    .sgpr_spill_count: 0
    .symbol:         _ZL23rocblas_trmm_lNx_kernelILi16E19rocblas_complex_numIdEPKS1_KS3_KPS1_Ev13rocblas_fill_17rocblas_diagonal_iiT1_lPT2_llSB_llPT3_lli.kd
    .uniform_work_group_size: 1
    .uses_dynamic_stack: false
    .vgpr_count:     45
    .vgpr_spill_count: 0
    .wavefront_size: 32
    .workgroup_processor_mode: 1
  - .args:
      - .offset:         0
        .size:           4
        .value_kind:     by_value
      - .offset:         4
        .size:           4
        .value_kind:     by_value
      - .offset:         8
        .size:           4
        .value_kind:     by_value
      - .offset:         12
        .size:           4
        .value_kind:     by_value
      - .offset:         16
        .size:           16
        .value_kind:     by_value
      - .offset:         32
        .size:           8
        .value_kind:     by_value
      - .address_space:  global
        .offset:         40
        .size:           8
        .value_kind:     global_buffer
      - .offset:         48
        .size:           8
        .value_kind:     by_value
      - .offset:         56
        .size:           8
        .value_kind:     by_value
      - .address_space:  global
        .offset:         64
        .size:           8
        .value_kind:     global_buffer
      - .offset:         72
        .size:           8
        .value_kind:     by_value
      - .offset:         80
        .size:           8
        .value_kind:     by_value
      - .address_space:  global
        .offset:         88
        .size:           8
        .value_kind:     global_buffer
      - .offset:         96
        .size:           8
        .value_kind:     by_value
      - .offset:         104
        .size:           8
        .value_kind:     by_value
      - .offset:         112
        .size:           4
        .value_kind:     by_value
    .group_segment_fixed_size: 8192
    .kernarg_segment_align: 8
    .kernarg_segment_size: 116
    .language:       OpenCL C
    .language_version:
      - 2
      - 0
    .max_flat_workgroup_size: 256
    .name:           _ZL23rocblas_trmm_lNx_kernelILi16E19rocblas_complex_numIdES1_KPKS1_KPS1_Ev13rocblas_fill_17rocblas_diagonal_iiT1_lPT2_llSB_llPT3_lli
    .private_segment_fixed_size: 0
    .sgpr_count:     42
    .sgpr_spill_count: 0
    .symbol:         _ZL23rocblas_trmm_lNx_kernelILi16E19rocblas_complex_numIdES1_KPKS1_KPS1_Ev13rocblas_fill_17rocblas_diagonal_iiT1_lPT2_llSB_llPT3_lli.kd
    .uniform_work_group_size: 1
    .uses_dynamic_stack: false
    .vgpr_count:     45
    .vgpr_spill_count: 0
    .wavefront_size: 32
    .workgroup_processor_mode: 1
  - .args:
      - .offset:         0
        .size:           4
        .value_kind:     by_value
      - .offset:         4
        .size:           4
        .value_kind:     by_value
      - .offset:         8
        .size:           4
        .value_kind:     by_value
      - .offset:         12
        .size:           4
        .value_kind:     by_value
      - .address_space:  global
        .offset:         16
        .size:           8
        .value_kind:     global_buffer
      - .offset:         24
        .size:           8
        .value_kind:     by_value
      - .address_space:  global
        .offset:         32
        .size:           8
        .value_kind:     global_buffer
      - .offset:         40
        .size:           8
        .value_kind:     by_value
      - .offset:         48
        .size:           8
        .value_kind:     by_value
      - .address_space:  global
        .offset:         56
        .size:           8
        .value_kind:     global_buffer
      - .offset:         64
        .size:           8
        .value_kind:     by_value
      - .offset:         72
        .size:           8
        .value_kind:     by_value
      - .address_space:  global
        .offset:         80
        .size:           8
        .value_kind:     global_buffer
      - .offset:         88
        .size:           8
        .value_kind:     by_value
      - .offset:         96
        .size:           8
        .value_kind:     by_value
      - .offset:         104
        .size:           4
        .value_kind:     by_value
    .group_segment_fixed_size: 8192
    .kernarg_segment_align: 8
    .kernarg_segment_size: 108
    .language:       OpenCL C
    .language_version:
      - 2
      - 0
    .max_flat_workgroup_size: 256
    .name:           _ZL23rocblas_trmm_lTx_kernelILi16ELb0E19rocblas_complex_numIdEPKS1_KS3_KPS1_Ev13rocblas_fill_17rocblas_diagonal_iiT2_lPT3_llSB_llPT4_lli
    .private_segment_fixed_size: 0
    .sgpr_count:     42
    .sgpr_spill_count: 0
    .symbol:         _ZL23rocblas_trmm_lTx_kernelILi16ELb0E19rocblas_complex_numIdEPKS1_KS3_KPS1_Ev13rocblas_fill_17rocblas_diagonal_iiT2_lPT3_llSB_llPT4_lli.kd
    .uniform_work_group_size: 1
    .uses_dynamic_stack: false
    .vgpr_count:     45
    .vgpr_spill_count: 0
    .wavefront_size: 32
    .workgroup_processor_mode: 1
  - .args:
      - .offset:         0
        .size:           4
        .value_kind:     by_value
      - .offset:         4
        .size:           4
        .value_kind:     by_value
      - .offset:         8
        .size:           4
        .value_kind:     by_value
      - .offset:         12
        .size:           4
        .value_kind:     by_value
      - .offset:         16
        .size:           16
        .value_kind:     by_value
      - .offset:         32
        .size:           8
        .value_kind:     by_value
      - .address_space:  global
        .offset:         40
        .size:           8
        .value_kind:     global_buffer
      - .offset:         48
        .size:           8
        .value_kind:     by_value
      - .offset:         56
        .size:           8
        .value_kind:     by_value
      - .address_space:  global
        .offset:         64
        .size:           8
        .value_kind:     global_buffer
      - .offset:         72
        .size:           8
        .value_kind:     by_value
      - .offset:         80
        .size:           8
        .value_kind:     by_value
      - .address_space:  global
        .offset:         88
        .size:           8
        .value_kind:     global_buffer
      - .offset:         96
        .size:           8
        .value_kind:     by_value
      - .offset:         104
        .size:           8
        .value_kind:     by_value
      - .offset:         112
        .size:           4
        .value_kind:     by_value
    .group_segment_fixed_size: 8192
    .kernarg_segment_align: 8
    .kernarg_segment_size: 116
    .language:       OpenCL C
    .language_version:
      - 2
      - 0
    .max_flat_workgroup_size: 256
    .name:           _ZL23rocblas_trmm_lTx_kernelILi16ELb0E19rocblas_complex_numIdES1_KPKS1_KPS1_Ev13rocblas_fill_17rocblas_diagonal_iiT2_lPT3_llSB_llPT4_lli
    .private_segment_fixed_size: 0
    .sgpr_count:     42
    .sgpr_spill_count: 0
    .symbol:         _ZL23rocblas_trmm_lTx_kernelILi16ELb0E19rocblas_complex_numIdES1_KPKS1_KPS1_Ev13rocblas_fill_17rocblas_diagonal_iiT2_lPT3_llSB_llPT4_lli.kd
    .uniform_work_group_size: 1
    .uses_dynamic_stack: false
    .vgpr_count:     45
    .vgpr_spill_count: 0
    .wavefront_size: 32
    .workgroup_processor_mode: 1
  - .args:
      - .offset:         0
        .size:           4
        .value_kind:     by_value
      - .offset:         4
        .size:           4
        .value_kind:     by_value
      - .offset:         8
        .size:           4
        .value_kind:     by_value
      - .offset:         12
        .size:           4
        .value_kind:     by_value
      - .address_space:  global
        .offset:         16
        .size:           8
        .value_kind:     global_buffer
      - .offset:         24
        .size:           8
        .value_kind:     by_value
      - .address_space:  global
        .offset:         32
        .size:           8
        .value_kind:     global_buffer
      - .offset:         40
        .size:           8
        .value_kind:     by_value
      - .offset:         48
        .size:           8
        .value_kind:     by_value
      - .address_space:  global
        .offset:         56
        .size:           8
        .value_kind:     global_buffer
      - .offset:         64
        .size:           8
        .value_kind:     by_value
      - .offset:         72
        .size:           8
        .value_kind:     by_value
      - .address_space:  global
        .offset:         80
        .size:           8
        .value_kind:     global_buffer
      - .offset:         88
        .size:           8
        .value_kind:     by_value
      - .offset:         96
        .size:           8
        .value_kind:     by_value
      - .offset:         104
        .size:           4
        .value_kind:     by_value
    .group_segment_fixed_size: 8192
    .kernarg_segment_align: 8
    .kernarg_segment_size: 108
    .language:       OpenCL C
    .language_version:
      - 2
      - 0
    .max_flat_workgroup_size: 256
    .name:           _ZL23rocblas_trmm_lTx_kernelILi16ELb1E19rocblas_complex_numIdEPKS1_KS3_KPS1_Ev13rocblas_fill_17rocblas_diagonal_iiT2_lPT3_llSB_llPT4_lli
    .private_segment_fixed_size: 0
    .sgpr_count:     42
    .sgpr_spill_count: 0
    .symbol:         _ZL23rocblas_trmm_lTx_kernelILi16ELb1E19rocblas_complex_numIdEPKS1_KS3_KPS1_Ev13rocblas_fill_17rocblas_diagonal_iiT2_lPT3_llSB_llPT4_lli.kd
    .uniform_work_group_size: 1
    .uses_dynamic_stack: false
    .vgpr_count:     45
    .vgpr_spill_count: 0
    .wavefront_size: 32
    .workgroup_processor_mode: 1
  - .args:
      - .offset:         0
        .size:           4
        .value_kind:     by_value
      - .offset:         4
        .size:           4
        .value_kind:     by_value
      - .offset:         8
        .size:           4
        .value_kind:     by_value
      - .offset:         12
        .size:           4
        .value_kind:     by_value
      - .offset:         16
        .size:           16
        .value_kind:     by_value
      - .offset:         32
        .size:           8
        .value_kind:     by_value
      - .address_space:  global
        .offset:         40
        .size:           8
        .value_kind:     global_buffer
      - .offset:         48
        .size:           8
        .value_kind:     by_value
      - .offset:         56
        .size:           8
        .value_kind:     by_value
      - .address_space:  global
        .offset:         64
        .size:           8
        .value_kind:     global_buffer
      - .offset:         72
        .size:           8
        .value_kind:     by_value
      - .offset:         80
        .size:           8
        .value_kind:     by_value
      - .address_space:  global
        .offset:         88
        .size:           8
        .value_kind:     global_buffer
      - .offset:         96
        .size:           8
        .value_kind:     by_value
      - .offset:         104
        .size:           8
        .value_kind:     by_value
      - .offset:         112
        .size:           4
        .value_kind:     by_value
    .group_segment_fixed_size: 8192
    .kernarg_segment_align: 8
    .kernarg_segment_size: 116
    .language:       OpenCL C
    .language_version:
      - 2
      - 0
    .max_flat_workgroup_size: 256
    .name:           _ZL23rocblas_trmm_lTx_kernelILi16ELb1E19rocblas_complex_numIdES1_KPKS1_KPS1_Ev13rocblas_fill_17rocblas_diagonal_iiT2_lPT3_llSB_llPT4_lli
    .private_segment_fixed_size: 0
    .sgpr_count:     42
    .sgpr_spill_count: 0
    .symbol:         _ZL23rocblas_trmm_lTx_kernelILi16ELb1E19rocblas_complex_numIdES1_KPKS1_KPS1_Ev13rocblas_fill_17rocblas_diagonal_iiT2_lPT3_llSB_llPT4_lli.kd
    .uniform_work_group_size: 1
    .uses_dynamic_stack: false
    .vgpr_count:     45
    .vgpr_spill_count: 0
    .wavefront_size: 32
    .workgroup_processor_mode: 1
  - .args:
      - .offset:         0
        .size:           4
        .value_kind:     by_value
      - .offset:         4
        .size:           4
        .value_kind:     by_value
      - .offset:         8
        .size:           4
        .value_kind:     by_value
      - .offset:         12
        .size:           4
        .value_kind:     by_value
      - .address_space:  global
        .offset:         16
        .size:           8
        .value_kind:     global_buffer
      - .offset:         24
        .size:           8
        .value_kind:     by_value
      - .address_space:  global
        .offset:         32
        .size:           8
        .value_kind:     global_buffer
      - .offset:         40
        .size:           8
        .value_kind:     by_value
      - .offset:         48
        .size:           8
        .value_kind:     by_value
      - .address_space:  global
        .offset:         56
        .size:           8
        .value_kind:     global_buffer
      - .offset:         64
        .size:           8
        .value_kind:     by_value
      - .offset:         72
        .size:           8
        .value_kind:     by_value
      - .address_space:  global
        .offset:         80
        .size:           8
        .value_kind:     global_buffer
      - .offset:         88
        .size:           8
        .value_kind:     by_value
      - .offset:         96
        .size:           8
        .value_kind:     by_value
      - .offset:         104
        .size:           4
        .value_kind:     by_value
    .group_segment_fixed_size: 8192
    .kernarg_segment_align: 8
    .kernarg_segment_size: 108
    .language:       OpenCL C
    .language_version:
      - 2
      - 0
    .max_flat_workgroup_size: 256
    .name:           _ZL23rocblas_trmm_rNx_kernelILi16E19rocblas_complex_numIdEPKS1_KS3_KPS1_Ev13rocblas_fill_17rocblas_diagonal_iiT1_lPT2_llSB_llPT3_lli
    .private_segment_fixed_size: 0
    .sgpr_count:     42
    .sgpr_spill_count: 0
    .symbol:         _ZL23rocblas_trmm_rNx_kernelILi16E19rocblas_complex_numIdEPKS1_KS3_KPS1_Ev13rocblas_fill_17rocblas_diagonal_iiT1_lPT2_llSB_llPT3_lli.kd
    .uniform_work_group_size: 1
    .uses_dynamic_stack: false
    .vgpr_count:     45
    .vgpr_spill_count: 0
    .wavefront_size: 32
    .workgroup_processor_mode: 1
  - .args:
      - .offset:         0
        .size:           4
        .value_kind:     by_value
      - .offset:         4
        .size:           4
        .value_kind:     by_value
      - .offset:         8
        .size:           4
        .value_kind:     by_value
      - .offset:         12
        .size:           4
        .value_kind:     by_value
      - .offset:         16
        .size:           16
        .value_kind:     by_value
      - .offset:         32
        .size:           8
        .value_kind:     by_value
      - .address_space:  global
        .offset:         40
        .size:           8
        .value_kind:     global_buffer
      - .offset:         48
        .size:           8
        .value_kind:     by_value
      - .offset:         56
        .size:           8
        .value_kind:     by_value
      - .address_space:  global
        .offset:         64
        .size:           8
        .value_kind:     global_buffer
      - .offset:         72
        .size:           8
        .value_kind:     by_value
      - .offset:         80
        .size:           8
        .value_kind:     by_value
      - .address_space:  global
        .offset:         88
        .size:           8
        .value_kind:     global_buffer
      - .offset:         96
        .size:           8
        .value_kind:     by_value
      - .offset:         104
        .size:           8
        .value_kind:     by_value
      - .offset:         112
        .size:           4
        .value_kind:     by_value
    .group_segment_fixed_size: 8192
    .kernarg_segment_align: 8
    .kernarg_segment_size: 116
    .language:       OpenCL C
    .language_version:
      - 2
      - 0
    .max_flat_workgroup_size: 256
    .name:           _ZL23rocblas_trmm_rNx_kernelILi16E19rocblas_complex_numIdES1_KPKS1_KPS1_Ev13rocblas_fill_17rocblas_diagonal_iiT1_lPT2_llSB_llPT3_lli
    .private_segment_fixed_size: 0
    .sgpr_count:     42
    .sgpr_spill_count: 0
    .symbol:         _ZL23rocblas_trmm_rNx_kernelILi16E19rocblas_complex_numIdES1_KPKS1_KPS1_Ev13rocblas_fill_17rocblas_diagonal_iiT1_lPT2_llSB_llPT3_lli.kd
    .uniform_work_group_size: 1
    .uses_dynamic_stack: false
    .vgpr_count:     45
    .vgpr_spill_count: 0
    .wavefront_size: 32
    .workgroup_processor_mode: 1
  - .args:
      - .offset:         0
        .size:           4
        .value_kind:     by_value
      - .offset:         4
        .size:           4
        .value_kind:     by_value
      - .offset:         8
        .size:           4
        .value_kind:     by_value
      - .offset:         12
        .size:           4
        .value_kind:     by_value
      - .address_space:  global
        .offset:         16
        .size:           8
        .value_kind:     global_buffer
      - .offset:         24
        .size:           8
        .value_kind:     by_value
      - .address_space:  global
        .offset:         32
        .size:           8
        .value_kind:     global_buffer
      - .offset:         40
        .size:           8
        .value_kind:     by_value
      - .offset:         48
        .size:           8
        .value_kind:     by_value
      - .address_space:  global
        .offset:         56
        .size:           8
        .value_kind:     global_buffer
      - .offset:         64
        .size:           8
        .value_kind:     by_value
      - .offset:         72
        .size:           8
        .value_kind:     by_value
      - .address_space:  global
        .offset:         80
        .size:           8
        .value_kind:     global_buffer
      - .offset:         88
        .size:           8
        .value_kind:     by_value
      - .offset:         96
        .size:           8
        .value_kind:     by_value
      - .offset:         104
        .size:           4
        .value_kind:     by_value
    .group_segment_fixed_size: 8192
    .kernarg_segment_align: 8
    .kernarg_segment_size: 108
    .language:       OpenCL C
    .language_version:
      - 2
      - 0
    .max_flat_workgroup_size: 256
    .name:           _ZL23rocblas_trmm_rTx_kernelILi16ELb0E19rocblas_complex_numIdEPKS1_KS3_KPS1_Ev13rocblas_fill_17rocblas_diagonal_iiT2_lPT3_llSB_llPT4_lli
    .private_segment_fixed_size: 0
    .sgpr_count:     42
    .sgpr_spill_count: 0
    .symbol:         _ZL23rocblas_trmm_rTx_kernelILi16ELb0E19rocblas_complex_numIdEPKS1_KS3_KPS1_Ev13rocblas_fill_17rocblas_diagonal_iiT2_lPT3_llSB_llPT4_lli.kd
    .uniform_work_group_size: 1
    .uses_dynamic_stack: false
    .vgpr_count:     45
    .vgpr_spill_count: 0
    .wavefront_size: 32
    .workgroup_processor_mode: 1
  - .args:
      - .offset:         0
        .size:           4
        .value_kind:     by_value
      - .offset:         4
        .size:           4
        .value_kind:     by_value
      - .offset:         8
        .size:           4
        .value_kind:     by_value
      - .offset:         12
        .size:           4
        .value_kind:     by_value
      - .offset:         16
        .size:           16
        .value_kind:     by_value
      - .offset:         32
        .size:           8
        .value_kind:     by_value
      - .address_space:  global
        .offset:         40
        .size:           8
        .value_kind:     global_buffer
      - .offset:         48
        .size:           8
        .value_kind:     by_value
      - .offset:         56
        .size:           8
        .value_kind:     by_value
      - .address_space:  global
        .offset:         64
        .size:           8
        .value_kind:     global_buffer
      - .offset:         72
        .size:           8
        .value_kind:     by_value
      - .offset:         80
        .size:           8
        .value_kind:     by_value
      - .address_space:  global
        .offset:         88
        .size:           8
        .value_kind:     global_buffer
      - .offset:         96
        .size:           8
        .value_kind:     by_value
      - .offset:         104
        .size:           8
        .value_kind:     by_value
      - .offset:         112
        .size:           4
        .value_kind:     by_value
    .group_segment_fixed_size: 8192
    .kernarg_segment_align: 8
    .kernarg_segment_size: 116
    .language:       OpenCL C
    .language_version:
      - 2
      - 0
    .max_flat_workgroup_size: 256
    .name:           _ZL23rocblas_trmm_rTx_kernelILi16ELb0E19rocblas_complex_numIdES1_KPKS1_KPS1_Ev13rocblas_fill_17rocblas_diagonal_iiT2_lPT3_llSB_llPT4_lli
    .private_segment_fixed_size: 0
    .sgpr_count:     42
    .sgpr_spill_count: 0
    .symbol:         _ZL23rocblas_trmm_rTx_kernelILi16ELb0E19rocblas_complex_numIdES1_KPKS1_KPS1_Ev13rocblas_fill_17rocblas_diagonal_iiT2_lPT3_llSB_llPT4_lli.kd
    .uniform_work_group_size: 1
    .uses_dynamic_stack: false
    .vgpr_count:     45
    .vgpr_spill_count: 0
    .wavefront_size: 32
    .workgroup_processor_mode: 1
  - .args:
      - .offset:         0
        .size:           4
        .value_kind:     by_value
      - .offset:         4
        .size:           4
        .value_kind:     by_value
      - .offset:         8
        .size:           4
        .value_kind:     by_value
      - .offset:         12
        .size:           4
        .value_kind:     by_value
      - .address_space:  global
        .offset:         16
        .size:           8
        .value_kind:     global_buffer
      - .offset:         24
        .size:           8
        .value_kind:     by_value
      - .address_space:  global
        .offset:         32
        .size:           8
        .value_kind:     global_buffer
      - .offset:         40
        .size:           8
        .value_kind:     by_value
      - .offset:         48
        .size:           8
        .value_kind:     by_value
      - .address_space:  global
        .offset:         56
        .size:           8
        .value_kind:     global_buffer
      - .offset:         64
        .size:           8
        .value_kind:     by_value
      - .offset:         72
        .size:           8
        .value_kind:     by_value
      - .address_space:  global
        .offset:         80
        .size:           8
        .value_kind:     global_buffer
      - .offset:         88
        .size:           8
        .value_kind:     by_value
      - .offset:         96
        .size:           8
        .value_kind:     by_value
      - .offset:         104
        .size:           4
        .value_kind:     by_value
    .group_segment_fixed_size: 8192
    .kernarg_segment_align: 8
    .kernarg_segment_size: 108
    .language:       OpenCL C
    .language_version:
      - 2
      - 0
    .max_flat_workgroup_size: 256
    .name:           _ZL23rocblas_trmm_rTx_kernelILi16ELb1E19rocblas_complex_numIdEPKS1_KS3_KPS1_Ev13rocblas_fill_17rocblas_diagonal_iiT2_lPT3_llSB_llPT4_lli
    .private_segment_fixed_size: 0
    .sgpr_count:     42
    .sgpr_spill_count: 0
    .symbol:         _ZL23rocblas_trmm_rTx_kernelILi16ELb1E19rocblas_complex_numIdEPKS1_KS3_KPS1_Ev13rocblas_fill_17rocblas_diagonal_iiT2_lPT3_llSB_llPT4_lli.kd
    .uniform_work_group_size: 1
    .uses_dynamic_stack: false
    .vgpr_count:     45
    .vgpr_spill_count: 0
    .wavefront_size: 32
    .workgroup_processor_mode: 1
  - .args:
      - .offset:         0
        .size:           4
        .value_kind:     by_value
      - .offset:         4
        .size:           4
        .value_kind:     by_value
      - .offset:         8
        .size:           4
        .value_kind:     by_value
      - .offset:         12
        .size:           4
        .value_kind:     by_value
      - .offset:         16
        .size:           16
        .value_kind:     by_value
      - .offset:         32
        .size:           8
        .value_kind:     by_value
      - .address_space:  global
        .offset:         40
        .size:           8
        .value_kind:     global_buffer
      - .offset:         48
        .size:           8
        .value_kind:     by_value
      - .offset:         56
        .size:           8
        .value_kind:     by_value
      - .address_space:  global
        .offset:         64
        .size:           8
        .value_kind:     global_buffer
      - .offset:         72
        .size:           8
        .value_kind:     by_value
      - .offset:         80
        .size:           8
        .value_kind:     by_value
      - .address_space:  global
        .offset:         88
        .size:           8
        .value_kind:     global_buffer
      - .offset:         96
        .size:           8
        .value_kind:     by_value
      - .offset:         104
        .size:           8
        .value_kind:     by_value
      - .offset:         112
        .size:           4
        .value_kind:     by_value
    .group_segment_fixed_size: 8192
    .kernarg_segment_align: 8
    .kernarg_segment_size: 116
    .language:       OpenCL C
    .language_version:
      - 2
      - 0
    .max_flat_workgroup_size: 256
    .name:           _ZL23rocblas_trmm_rTx_kernelILi16ELb1E19rocblas_complex_numIdES1_KPKS1_KPS1_Ev13rocblas_fill_17rocblas_diagonal_iiT2_lPT3_llSB_llPT4_lli
    .private_segment_fixed_size: 0
    .sgpr_count:     42
    .sgpr_spill_count: 0
    .symbol:         _ZL23rocblas_trmm_rTx_kernelILi16ELb1E19rocblas_complex_numIdES1_KPKS1_KPS1_Ev13rocblas_fill_17rocblas_diagonal_iiT2_lPT3_llSB_llPT4_lli.kd
    .uniform_work_group_size: 1
    .uses_dynamic_stack: false
    .vgpr_count:     45
    .vgpr_spill_count: 0
    .wavefront_size: 32
    .workgroup_processor_mode: 1
  - .args:
      - .offset:         0
        .size:           4
        .value_kind:     by_value
      - .offset:         4
        .size:           4
        .value_kind:     by_value
      - .address_space:  global
        .offset:         8
        .size:           8
        .value_kind:     global_buffer
      - .offset:         16
        .size:           8
        .value_kind:     by_value
      - .address_space:  global
        .offset:         24
        .size:           8
        .value_kind:     global_buffer
      - .offset:         32
        .size:           8
        .value_kind:     by_value
      - .offset:         40
        .size:           8
        .value_kind:     by_value
      - .offset:         48
        .size:           4
        .value_kind:     by_value
      - .offset:         56
        .size:           4
        .value_kind:     hidden_block_count_x
      - .offset:         60
        .size:           4
        .value_kind:     hidden_block_count_y
      - .offset:         64
        .size:           4
        .value_kind:     hidden_block_count_z
      - .offset:         68
        .size:           2
        .value_kind:     hidden_group_size_x
      - .offset:         70
        .size:           2
        .value_kind:     hidden_group_size_y
      - .offset:         72
        .size:           2
        .value_kind:     hidden_group_size_z
      - .offset:         74
        .size:           2
        .value_kind:     hidden_remainder_x
      - .offset:         76
        .size:           2
        .value_kind:     hidden_remainder_y
      - .offset:         78
        .size:           2
        .value_kind:     hidden_remainder_z
      - .offset:         96
        .size:           8
        .value_kind:     hidden_global_offset_x
      - .offset:         104
        .size:           8
        .value_kind:     hidden_global_offset_y
      - .offset:         112
        .size:           8
        .value_kind:     hidden_global_offset_z
      - .offset:         120
        .size:           2
        .value_kind:     hidden_grid_dims
    .group_segment_fixed_size: 0
    .kernarg_segment_align: 8
    .kernarg_segment_size: 312
    .language:       OpenCL C
    .language_version:
      - 2
      - 0
    .max_flat_workgroup_size: 256
    .name:           _ZL44rocblas_set_matrix_zero_if_alpha_zero_kernelILi16ELi16EPKfPKPfEviiT1_lT2_lli
    .private_segment_fixed_size: 0
    .sgpr_count:     20
    .sgpr_spill_count: 0
    .symbol:         _ZL44rocblas_set_matrix_zero_if_alpha_zero_kernelILi16ELi16EPKfPKPfEviiT1_lT2_lli.kd
    .uniform_work_group_size: 1
    .uses_dynamic_stack: false
    .vgpr_count:     8
    .vgpr_spill_count: 0
    .wavefront_size: 32
    .workgroup_processor_mode: 1
  - .args:
      - .offset:         0
        .size:           4
        .value_kind:     by_value
      - .offset:         4
        .size:           4
        .value_kind:     by_value
      - .offset:         8
        .size:           4
        .value_kind:     by_value
      - .offset:         16
        .size:           8
        .value_kind:     by_value
      - .address_space:  global
        .offset:         24
        .size:           8
        .value_kind:     global_buffer
      - .offset:         32
        .size:           8
        .value_kind:     by_value
      - .offset:         40
        .size:           8
        .value_kind:     by_value
      - .offset:         48
        .size:           4
        .value_kind:     by_value
      - .offset:         56
        .size:           4
        .value_kind:     hidden_block_count_x
      - .offset:         60
        .size:           4
        .value_kind:     hidden_block_count_y
      - .offset:         64
        .size:           4
        .value_kind:     hidden_block_count_z
      - .offset:         68
        .size:           2
        .value_kind:     hidden_group_size_x
      - .offset:         70
        .size:           2
        .value_kind:     hidden_group_size_y
      - .offset:         72
        .size:           2
        .value_kind:     hidden_group_size_z
      - .offset:         74
        .size:           2
        .value_kind:     hidden_remainder_x
      - .offset:         76
        .size:           2
        .value_kind:     hidden_remainder_y
      - .offset:         78
        .size:           2
        .value_kind:     hidden_remainder_z
      - .offset:         96
        .size:           8
        .value_kind:     hidden_global_offset_x
      - .offset:         104
        .size:           8
        .value_kind:     hidden_global_offset_y
      - .offset:         112
        .size:           8
        .value_kind:     hidden_global_offset_z
      - .offset:         120
        .size:           2
        .value_kind:     hidden_grid_dims
    .group_segment_fixed_size: 0
    .kernarg_segment_align: 8
    .kernarg_segment_size: 312
    .language:       OpenCL C
    .language_version:
      - 2
      - 0
    .max_flat_workgroup_size: 256
    .name:           _ZL44rocblas_set_matrix_zero_if_alpha_zero_kernelILi16ELi16EfPKPfEviiT1_lT2_lli
    .private_segment_fixed_size: 0
    .sgpr_count:     18
    .sgpr_spill_count: 0
    .symbol:         _ZL44rocblas_set_matrix_zero_if_alpha_zero_kernelILi16ELi16EfPKPfEviiT1_lT2_lli.kd
    .uniform_work_group_size: 1
    .uses_dynamic_stack: false
    .vgpr_count:     8
    .vgpr_spill_count: 0
    .wavefront_size: 32
    .workgroup_processor_mode: 1
  - .args:
      - .offset:         0
        .size:           4
        .value_kind:     by_value
      - .offset:         4
        .size:           4
        .value_kind:     by_value
      - .address_space:  global
        .offset:         8
        .size:           8
        .value_kind:     global_buffer
      - .offset:         16
        .size:           8
        .value_kind:     by_value
      - .address_space:  global
        .offset:         24
        .size:           8
        .value_kind:     global_buffer
      - .offset:         32
        .size:           8
        .value_kind:     by_value
      - .offset:         40
        .size:           8
        .value_kind:     by_value
      - .offset:         48
        .size:           4
        .value_kind:     by_value
      - .offset:         56
        .size:           4
        .value_kind:     hidden_block_count_x
      - .offset:         60
        .size:           4
        .value_kind:     hidden_block_count_y
      - .offset:         64
        .size:           4
        .value_kind:     hidden_block_count_z
      - .offset:         68
        .size:           2
        .value_kind:     hidden_group_size_x
      - .offset:         70
        .size:           2
        .value_kind:     hidden_group_size_y
      - .offset:         72
        .size:           2
        .value_kind:     hidden_group_size_z
      - .offset:         74
        .size:           2
        .value_kind:     hidden_remainder_x
      - .offset:         76
        .size:           2
        .value_kind:     hidden_remainder_y
      - .offset:         78
        .size:           2
        .value_kind:     hidden_remainder_z
      - .offset:         96
        .size:           8
        .value_kind:     hidden_global_offset_x
      - .offset:         104
        .size:           8
        .value_kind:     hidden_global_offset_y
      - .offset:         112
        .size:           8
        .value_kind:     hidden_global_offset_z
      - .offset:         120
        .size:           2
        .value_kind:     hidden_grid_dims
    .group_segment_fixed_size: 0
    .kernarg_segment_align: 8
    .kernarg_segment_size: 312
    .language:       OpenCL C
    .language_version:
      - 2
      - 0
    .max_flat_workgroup_size: 256
    .name:           _ZL44rocblas_set_matrix_zero_if_alpha_zero_kernelILi16ELi16EPKfPfEviiT1_lT2_lli
    .private_segment_fixed_size: 0
    .sgpr_count:     18
    .sgpr_spill_count: 0
    .symbol:         _ZL44rocblas_set_matrix_zero_if_alpha_zero_kernelILi16ELi16EPKfPfEviiT1_lT2_lli.kd
    .uniform_work_group_size: 1
    .uses_dynamic_stack: false
    .vgpr_count:     8
    .vgpr_spill_count: 0
    .wavefront_size: 32
    .workgroup_processor_mode: 1
  - .args:
      - .offset:         0
        .size:           4
        .value_kind:     by_value
      - .offset:         4
        .size:           4
        .value_kind:     by_value
      - .offset:         8
        .size:           4
        .value_kind:     by_value
      - .offset:         16
        .size:           8
        .value_kind:     by_value
      - .address_space:  global
        .offset:         24
        .size:           8
        .value_kind:     global_buffer
      - .offset:         32
        .size:           8
        .value_kind:     by_value
      - .offset:         40
        .size:           8
        .value_kind:     by_value
      - .offset:         48
        .size:           4
        .value_kind:     by_value
      - .offset:         56
        .size:           4
        .value_kind:     hidden_block_count_x
      - .offset:         60
        .size:           4
        .value_kind:     hidden_block_count_y
      - .offset:         64
        .size:           4
        .value_kind:     hidden_block_count_z
      - .offset:         68
        .size:           2
        .value_kind:     hidden_group_size_x
      - .offset:         70
        .size:           2
        .value_kind:     hidden_group_size_y
      - .offset:         72
        .size:           2
        .value_kind:     hidden_group_size_z
      - .offset:         74
        .size:           2
        .value_kind:     hidden_remainder_x
      - .offset:         76
        .size:           2
        .value_kind:     hidden_remainder_y
      - .offset:         78
        .size:           2
        .value_kind:     hidden_remainder_z
      - .offset:         96
        .size:           8
        .value_kind:     hidden_global_offset_x
      - .offset:         104
        .size:           8
        .value_kind:     hidden_global_offset_y
      - .offset:         112
        .size:           8
        .value_kind:     hidden_global_offset_z
      - .offset:         120
        .size:           2
        .value_kind:     hidden_grid_dims
    .group_segment_fixed_size: 0
    .kernarg_segment_align: 8
    .kernarg_segment_size: 312
    .language:       OpenCL C
    .language_version:
      - 2
      - 0
    .max_flat_workgroup_size: 256
    .name:           _ZL44rocblas_set_matrix_zero_if_alpha_zero_kernelILi16ELi16EfPfEviiT1_lT2_lli
    .private_segment_fixed_size: 0
    .sgpr_count:     18
    .sgpr_spill_count: 0
    .symbol:         _ZL44rocblas_set_matrix_zero_if_alpha_zero_kernelILi16ELi16EfPfEviiT1_lT2_lli.kd
    .uniform_work_group_size: 1
    .uses_dynamic_stack: false
    .vgpr_count:     8
    .vgpr_spill_count: 0
    .wavefront_size: 32
    .workgroup_processor_mode: 1
  - .args:
      - .offset:         0
        .size:           4
        .value_kind:     by_value
      - .offset:         4
        .size:           4
        .value_kind:     by_value
      - .address_space:  global
        .offset:         8
        .size:           8
        .value_kind:     global_buffer
      - .offset:         16
        .size:           8
        .value_kind:     by_value
      - .address_space:  global
        .offset:         24
        .size:           8
        .value_kind:     global_buffer
      - .offset:         32
        .size:           8
        .value_kind:     by_value
      - .offset:         40
        .size:           8
        .value_kind:     by_value
      - .offset:         48
        .size:           4
        .value_kind:     by_value
      - .offset:         56
        .size:           4
        .value_kind:     hidden_block_count_x
      - .offset:         60
        .size:           4
        .value_kind:     hidden_block_count_y
      - .offset:         64
        .size:           4
        .value_kind:     hidden_block_count_z
      - .offset:         68
        .size:           2
        .value_kind:     hidden_group_size_x
      - .offset:         70
        .size:           2
        .value_kind:     hidden_group_size_y
      - .offset:         72
        .size:           2
        .value_kind:     hidden_group_size_z
      - .offset:         74
        .size:           2
        .value_kind:     hidden_remainder_x
      - .offset:         76
        .size:           2
        .value_kind:     hidden_remainder_y
      - .offset:         78
        .size:           2
        .value_kind:     hidden_remainder_z
      - .offset:         96
        .size:           8
        .value_kind:     hidden_global_offset_x
      - .offset:         104
        .size:           8
        .value_kind:     hidden_global_offset_y
      - .offset:         112
        .size:           8
        .value_kind:     hidden_global_offset_z
      - .offset:         120
        .size:           2
        .value_kind:     hidden_grid_dims
    .group_segment_fixed_size: 0
    .kernarg_segment_align: 8
    .kernarg_segment_size: 312
    .language:       OpenCL C
    .language_version:
      - 2
      - 0
    .max_flat_workgroup_size: 256
    .name:           _ZL44rocblas_set_matrix_zero_if_alpha_zero_kernelILi16ELi16EPKdPdEviiT1_lT2_lli
    .private_segment_fixed_size: 0
    .sgpr_count:     18
    .sgpr_spill_count: 0
    .symbol:         _ZL44rocblas_set_matrix_zero_if_alpha_zero_kernelILi16ELi16EPKdPdEviiT1_lT2_lli.kd
    .uniform_work_group_size: 1
    .uses_dynamic_stack: false
    .vgpr_count:     8
    .vgpr_spill_count: 0
    .wavefront_size: 32
    .workgroup_processor_mode: 1
  - .args:
      - .offset:         0
        .size:           4
        .value_kind:     by_value
      - .offset:         4
        .size:           4
        .value_kind:     by_value
      - .offset:         8
        .size:           8
        .value_kind:     by_value
      - .offset:         16
        .size:           8
        .value_kind:     by_value
      - .address_space:  global
        .offset:         24
        .size:           8
        .value_kind:     global_buffer
      - .offset:         32
        .size:           8
        .value_kind:     by_value
      - .offset:         40
        .size:           8
        .value_kind:     by_value
      - .offset:         48
        .size:           4
        .value_kind:     by_value
      - .offset:         56
        .size:           4
        .value_kind:     hidden_block_count_x
      - .offset:         60
        .size:           4
        .value_kind:     hidden_block_count_y
      - .offset:         64
        .size:           4
        .value_kind:     hidden_block_count_z
      - .offset:         68
        .size:           2
        .value_kind:     hidden_group_size_x
      - .offset:         70
        .size:           2
        .value_kind:     hidden_group_size_y
      - .offset:         72
        .size:           2
        .value_kind:     hidden_group_size_z
      - .offset:         74
        .size:           2
        .value_kind:     hidden_remainder_x
      - .offset:         76
        .size:           2
        .value_kind:     hidden_remainder_y
      - .offset:         78
        .size:           2
        .value_kind:     hidden_remainder_z
      - .offset:         96
        .size:           8
        .value_kind:     hidden_global_offset_x
      - .offset:         104
        .size:           8
        .value_kind:     hidden_global_offset_y
      - .offset:         112
        .size:           8
        .value_kind:     hidden_global_offset_z
      - .offset:         120
        .size:           2
        .value_kind:     hidden_grid_dims
    .group_segment_fixed_size: 0
    .kernarg_segment_align: 8
    .kernarg_segment_size: 312
    .language:       OpenCL C
    .language_version:
      - 2
      - 0
    .max_flat_workgroup_size: 256
    .name:           _ZL44rocblas_set_matrix_zero_if_alpha_zero_kernelILi16ELi16EdPdEviiT1_lT2_lli
    .private_segment_fixed_size: 0
    .sgpr_count:     18
    .sgpr_spill_count: 0
    .symbol:         _ZL44rocblas_set_matrix_zero_if_alpha_zero_kernelILi16ELi16EdPdEviiT1_lT2_lli.kd
    .uniform_work_group_size: 1
    .uses_dynamic_stack: false
    .vgpr_count:     8
    .vgpr_spill_count: 0
    .wavefront_size: 32
    .workgroup_processor_mode: 1
  - .args:
      - .offset:         0
        .size:           4
        .value_kind:     by_value
      - .offset:         4
        .size:           4
        .value_kind:     by_value
      - .address_space:  global
        .offset:         8
        .size:           8
        .value_kind:     global_buffer
      - .offset:         16
        .size:           8
        .value_kind:     by_value
      - .address_space:  global
        .offset:         24
        .size:           8
        .value_kind:     global_buffer
      - .offset:         32
        .size:           8
        .value_kind:     by_value
      - .offset:         40
        .size:           8
        .value_kind:     by_value
      - .offset:         48
        .size:           4
        .value_kind:     by_value
      - .offset:         56
        .size:           4
        .value_kind:     hidden_block_count_x
      - .offset:         60
        .size:           4
        .value_kind:     hidden_block_count_y
      - .offset:         64
        .size:           4
        .value_kind:     hidden_block_count_z
      - .offset:         68
        .size:           2
        .value_kind:     hidden_group_size_x
      - .offset:         70
        .size:           2
        .value_kind:     hidden_group_size_y
      - .offset:         72
        .size:           2
        .value_kind:     hidden_group_size_z
      - .offset:         74
        .size:           2
        .value_kind:     hidden_remainder_x
      - .offset:         76
        .size:           2
        .value_kind:     hidden_remainder_y
      - .offset:         78
        .size:           2
        .value_kind:     hidden_remainder_z
      - .offset:         96
        .size:           8
        .value_kind:     hidden_global_offset_x
      - .offset:         104
        .size:           8
        .value_kind:     hidden_global_offset_y
      - .offset:         112
        .size:           8
        .value_kind:     hidden_global_offset_z
      - .offset:         120
        .size:           2
        .value_kind:     hidden_grid_dims
    .group_segment_fixed_size: 0
    .kernarg_segment_align: 8
    .kernarg_segment_size: 312
    .language:       OpenCL C
    .language_version:
      - 2
      - 0
    .max_flat_workgroup_size: 256
    .name:           _ZL44rocblas_set_matrix_zero_if_alpha_zero_kernelILi16ELi16EPKdPKPdEviiT1_lT2_lli
    .private_segment_fixed_size: 0
    .sgpr_count:     18
    .sgpr_spill_count: 0
    .symbol:         _ZL44rocblas_set_matrix_zero_if_alpha_zero_kernelILi16ELi16EPKdPKPdEviiT1_lT2_lli.kd
    .uniform_work_group_size: 1
    .uses_dynamic_stack: false
    .vgpr_count:     8
    .vgpr_spill_count: 0
    .wavefront_size: 32
    .workgroup_processor_mode: 1
  - .args:
      - .offset:         0
        .size:           4
        .value_kind:     by_value
      - .offset:         4
        .size:           4
        .value_kind:     by_value
      - .offset:         8
        .size:           8
        .value_kind:     by_value
      - .offset:         16
        .size:           8
        .value_kind:     by_value
      - .address_space:  global
        .offset:         24
        .size:           8
        .value_kind:     global_buffer
      - .offset:         32
        .size:           8
        .value_kind:     by_value
      - .offset:         40
        .size:           8
        .value_kind:     by_value
      - .offset:         48
        .size:           4
        .value_kind:     by_value
      - .offset:         56
        .size:           4
        .value_kind:     hidden_block_count_x
      - .offset:         60
        .size:           4
        .value_kind:     hidden_block_count_y
      - .offset:         64
        .size:           4
        .value_kind:     hidden_block_count_z
      - .offset:         68
        .size:           2
        .value_kind:     hidden_group_size_x
      - .offset:         70
        .size:           2
        .value_kind:     hidden_group_size_y
      - .offset:         72
        .size:           2
        .value_kind:     hidden_group_size_z
      - .offset:         74
        .size:           2
        .value_kind:     hidden_remainder_x
      - .offset:         76
        .size:           2
        .value_kind:     hidden_remainder_y
      - .offset:         78
        .size:           2
        .value_kind:     hidden_remainder_z
      - .offset:         96
        .size:           8
        .value_kind:     hidden_global_offset_x
      - .offset:         104
        .size:           8
        .value_kind:     hidden_global_offset_y
      - .offset:         112
        .size:           8
        .value_kind:     hidden_global_offset_z
      - .offset:         120
        .size:           2
        .value_kind:     hidden_grid_dims
    .group_segment_fixed_size: 0
    .kernarg_segment_align: 8
    .kernarg_segment_size: 312
    .language:       OpenCL C
    .language_version:
      - 2
      - 0
    .max_flat_workgroup_size: 256
    .name:           _ZL44rocblas_set_matrix_zero_if_alpha_zero_kernelILi16ELi16EdPKPdEviiT1_lT2_lli
    .private_segment_fixed_size: 0
    .sgpr_count:     18
    .sgpr_spill_count: 0
    .symbol:         _ZL44rocblas_set_matrix_zero_if_alpha_zero_kernelILi16ELi16EdPKPdEviiT1_lT2_lli.kd
    .uniform_work_group_size: 1
    .uses_dynamic_stack: false
    .vgpr_count:     8
    .vgpr_spill_count: 0
    .wavefront_size: 32
    .workgroup_processor_mode: 1
  - .args:
      - .offset:         0
        .size:           4
        .value_kind:     by_value
      - .offset:         4
        .size:           4
        .value_kind:     by_value
      - .address_space:  global
        .offset:         8
        .size:           8
        .value_kind:     global_buffer
      - .offset:         16
        .size:           8
        .value_kind:     by_value
      - .address_space:  global
        .offset:         24
        .size:           8
        .value_kind:     global_buffer
      - .offset:         32
        .size:           8
        .value_kind:     by_value
      - .offset:         40
        .size:           8
        .value_kind:     by_value
      - .offset:         48
        .size:           4
        .value_kind:     by_value
      - .offset:         56
        .size:           4
        .value_kind:     hidden_block_count_x
      - .offset:         60
        .size:           4
        .value_kind:     hidden_block_count_y
      - .offset:         64
        .size:           4
        .value_kind:     hidden_block_count_z
      - .offset:         68
        .size:           2
        .value_kind:     hidden_group_size_x
      - .offset:         70
        .size:           2
        .value_kind:     hidden_group_size_y
      - .offset:         72
        .size:           2
        .value_kind:     hidden_group_size_z
      - .offset:         74
        .size:           2
        .value_kind:     hidden_remainder_x
      - .offset:         76
        .size:           2
        .value_kind:     hidden_remainder_y
      - .offset:         78
        .size:           2
        .value_kind:     hidden_remainder_z
      - .offset:         96
        .size:           8
        .value_kind:     hidden_global_offset_x
      - .offset:         104
        .size:           8
        .value_kind:     hidden_global_offset_y
      - .offset:         112
        .size:           8
        .value_kind:     hidden_global_offset_z
      - .offset:         120
        .size:           2
        .value_kind:     hidden_grid_dims
    .group_segment_fixed_size: 0
    .kernarg_segment_align: 8
    .kernarg_segment_size: 312
    .language:       OpenCL C
    .language_version:
      - 2
      - 0
    .max_flat_workgroup_size: 256
    .name:           _ZL44rocblas_set_matrix_zero_if_alpha_zero_kernelILi16ELi16EPK19rocblas_complex_numIfEPKPS1_EviiT1_lT2_lli
    .private_segment_fixed_size: 0
    .sgpr_count:     20
    .sgpr_spill_count: 0
    .symbol:         _ZL44rocblas_set_matrix_zero_if_alpha_zero_kernelILi16ELi16EPK19rocblas_complex_numIfEPKPS1_EviiT1_lT2_lli.kd
    .uniform_work_group_size: 1
    .uses_dynamic_stack: false
    .vgpr_count:     8
    .vgpr_spill_count: 0
    .wavefront_size: 32
    .workgroup_processor_mode: 1
  - .args:
      - .offset:         0
        .size:           4
        .value_kind:     by_value
      - .offset:         4
        .size:           4
        .value_kind:     by_value
      - .offset:         8
        .size:           8
        .value_kind:     by_value
      - .offset:         16
        .size:           8
        .value_kind:     by_value
      - .address_space:  global
        .offset:         24
        .size:           8
        .value_kind:     global_buffer
      - .offset:         32
        .size:           8
        .value_kind:     by_value
      - .offset:         40
        .size:           8
        .value_kind:     by_value
      - .offset:         48
        .size:           4
        .value_kind:     by_value
      - .offset:         56
        .size:           4
        .value_kind:     hidden_block_count_x
      - .offset:         60
        .size:           4
        .value_kind:     hidden_block_count_y
      - .offset:         64
        .size:           4
        .value_kind:     hidden_block_count_z
      - .offset:         68
        .size:           2
        .value_kind:     hidden_group_size_x
      - .offset:         70
        .size:           2
        .value_kind:     hidden_group_size_y
      - .offset:         72
        .size:           2
        .value_kind:     hidden_group_size_z
      - .offset:         74
        .size:           2
        .value_kind:     hidden_remainder_x
      - .offset:         76
        .size:           2
        .value_kind:     hidden_remainder_y
      - .offset:         78
        .size:           2
        .value_kind:     hidden_remainder_z
      - .offset:         96
        .size:           8
        .value_kind:     hidden_global_offset_x
      - .offset:         104
        .size:           8
        .value_kind:     hidden_global_offset_y
      - .offset:         112
        .size:           8
        .value_kind:     hidden_global_offset_z
      - .offset:         120
        .size:           2
        .value_kind:     hidden_grid_dims
    .group_segment_fixed_size: 0
    .kernarg_segment_align: 8
    .kernarg_segment_size: 312
    .language:       OpenCL C
    .language_version:
      - 2
      - 0
    .max_flat_workgroup_size: 256
    .name:           _ZL44rocblas_set_matrix_zero_if_alpha_zero_kernelILi16ELi16E19rocblas_complex_numIfEPKPS1_EviiT1_lT2_lli
    .private_segment_fixed_size: 0
    .sgpr_count:     18
    .sgpr_spill_count: 0
    .symbol:         _ZL44rocblas_set_matrix_zero_if_alpha_zero_kernelILi16ELi16E19rocblas_complex_numIfEPKPS1_EviiT1_lT2_lli.kd
    .uniform_work_group_size: 1
    .uses_dynamic_stack: false
    .vgpr_count:     8
    .vgpr_spill_count: 0
    .wavefront_size: 32
    .workgroup_processor_mode: 1
  - .args:
      - .offset:         0
        .size:           4
        .value_kind:     by_value
      - .offset:         4
        .size:           4
        .value_kind:     by_value
      - .address_space:  global
        .offset:         8
        .size:           8
        .value_kind:     global_buffer
      - .offset:         16
        .size:           8
        .value_kind:     by_value
      - .address_space:  global
        .offset:         24
        .size:           8
        .value_kind:     global_buffer
      - .offset:         32
        .size:           8
        .value_kind:     by_value
      - .offset:         40
        .size:           8
        .value_kind:     by_value
      - .offset:         48
        .size:           4
        .value_kind:     by_value
      - .offset:         56
        .size:           4
        .value_kind:     hidden_block_count_x
      - .offset:         60
        .size:           4
        .value_kind:     hidden_block_count_y
      - .offset:         64
        .size:           4
        .value_kind:     hidden_block_count_z
      - .offset:         68
        .size:           2
        .value_kind:     hidden_group_size_x
      - .offset:         70
        .size:           2
        .value_kind:     hidden_group_size_y
      - .offset:         72
        .size:           2
        .value_kind:     hidden_group_size_z
      - .offset:         74
        .size:           2
        .value_kind:     hidden_remainder_x
      - .offset:         76
        .size:           2
        .value_kind:     hidden_remainder_y
      - .offset:         78
        .size:           2
        .value_kind:     hidden_remainder_z
      - .offset:         96
        .size:           8
        .value_kind:     hidden_global_offset_x
      - .offset:         104
        .size:           8
        .value_kind:     hidden_global_offset_y
      - .offset:         112
        .size:           8
        .value_kind:     hidden_global_offset_z
      - .offset:         120
        .size:           2
        .value_kind:     hidden_grid_dims
    .group_segment_fixed_size: 0
    .kernarg_segment_align: 8
    .kernarg_segment_size: 312
    .language:       OpenCL C
    .language_version:
      - 2
      - 0
    .max_flat_workgroup_size: 256
    .name:           _ZL44rocblas_set_matrix_zero_if_alpha_zero_kernelILi16ELi16EPK19rocblas_complex_numIfEPS1_EviiT1_lT2_lli
    .private_segment_fixed_size: 0
    .sgpr_count:     18
    .sgpr_spill_count: 0
    .symbol:         _ZL44rocblas_set_matrix_zero_if_alpha_zero_kernelILi16ELi16EPK19rocblas_complex_numIfEPS1_EviiT1_lT2_lli.kd
    .uniform_work_group_size: 1
    .uses_dynamic_stack: false
    .vgpr_count:     8
    .vgpr_spill_count: 0
    .wavefront_size: 32
    .workgroup_processor_mode: 1
  - .args:
      - .offset:         0
        .size:           4
        .value_kind:     by_value
      - .offset:         4
        .size:           4
        .value_kind:     by_value
      - .offset:         8
        .size:           8
        .value_kind:     by_value
      - .offset:         16
        .size:           8
        .value_kind:     by_value
      - .address_space:  global
        .offset:         24
        .size:           8
        .value_kind:     global_buffer
      - .offset:         32
        .size:           8
        .value_kind:     by_value
      - .offset:         40
        .size:           8
        .value_kind:     by_value
      - .offset:         48
        .size:           4
        .value_kind:     by_value
      - .offset:         56
        .size:           4
        .value_kind:     hidden_block_count_x
      - .offset:         60
        .size:           4
        .value_kind:     hidden_block_count_y
      - .offset:         64
        .size:           4
        .value_kind:     hidden_block_count_z
      - .offset:         68
        .size:           2
        .value_kind:     hidden_group_size_x
      - .offset:         70
        .size:           2
        .value_kind:     hidden_group_size_y
      - .offset:         72
        .size:           2
        .value_kind:     hidden_group_size_z
      - .offset:         74
        .size:           2
        .value_kind:     hidden_remainder_x
      - .offset:         76
        .size:           2
        .value_kind:     hidden_remainder_y
      - .offset:         78
        .size:           2
        .value_kind:     hidden_remainder_z
      - .offset:         96
        .size:           8
        .value_kind:     hidden_global_offset_x
      - .offset:         104
        .size:           8
        .value_kind:     hidden_global_offset_y
      - .offset:         112
        .size:           8
        .value_kind:     hidden_global_offset_z
      - .offset:         120
        .size:           2
        .value_kind:     hidden_grid_dims
    .group_segment_fixed_size: 0
    .kernarg_segment_align: 8
    .kernarg_segment_size: 312
    .language:       OpenCL C
    .language_version:
      - 2
      - 0
    .max_flat_workgroup_size: 256
    .name:           _ZL44rocblas_set_matrix_zero_if_alpha_zero_kernelILi16ELi16E19rocblas_complex_numIfEPS1_EviiT1_lT2_lli
    .private_segment_fixed_size: 0
    .sgpr_count:     18
    .sgpr_spill_count: 0
    .symbol:         _ZL44rocblas_set_matrix_zero_if_alpha_zero_kernelILi16ELi16E19rocblas_complex_numIfEPS1_EviiT1_lT2_lli.kd
    .uniform_work_group_size: 1
    .uses_dynamic_stack: false
    .vgpr_count:     8
    .vgpr_spill_count: 0
    .wavefront_size: 32
    .workgroup_processor_mode: 1
  - .args:
      - .offset:         0
        .size:           4
        .value_kind:     by_value
      - .offset:         4
        .size:           4
        .value_kind:     by_value
      - .address_space:  global
        .offset:         8
        .size:           8
        .value_kind:     global_buffer
      - .offset:         16
        .size:           8
        .value_kind:     by_value
      - .address_space:  global
        .offset:         24
        .size:           8
        .value_kind:     global_buffer
      - .offset:         32
        .size:           8
        .value_kind:     by_value
      - .offset:         40
        .size:           8
        .value_kind:     by_value
      - .offset:         48
        .size:           4
        .value_kind:     by_value
      - .offset:         56
        .size:           4
        .value_kind:     hidden_block_count_x
      - .offset:         60
        .size:           4
        .value_kind:     hidden_block_count_y
      - .offset:         64
        .size:           4
        .value_kind:     hidden_block_count_z
      - .offset:         68
        .size:           2
        .value_kind:     hidden_group_size_x
      - .offset:         70
        .size:           2
        .value_kind:     hidden_group_size_y
      - .offset:         72
        .size:           2
        .value_kind:     hidden_group_size_z
      - .offset:         74
        .size:           2
        .value_kind:     hidden_remainder_x
      - .offset:         76
        .size:           2
        .value_kind:     hidden_remainder_y
      - .offset:         78
        .size:           2
        .value_kind:     hidden_remainder_z
      - .offset:         96
        .size:           8
        .value_kind:     hidden_global_offset_x
      - .offset:         104
        .size:           8
        .value_kind:     hidden_global_offset_y
      - .offset:         112
        .size:           8
        .value_kind:     hidden_global_offset_z
      - .offset:         120
        .size:           2
        .value_kind:     hidden_grid_dims
    .group_segment_fixed_size: 0
    .kernarg_segment_align: 8
    .kernarg_segment_size: 312
    .language:       OpenCL C
    .language_version:
      - 2
      - 0
    .max_flat_workgroup_size: 256
    .name:           _ZL44rocblas_set_matrix_zero_if_alpha_zero_kernelILi16ELi16EPK19rocblas_complex_numIdEPKPS1_EviiT1_lT2_lli
    .private_segment_fixed_size: 0
    .sgpr_count:     18
    .sgpr_spill_count: 0
    .symbol:         _ZL44rocblas_set_matrix_zero_if_alpha_zero_kernelILi16ELi16EPK19rocblas_complex_numIdEPKPS1_EviiT1_lT2_lli.kd
    .uniform_work_group_size: 1
    .uses_dynamic_stack: false
    .vgpr_count:     10
    .vgpr_spill_count: 0
    .wavefront_size: 32
    .workgroup_processor_mode: 1
  - .args:
      - .offset:         0
        .size:           4
        .value_kind:     by_value
      - .offset:         4
        .size:           4
        .value_kind:     by_value
      - .offset:         8
        .size:           16
        .value_kind:     by_value
      - .offset:         24
        .size:           8
        .value_kind:     by_value
      - .address_space:  global
        .offset:         32
        .size:           8
        .value_kind:     global_buffer
      - .offset:         40
        .size:           8
        .value_kind:     by_value
      - .offset:         48
        .size:           8
        .value_kind:     by_value
      - .offset:         56
        .size:           4
        .value_kind:     by_value
      - .offset:         64
        .size:           4
        .value_kind:     hidden_block_count_x
      - .offset:         68
        .size:           4
        .value_kind:     hidden_block_count_y
      - .offset:         72
        .size:           4
        .value_kind:     hidden_block_count_z
      - .offset:         76
        .size:           2
        .value_kind:     hidden_group_size_x
      - .offset:         78
        .size:           2
        .value_kind:     hidden_group_size_y
      - .offset:         80
        .size:           2
        .value_kind:     hidden_group_size_z
      - .offset:         82
        .size:           2
        .value_kind:     hidden_remainder_x
      - .offset:         84
        .size:           2
        .value_kind:     hidden_remainder_y
      - .offset:         86
        .size:           2
        .value_kind:     hidden_remainder_z
      - .offset:         104
        .size:           8
        .value_kind:     hidden_global_offset_x
      - .offset:         112
        .size:           8
        .value_kind:     hidden_global_offset_y
      - .offset:         120
        .size:           8
        .value_kind:     hidden_global_offset_z
      - .offset:         128
        .size:           2
        .value_kind:     hidden_grid_dims
    .group_segment_fixed_size: 0
    .kernarg_segment_align: 8
    .kernarg_segment_size: 320
    .language:       OpenCL C
    .language_version:
      - 2
      - 0
    .max_flat_workgroup_size: 256
    .name:           _ZL44rocblas_set_matrix_zero_if_alpha_zero_kernelILi16ELi16E19rocblas_complex_numIdEPKPS1_EviiT1_lT2_lli
    .private_segment_fixed_size: 0
    .sgpr_count:     18
    .sgpr_spill_count: 0
    .symbol:         _ZL44rocblas_set_matrix_zero_if_alpha_zero_kernelILi16ELi16E19rocblas_complex_numIdEPKPS1_EviiT1_lT2_lli.kd
    .uniform_work_group_size: 1
    .uses_dynamic_stack: false
    .vgpr_count:     10
    .vgpr_spill_count: 0
    .wavefront_size: 32
    .workgroup_processor_mode: 1
  - .args:
      - .offset:         0
        .size:           4
        .value_kind:     by_value
      - .offset:         4
        .size:           4
        .value_kind:     by_value
      - .address_space:  global
        .offset:         8
        .size:           8
        .value_kind:     global_buffer
      - .offset:         16
        .size:           8
        .value_kind:     by_value
      - .address_space:  global
        .offset:         24
        .size:           8
        .value_kind:     global_buffer
      - .offset:         32
        .size:           8
        .value_kind:     by_value
      - .offset:         40
        .size:           8
        .value_kind:     by_value
      - .offset:         48
        .size:           4
        .value_kind:     by_value
      - .offset:         56
        .size:           4
        .value_kind:     hidden_block_count_x
      - .offset:         60
        .size:           4
        .value_kind:     hidden_block_count_y
      - .offset:         64
        .size:           4
        .value_kind:     hidden_block_count_z
      - .offset:         68
        .size:           2
        .value_kind:     hidden_group_size_x
      - .offset:         70
        .size:           2
        .value_kind:     hidden_group_size_y
      - .offset:         72
        .size:           2
        .value_kind:     hidden_group_size_z
      - .offset:         74
        .size:           2
        .value_kind:     hidden_remainder_x
      - .offset:         76
        .size:           2
        .value_kind:     hidden_remainder_y
      - .offset:         78
        .size:           2
        .value_kind:     hidden_remainder_z
      - .offset:         96
        .size:           8
        .value_kind:     hidden_global_offset_x
      - .offset:         104
        .size:           8
        .value_kind:     hidden_global_offset_y
      - .offset:         112
        .size:           8
        .value_kind:     hidden_global_offset_z
      - .offset:         120
        .size:           2
        .value_kind:     hidden_grid_dims
    .group_segment_fixed_size: 0
    .kernarg_segment_align: 8
    .kernarg_segment_size: 312
    .language:       OpenCL C
    .language_version:
      - 2
      - 0
    .max_flat_workgroup_size: 256
    .name:           _ZL44rocblas_set_matrix_zero_if_alpha_zero_kernelILi16ELi16EPK19rocblas_complex_numIdEPS1_EviiT1_lT2_lli
    .private_segment_fixed_size: 0
    .sgpr_count:     18
    .sgpr_spill_count: 0
    .symbol:         _ZL44rocblas_set_matrix_zero_if_alpha_zero_kernelILi16ELi16EPK19rocblas_complex_numIdEPS1_EviiT1_lT2_lli.kd
    .uniform_work_group_size: 1
    .uses_dynamic_stack: false
    .vgpr_count:     10
    .vgpr_spill_count: 0
    .wavefront_size: 32
    .workgroup_processor_mode: 1
  - .args:
      - .offset:         0
        .size:           4
        .value_kind:     by_value
      - .offset:         4
        .size:           4
        .value_kind:     by_value
      - .offset:         8
        .size:           16
        .value_kind:     by_value
      - .offset:         24
        .size:           8
        .value_kind:     by_value
      - .address_space:  global
        .offset:         32
        .size:           8
        .value_kind:     global_buffer
      - .offset:         40
        .size:           8
        .value_kind:     by_value
      - .offset:         48
        .size:           8
        .value_kind:     by_value
      - .offset:         56
        .size:           4
        .value_kind:     by_value
      - .offset:         64
        .size:           4
        .value_kind:     hidden_block_count_x
      - .offset:         68
        .size:           4
        .value_kind:     hidden_block_count_y
      - .offset:         72
        .size:           4
        .value_kind:     hidden_block_count_z
      - .offset:         76
        .size:           2
        .value_kind:     hidden_group_size_x
      - .offset:         78
        .size:           2
        .value_kind:     hidden_group_size_y
      - .offset:         80
        .size:           2
        .value_kind:     hidden_group_size_z
      - .offset:         82
        .size:           2
        .value_kind:     hidden_remainder_x
      - .offset:         84
        .size:           2
        .value_kind:     hidden_remainder_y
      - .offset:         86
        .size:           2
        .value_kind:     hidden_remainder_z
      - .offset:         104
        .size:           8
        .value_kind:     hidden_global_offset_x
      - .offset:         112
        .size:           8
        .value_kind:     hidden_global_offset_y
      - .offset:         120
        .size:           8
        .value_kind:     hidden_global_offset_z
      - .offset:         128
        .size:           2
        .value_kind:     hidden_grid_dims
    .group_segment_fixed_size: 0
    .kernarg_segment_align: 8
    .kernarg_segment_size: 320
    .language:       OpenCL C
    .language_version:
      - 2
      - 0
    .max_flat_workgroup_size: 256
    .name:           _ZL44rocblas_set_matrix_zero_if_alpha_zero_kernelILi16ELi16E19rocblas_complex_numIdEPS1_EviiT1_lT2_lli
    .private_segment_fixed_size: 0
    .sgpr_count:     18
    .sgpr_spill_count: 0
    .symbol:         _ZL44rocblas_set_matrix_zero_if_alpha_zero_kernelILi16ELi16E19rocblas_complex_numIdEPS1_EviiT1_lT2_lli.kd
    .uniform_work_group_size: 1
    .uses_dynamic_stack: false
    .vgpr_count:     10
    .vgpr_spill_count: 0
    .wavefront_size: 32
    .workgroup_processor_mode: 1
amdhsa.target:   amdgcn-amd-amdhsa--gfx1100
amdhsa.version:
  - 1
  - 2
...

	.end_amdgpu_metadata
